;; amdgpu-corpus repo=ggml-org/llama.cpp kind=compiled arch=gfx1030 opt=O3
	.amdgcn_target "amdgcn-amd-amdhsa--gfx1030"
	.amdhsa_code_object_version 6
	.section	.text._ZL17mul_mat_vec_q_moeIL9ggml_type41ELi2EEvPKvS2_PKiPfj15HIP_vector_typeIjLj3EEjjjjjjjjj,"axG",@progbits,_ZL17mul_mat_vec_q_moeIL9ggml_type41ELi2EEvPKvS2_PKiPfj15HIP_vector_typeIjLj3EEjjjjjjjjj,comdat
	.globl	_ZL17mul_mat_vec_q_moeIL9ggml_type41ELi2EEvPKvS2_PKiPfj15HIP_vector_typeIjLj3EEjjjjjjjjj ; -- Begin function _ZL17mul_mat_vec_q_moeIL9ggml_type41ELi2EEvPKvS2_PKiPfj15HIP_vector_typeIjLj3EEjjjjjjjjj
	.p2align	8
	.type	_ZL17mul_mat_vec_q_moeIL9ggml_type41ELi2EEvPKvS2_PKiPfj15HIP_vector_typeIjLj3EEjjjjjjjjj,@function
_ZL17mul_mat_vec_q_moeIL9ggml_type41ELi2EEvPKvS2_PKiPfj15HIP_vector_typeIjLj3EEjjjjjjjjj: ; @_ZL17mul_mat_vec_q_moeIL9ggml_type41ELi2EEvPKvS2_PKiPfj15HIP_vector_typeIjLj3EEjjjjjjjjj
; %bb.0:
	s_load_dwordx8 s[20:27], s[4:5], 0x30
	s_mov_b32 s0, exec_lo
	s_waitcnt lgkmcnt(0)
	v_cmpx_gt_u32_e64 s27, v1
	s_cbranch_execz .LBB0_7
; %bb.1:
	s_clause 0x2
	s_load_dword s1, s[4:5], 0x20
	s_load_dword s0, s[4:5], 0x50
	s_load_dwordx8 s[12:19], s[4:5], 0x0
	v_lshrrev_b32_e32 v8, 2, v0
	v_mov_b32_e32 v2, 0
	v_mov_b32_e32 v3, 0
	s_mov_b32 s28, s7
	s_lshl_b32 s27, s6, 1
	s_mov_b32 s30, exec_lo
	s_waitcnt lgkmcnt(0)
	s_lshr_b32 s29, s1, 7
	v_cmpx_gt_u32_e64 s29, v8
	s_cbranch_execz .LBB0_5
; %bb.2:
	v_mad_u64_u32 v[2:3], null, s0, v1, s[28:29]
	v_mov_b32_e32 v3, 0
	s_load_dwordx4 s[0:3], s[4:5], 0x24
	v_lshrrev_b32_e32 v6, 2, v0
	v_mov_b32_e32 v11, 0xff000000
	v_lshlrev_b64 v[4:5], 2, v[2:3]
	v_add_co_u32 v4, vcc_lo, s16, v4
	v_add_co_ci_u32_e64 v5, null, s17, v5, vcc_lo
	global_load_dword v2, v[4:5], off
	v_mul_lo_u32 v4, s22, v1
	s_waitcnt lgkmcnt(0)
	s_mul_hi_u32 s0, s0, s28
	s_add_i32 s0, s28, s0
	s_lshr_b32 s0, s0, s1
	s_mul_i32 s0, s0, s2
	v_mad_u64_u32 v[4:5], null, v4, 36, 0
	s_sub_i32 s0, s28, s0
	s_mul_i32 s0, s0, s25
	v_mad_u64_u32 v[4:5], null, 0x90, v6, v[4:5]
	v_and_b32_e32 v6, 3, v0
	v_lshlrev_b32_e32 v9, 2, v6
	v_mad_u64_u32 v[4:5], null, s0, 36, v[4:5]
	s_add_i32 s0, s27, 1
	v_mad_u64_u32 v[4:5], null, v6, 36, v[4:5]
	v_add_co_u32 v7, vcc_lo, s14, v4
	v_add_co_ci_u32_e64 v10, null, s15, v5, vcc_lo
	s_mov_b32 s14, 0
	s_waitcnt vmcnt(0)
	v_mul_lo_u32 v2, v2, s24
	v_mad_u64_u32 v[4:5], null, s27, s21, v[2:3]
	v_mad_u64_u32 v[5:6], null, s21, s0, v[2:3]
	v_add_co_u32 v6, vcc_lo, v7, 32
	v_add_co_ci_u32_e64 v7, null, 0, v10, vcc_lo
	v_mov_b32_e32 v10, 0xff0000
	v_mov_b32_e32 v2, v3
.LBB0_3:                                ; =>This Inner Loop Header: Depth=1
	v_add_nc_u32_e32 v12, v4, v8
	v_add_nc_u32_e32 v14, v5, v8
	v_mov_b32_e32 v25, 0
	v_mov_b32_e32 v26, 0
	v_add_nc_u32_e32 v8, 8, v8
	v_mad_i64_i32 v[12:13], null, v12, 18, s[12:13]
	v_mad_i64_i32 v[14:15], null, v14, 18, s[12:13]
	v_add_co_u32 v16, vcc_lo, v12, v9
	v_add_co_ci_u32_e64 v17, null, 0, v13, vcc_lo
	v_add_co_u32 v18, vcc_lo, v14, v9
	v_add_co_ci_u32_e64 v19, null, 0, v15, vcc_lo
	s_clause 0x3
	global_load_ushort v20, v[12:13], off
	global_load_dword v21, v[16:17], off offset:2
	global_load_ushort v22, v[14:15], off
	global_load_dword v23, v[18:19], off offset:2
	s_clause 0x2
	global_load_dwordx4 v[12:15], v[6:7], off offset:-32
	global_load_dwordx4 v[16:19], v[6:7], off offset:-16
	global_load_dword v24, v[6:7], off
	s_waitcnt vmcnt(5)
	v_and_b32_e32 v27, 1, v21
	v_and_b32_e32 v28, 4, v21
	;; [unrolled: 1-line block ×5, first 2 shown]
	v_cmp_eq_u32_e64 s0, 0, v27
	v_and_b32_e32 v38, 0x1000, v21
	v_and_b32_e32 v29, 8, v21
	v_lshlrev_b32_e32 v30, 8, v21
	v_and_b32_e32 v36, 0x400, v21
	v_cndmask_b32_e64 v27, 1, 0xff, s0
	v_cmp_eq_u32_e64 s0, 0, v28
	v_and_b32_e32 v39, 0x4000, v21
	v_cmp_eq_u32_e64 s10, 0, v38
	v_and_b32_e32 v33, 0x80, v21
	v_lshlrev_b32_e32 v34, 4, v21
	v_cndmask_b32_e64 v28, 0x10000, v10, s0
	v_cmp_eq_u32_e64 s0, 0, v31
	v_and_b32_e32 v40, 0x8000, v21
	s_waitcnt vmcnt(3)
	v_and_b32_e32 v57, 1, v23
	v_cmp_eq_u32_e32 vcc_lo, 0, v29
	v_and_or_b32 v27, 0x200, v30, v27
	v_cndmask_b32_e64 v31, 1, 0xff, s0
	v_cmp_eq_u32_e64 s0, 0, v32
	v_cndmask_b32_e64 v38, 1, 0xff, s10
	v_cmp_eq_u32_e64 s10, 0, v39
	v_and_b32_e32 v37, 0x800, v21
	v_and_b32_e32 v42, 0x10000, v21
	v_cndmask_b32_e64 v32, 0x10000, v10, s0
	v_cmp_eq_u32_e64 s0, 0, v35
	v_and_b32_e32 v29, 4, v23
	v_cndmask_b32_e32 v30, 0x1000000, v11, vcc_lo
	v_add_nc_u32_e32 v27, 0xff00, v27
	v_cmp_eq_u32_e32 vcc_lo, 0, v33
	v_cndmask_b32_e64 v35, 1, 0xff, s0
	v_cmp_eq_u32_e64 s0, 0, v36
	v_and_or_b32 v31, 0x200, v34, v31
	v_cndmask_b32_e64 v39, 0x10000, v10, s10
	v_cmp_eq_u32_e64 s10, 0, v40
	v_lshrrev_b32_e32 v41, 4, v21
	v_cndmask_b32_e64 v36, 0x10000, v10, s0
	v_cmp_eq_u32_e64 s0, 0, v57
	v_and_b32_e32 v43, 0x40000, v21
	v_and_b32_e32 v44, 0x80000, v21
	v_lshrrev_b32_e32 v45, 8, v21
	v_and_b32_e32 v46, 0x100000, v21
	v_and_b32_e32 v47, 0x400000, v21
	;; [unrolled: 1-line block ×3, first 2 shown]
	v_lshrrev_b32_e32 v49, 12, v21
	v_and_b32_e32 v50, 0x1000000, v21
	v_and_b32_e32 v51, 0x4000000, v21
	v_and_b32_e32 v52, 0x8000000, v21
	v_lshrrev_b32_e32 v53, 16, v21
	v_ashrrev_i32_e32 v54, 28, v21
	v_and_b32_e32 v55, 0x10000000, v21
	v_and_b32_e32 v56, 2.0, v21
	v_or3_b32 v27, v30, v28, v27
	v_and_b32_e32 v28, 8, v23
	v_and_b32_e32 v33, 16, v23
	v_cndmask_b32_e32 v34, 0x1000000, v11, vcc_lo
	v_add_nc_u32_e32 v31, 0xff00, v31
	v_cmp_eq_u32_e32 vcc_lo, 0, v37
	v_and_or_b32 v21, 0x200, v21, v35
	v_cndmask_b32_e64 v57, 1, 0xff, s0
	v_cmp_eq_u32_e64 s0, 0, v29
	v_cndmask_b32_e64 v40, 0x1000000, v11, s10
	v_cmp_eq_u32_e64 s10, 0, v42
	v_lshlrev_b32_e32 v30, 8, v23
	v_or3_b32 v31, v34, v32, v31
	v_and_b32_e32 v34, 0x80, v23
	v_cndmask_b32_e32 v35, 0x1000000, v11, vcc_lo
	v_add_nc_u32_e32 v21, 0xff00, v21
	v_cmp_eq_u32_e32 vcc_lo, 0, v28
	v_cndmask_b32_e64 v29, 0x10000, v10, s0
	v_cmp_eq_u32_e64 s0, 0, v33
	v_cndmask_b32_e64 v42, 1, 0xff, s10
	v_cmp_eq_u32_e64 s10, 0, v43
	v_lshlrev_b32_e32 v37, 4, v23
	v_or3_b32 v21, v35, v36, v21
	v_and_b32_e32 v35, 0x100, v23
	v_and_or_b32 v30, 0x200, v30, v57
	v_cndmask_b32_e32 v57, 0x1000000, v11, vcc_lo
	v_cmp_eq_u32_e32 vcc_lo, 0, v34
	v_cndmask_b32_e64 v33, 1, 0xff, s0
	v_cndmask_b32_e64 v43, 0x10000, v10, s10
	v_cmp_eq_u32_e64 s10, 0, v44
	v_and_b32_e32 v32, 64, v23
	v_and_b32_e32 v36, 0x400, v23
	v_and_or_b32 v33, 0x200, v37, v33
	v_cndmask_b32_e32 v37, 0x1000000, v11, vcc_lo
	v_cmp_eq_u32_e32 vcc_lo, 0, v35
	v_cndmask_b32_e64 v44, 0x1000000, v11, s10
	v_cmp_eq_u32_e64 s10, 0, v46
	v_and_b32_e32 v28, 0x800, v23
	v_cmp_eq_u32_e64 s0, 0, v32
	v_cndmask_b32_e64 v35, 1, 0xff, vcc_lo
	v_cmp_eq_u32_e32 vcc_lo, 0, v36
	v_cndmask_b32_e64 v46, 1, 0xff, s10
	v_cmp_eq_u32_e64 s10, 0, v47
	v_cndmask_b32_e64 v32, 0x10000, v10, s0
	v_add_nc_u32_e32 v33, 0xff00, v33
	v_cndmask_b32_e32 v36, 0x10000, v10, vcc_lo
	v_cmp_eq_u32_e32 vcc_lo, 0, v28
	v_and_or_b32 v35, 0x200, v23, v35
	v_cndmask_b32_e64 v47, 0x10000, v10, s10
	v_cmp_eq_u32_e64 s10, 0, v48
	v_or3_b32 v32, v37, v32, v33
	v_and_b32_e32 v37, 0x10000, v23
	v_cndmask_b32_e32 v28, 0x1000000, v11, vcc_lo
	v_add_nc_u32_e32 v35, 0xff00, v35
	v_cndmask_b32_e64 v48, 0x1000000, v11, s10
	v_cmp_eq_u32_e64 s10, 0, v50
	v_add_nc_u32_e32 v30, 0xff00, v30
	v_cmp_eq_u32_e64 s0, 0, v37
	v_or3_b32 v28, v28, v36, v35
	v_and_b32_e32 v35, 0x40000, v23
	v_and_b32_e32 v36, 0x80000, v23
	;; [unrolled: 1-line block ×3, first 2 shown]
	v_cndmask_b32_e64 v50, 1, 0xff, s10
	v_cmp_eq_u32_e64 s10, 0, v51
	v_or3_b32 v29, v57, v29, v30
	v_and_b32_e32 v30, 0x1000, v23
	v_cmp_eq_u32_e64 s1, 0, v35
	v_and_b32_e32 v35, 0x400000, v23
	v_cmp_eq_u32_e64 s2, 0, v36
	;; [unrolled: 2-line block ×3, first 2 shown]
	v_and_b32_e32 v37, 0x1000000, v23
	v_cndmask_b32_e64 v51, 0x10000, v10, s10
	v_cmp_eq_u32_e64 s10, 0, v52
	v_and_b32_e32 v34, 0x8000, v23
	v_cmp_eq_u32_e64 s4, 0, v35
	v_and_b32_e32 v35, 0x4000000, v23
	;; [unrolled: 2-line block ×4, first 2 shown]
	v_cndmask_b32_e64 v52, 0x1000000, v11, s10
	v_cmp_eq_u32_e64 s10, 0, v55
	v_cmp_eq_u32_e64 s11, 0, v30
	v_and_b32_e32 v57, 0x4000, v23
	v_lshrrev_b32_e32 v33, 4, v23
	v_cmp_eq_u32_e32 vcc_lo, 0, v34
	v_lshrrev_b32_e32 v34, 8, v23
	v_cmp_eq_u32_e64 s7, 0, v35
	v_lshrrev_b32_e32 v35, 12, v23
	v_cmp_eq_u32_e64 s8, 0, v36
	;; [unrolled: 2-line block ×3, first 2 shown]
	v_ashrrev_i32_e32 v37, 28, v23
	v_and_b32_e32 v23, 2.0, v23
	v_cndmask_b32_e64 v55, 1, 0xff, s10
	v_cmp_eq_u32_e64 s10, 0, v56
	v_cndmask_b32_e64 v30, 1, 0xff, s11
	v_cmp_eq_u32_e64 s11, 0, v57
	v_and_or_b32 v38, 0x200, v41, v38
	v_and_or_b32 v42, 0x200, v45, v42
	v_cndmask_b32_e64 v56, 0x10000, v10, s10
	v_cmp_eq_u32_e64 s10, 0, v23
	v_and_b32_e32 v23, 8, v54
	v_cndmask_b32_e64 v45, 1, 0xff, s0
	v_and_or_b32 v30, 0x200, v33, v30
	s_waitcnt vmcnt(2)
	v_dot4c_i32_i8 v25, v27, v13
	v_dot4c_i32_i8 v26, v29, v13
	v_cndmask_b32_e64 v57, 0x10000, v10, s11
	v_cndmask_b32_e32 v41, 0x1000000, v11, vcc_lo
	v_cmp_eq_u32_e32 vcc_lo, 0, v23
	v_cndmask_b32_e64 v23, 1, 0xff, s3
	v_and_or_b32 v34, 0x200, v34, v45
	v_dot4c_i32_i8 v25, v31, v14
	v_add_nc_u32_e32 v31, 0xff00, v38
	v_add_nc_u32_e32 v30, 0xff00, v30
	v_dot4c_i32_i8 v26, v32, v14
	v_lshlrev_b32_e32 v54, 8, v54
	v_and_or_b32 v46, 0x200, v49, v46
	v_cndmask_b32_e64 v49, 0x10000, v10, s1
	v_and_or_b32 v50, 0x200, v53, v50
	v_cndmask_b32_e64 v53, 0x1000000, v11, s2
	v_cndmask_b32_e64 v33, 1, 0xff, s6
	v_and_or_b32 v23, 0x200, v35, v23
	v_add_nc_u32_e32 v38, 0xff00, v42
	v_add_nc_u32_e32 v34, 0xff00, v34
	v_or3_b32 v14, v40, v39, v31
	v_or3_b32 v30, v41, v57, v30
	v_dot4c_i32_i8 v25, v21, v15
	v_dot4c_i32_i8 v26, v28, v15
	v_and_or_b32 v54, 0x200, v54, v55
	v_cndmask_b32_e64 v55, 0x10000, v10, s4
	v_and_b32_e32 v45, 8, v37
	v_cndmask_b32_e64 v35, 1, 0xff, s9
	v_lshlrev_b32_e32 v37, 8, v37
	v_and_or_b32 v33, 0x200, v36, v33
	v_cndmask_b32_e64 v36, 0x1000000, v11, s5
	v_add_nc_u32_e32 v42, 0xff00, v46
	v_add_nc_u32_e32 v23, 0xff00, v23
	v_or3_b32 v15, v44, v43, v38
	v_or3_b32 v21, v53, v49, v34
	s_waitcnt vmcnt(1)
	v_dot4c_i32_i8 v25, v14, v16
	v_dot4c_i32_i8 v26, v30, v16
	v_cmp_eq_u32_e64 s0, 0, v45
	v_cndmask_b32_e64 v45, 0x10000, v10, s7
	v_and_or_b32 v35, 0x200, v37, v35
	v_cndmask_b32_e64 v37, 0x1000000, v11, s8
	v_add_nc_u32_e32 v46, 0xff00, v50
	v_add_nc_u32_e32 v33, 0xff00, v33
	v_or3_b32 v14, v48, v47, v42
	v_or3_b32 v16, v36, v55, v23
	v_dot4c_i32_i8 v25, v15, v17
	v_dot4c_i32_i8 v26, v21, v17
	v_cndmask_b32_e64 v27, 0x10000, v10, s10
	v_cndmask_b32_e32 v13, 0x1000000, v11, vcc_lo
	v_cndmask_b32_e64 v29, 0x1000000, v11, s0
	v_add_nc_u32_e32 v50, 0xff00, v54
	v_add_nc_u32_e32 v35, 0xff00, v35
	v_or3_b32 v15, v52, v51, v46
	v_or3_b32 v17, v37, v45, v33
	v_dot4c_i32_i8 v25, v14, v18
	v_dot4c_i32_i8 v26, v16, v18
	v_or3_b32 v13, v13, v56, v50
	v_or3_b32 v14, v29, v27, v35
	v_cvt_f32_f16_e32 v12, v12
	v_dot4c_i32_i8 v25, v15, v19
	v_dot4c_i32_i8 v26, v17, v19
	v_cvt_f32_f16_e32 v15, v20
	v_cvt_f32_f16_e32 v16, v22
	v_add_co_u32 v6, vcc_lo, 0x480, v6
	s_waitcnt vmcnt(0)
	v_dot4c_i32_i8 v25, v13, v24
	v_dot4c_i32_i8 v26, v14, v24
	v_mul_f32_e32 v13, v15, v12
	v_mul_f32_e32 v12, v16, v12
	v_cmp_le_u32_e64 s0, s29, v8
	v_cvt_f32_i32_e32 v14, v25
	v_cvt_f32_i32_e32 v15, v26
	v_add_co_ci_u32_e64 v7, null, 0, v7, vcc_lo
	s_or_b32 s14, s0, s14
	v_fmac_f32_e32 v3, v13, v14
	v_fmac_f32_e32 v2, v12, v15
	s_andn2_b32 exec_lo, exec_lo, s14
	s_cbranch_execnz .LBB0_3
; %bb.4:
	s_or_b32 exec_lo, exec_lo, s14
.LBB0_5:
	s_or_b32 exec_lo, exec_lo, s30
	v_mbcnt_lo_u32_b32 v4, -1, 0
	v_xor_b32_e32 v5, 16, v4
	v_xor_b32_e32 v7, 8, v4
	v_cmp_gt_i32_e32 vcc_lo, 32, v5
	v_cndmask_b32_e32 v5, v4, v5, vcc_lo
	v_cmp_gt_i32_e32 vcc_lo, 32, v7
	v_lshlrev_b32_e32 v5, 2, v5
	v_cndmask_b32_e32 v7, v4, v7, vcc_lo
	ds_bpermute_b32 v6, v5, v3
	ds_bpermute_b32 v5, v5, v2
	v_lshlrev_b32_e32 v7, 2, v7
	s_waitcnt lgkmcnt(1)
	v_add_f32_e32 v3, v3, v6
	s_waitcnt lgkmcnt(0)
	v_add_f32_e32 v2, v2, v5
	ds_bpermute_b32 v5, v7, v3
	ds_bpermute_b32 v6, v7, v2
	v_xor_b32_e32 v7, 4, v4
	v_cmp_gt_i32_e32 vcc_lo, 32, v7
	v_cndmask_b32_e32 v7, v4, v7, vcc_lo
	v_lshlrev_b32_e32 v7, 2, v7
	s_waitcnt lgkmcnt(1)
	v_add_f32_e32 v3, v3, v5
	s_waitcnt lgkmcnt(0)
	v_add_f32_e32 v2, v2, v6
	ds_bpermute_b32 v5, v7, v3
	ds_bpermute_b32 v6, v7, v2
	v_xor_b32_e32 v7, 2, v4
	v_cmp_gt_i32_e32 vcc_lo, 32, v7
	v_cndmask_b32_e32 v7, v4, v7, vcc_lo
	v_lshlrev_b32_e32 v7, 2, v7
	s_waitcnt lgkmcnt(1)
	v_add_f32_e32 v3, v3, v5
	s_waitcnt lgkmcnt(0)
	v_add_f32_e32 v5, v2, v6
	ds_bpermute_b32 v2, v7, v3
	ds_bpermute_b32 v6, v7, v5
	v_xor_b32_e32 v7, 1, v4
	v_cmp_gt_i32_e32 vcc_lo, 32, v7
	v_cndmask_b32_e32 v4, v4, v7, vcc_lo
	v_cmp_gt_u32_e32 vcc_lo, 2, v0
	v_lshlrev_b32_e32 v7, 2, v4
	s_waitcnt lgkmcnt(1)
	v_add_f32_e32 v2, v3, v2
	s_waitcnt lgkmcnt(0)
	v_add_f32_e32 v3, v5, v6
	v_add_nc_u32_e32 v6, s27, v0
	ds_bpermute_b32 v4, v7, v2
	ds_bpermute_b32 v5, v7, v3
	v_cmp_gt_u32_e64 s0, s20, v6
	s_and_b32 s0, vcc_lo, s0
	s_and_b32 exec_lo, exec_lo, s0
	s_cbranch_execz .LBB0_7
; %bb.6:
	v_mul_lo_u32 v1, s23, v1
	v_or_b32_e32 v6, s27, v0
	s_mul_i32 s0, s26, s28
	v_mov_b32_e32 v7, 0
	s_waitcnt lgkmcnt(1)
	v_add_f32_e32 v4, v2, v4
	s_waitcnt lgkmcnt(0)
	v_add_f32_e32 v3, v3, v5
	v_cmp_eq_u32_e32 vcc_lo, 1, v0
	v_add3_u32 v6, v6, v1, s0
	v_cndmask_b32_e32 v3, v4, v3, vcc_lo
	v_lshlrev_b64 v[1:2], 2, v[6:7]
	v_add_co_u32 v0, vcc_lo, s18, v1
	v_add_co_ci_u32_e64 v1, null, s19, v2, vcc_lo
	global_store_dword v[0:1], v3, off
.LBB0_7:
	s_endpgm
	.section	.rodata,"a",@progbits
	.p2align	6, 0x0
	.amdhsa_kernel _ZL17mul_mat_vec_q_moeIL9ggml_type41ELi2EEvPKvS2_PKiPfj15HIP_vector_typeIjLj3EEjjjjjjjjj
		.amdhsa_group_segment_fixed_size 0
		.amdhsa_private_segment_fixed_size 0
		.amdhsa_kernarg_size 84
		.amdhsa_user_sgpr_count 6
		.amdhsa_user_sgpr_private_segment_buffer 1
		.amdhsa_user_sgpr_dispatch_ptr 0
		.amdhsa_user_sgpr_queue_ptr 0
		.amdhsa_user_sgpr_kernarg_segment_ptr 1
		.amdhsa_user_sgpr_dispatch_id 0
		.amdhsa_user_sgpr_flat_scratch_init 0
		.amdhsa_user_sgpr_private_segment_size 0
		.amdhsa_wavefront_size32 1
		.amdhsa_uses_dynamic_stack 0
		.amdhsa_system_sgpr_private_segment_wavefront_offset 0
		.amdhsa_system_sgpr_workgroup_id_x 1
		.amdhsa_system_sgpr_workgroup_id_y 1
		.amdhsa_system_sgpr_workgroup_id_z 0
		.amdhsa_system_sgpr_workgroup_info 0
		.amdhsa_system_vgpr_workitem_id 1
		.amdhsa_next_free_vgpr 58
		.amdhsa_next_free_sgpr 31
		.amdhsa_reserve_vcc 1
		.amdhsa_reserve_flat_scratch 0
		.amdhsa_float_round_mode_32 0
		.amdhsa_float_round_mode_16_64 0
		.amdhsa_float_denorm_mode_32 3
		.amdhsa_float_denorm_mode_16_64 3
		.amdhsa_dx10_clamp 1
		.amdhsa_ieee_mode 1
		.amdhsa_fp16_overflow 0
		.amdhsa_workgroup_processor_mode 1
		.amdhsa_memory_ordered 1
		.amdhsa_forward_progress 1
		.amdhsa_shared_vgpr_count 0
		.amdhsa_exception_fp_ieee_invalid_op 0
		.amdhsa_exception_fp_denorm_src 0
		.amdhsa_exception_fp_ieee_div_zero 0
		.amdhsa_exception_fp_ieee_overflow 0
		.amdhsa_exception_fp_ieee_underflow 0
		.amdhsa_exception_fp_ieee_inexact 0
		.amdhsa_exception_int_div_zero 0
	.end_amdhsa_kernel
	.section	.text._ZL17mul_mat_vec_q_moeIL9ggml_type41ELi2EEvPKvS2_PKiPfj15HIP_vector_typeIjLj3EEjjjjjjjjj,"axG",@progbits,_ZL17mul_mat_vec_q_moeIL9ggml_type41ELi2EEvPKvS2_PKiPfj15HIP_vector_typeIjLj3EEjjjjjjjjj,comdat
.Lfunc_end0:
	.size	_ZL17mul_mat_vec_q_moeIL9ggml_type41ELi2EEvPKvS2_PKiPfj15HIP_vector_typeIjLj3EEjjjjjjjjj, .Lfunc_end0-_ZL17mul_mat_vec_q_moeIL9ggml_type41ELi2EEvPKvS2_PKiPfj15HIP_vector_typeIjLj3EEjjjjjjjjj
                                        ; -- End function
	.set _ZL17mul_mat_vec_q_moeIL9ggml_type41ELi2EEvPKvS2_PKiPfj15HIP_vector_typeIjLj3EEjjjjjjjjj.num_vgpr, 58
	.set _ZL17mul_mat_vec_q_moeIL9ggml_type41ELi2EEvPKvS2_PKiPfj15HIP_vector_typeIjLj3EEjjjjjjjjj.num_agpr, 0
	.set _ZL17mul_mat_vec_q_moeIL9ggml_type41ELi2EEvPKvS2_PKiPfj15HIP_vector_typeIjLj3EEjjjjjjjjj.numbered_sgpr, 31
	.set _ZL17mul_mat_vec_q_moeIL9ggml_type41ELi2EEvPKvS2_PKiPfj15HIP_vector_typeIjLj3EEjjjjjjjjj.num_named_barrier, 0
	.set _ZL17mul_mat_vec_q_moeIL9ggml_type41ELi2EEvPKvS2_PKiPfj15HIP_vector_typeIjLj3EEjjjjjjjjj.private_seg_size, 0
	.set _ZL17mul_mat_vec_q_moeIL9ggml_type41ELi2EEvPKvS2_PKiPfj15HIP_vector_typeIjLj3EEjjjjjjjjj.uses_vcc, 1
	.set _ZL17mul_mat_vec_q_moeIL9ggml_type41ELi2EEvPKvS2_PKiPfj15HIP_vector_typeIjLj3EEjjjjjjjjj.uses_flat_scratch, 0
	.set _ZL17mul_mat_vec_q_moeIL9ggml_type41ELi2EEvPKvS2_PKiPfj15HIP_vector_typeIjLj3EEjjjjjjjjj.has_dyn_sized_stack, 0
	.set _ZL17mul_mat_vec_q_moeIL9ggml_type41ELi2EEvPKvS2_PKiPfj15HIP_vector_typeIjLj3EEjjjjjjjjj.has_recursion, 0
	.set _ZL17mul_mat_vec_q_moeIL9ggml_type41ELi2EEvPKvS2_PKiPfj15HIP_vector_typeIjLj3EEjjjjjjjjj.has_indirect_call, 0
	.section	.AMDGPU.csdata,"",@progbits
; Kernel info:
; codeLenInByte = 2696
; TotalNumSgprs: 33
; NumVgprs: 58
; ScratchSize: 0
; MemoryBound: 0
; FloatMode: 240
; IeeeMode: 1
; LDSByteSize: 0 bytes/workgroup (compile time only)
; SGPRBlocks: 0
; VGPRBlocks: 7
; NumSGPRsForWavesPerEU: 33
; NumVGPRsForWavesPerEU: 58
; Occupancy: 16
; WaveLimiterHint : 1
; COMPUTE_PGM_RSRC2:SCRATCH_EN: 0
; COMPUTE_PGM_RSRC2:USER_SGPR: 6
; COMPUTE_PGM_RSRC2:TRAP_HANDLER: 0
; COMPUTE_PGM_RSRC2:TGID_X_EN: 1
; COMPUTE_PGM_RSRC2:TGID_Y_EN: 1
; COMPUTE_PGM_RSRC2:TGID_Z_EN: 0
; COMPUTE_PGM_RSRC2:TIDIG_COMP_CNT: 1
	.section	.text._ZL13mul_mat_vec_qIL9ggml_type41ELi1ELb1ELb1EEvPKvS2_PKi31ggml_cuda_mm_fusion_args_devicePfj15HIP_vector_typeIjLj3EEjjjS8_jjjS8_jjjj,"axG",@progbits,_ZL13mul_mat_vec_qIL9ggml_type41ELi1ELb1ELb1EEvPKvS2_PKi31ggml_cuda_mm_fusion_args_devicePfj15HIP_vector_typeIjLj3EEjjjS8_jjjS8_jjjj,comdat
	.globl	_ZL13mul_mat_vec_qIL9ggml_type41ELi1ELb1ELb1EEvPKvS2_PKi31ggml_cuda_mm_fusion_args_devicePfj15HIP_vector_typeIjLj3EEjjjS8_jjjS8_jjjj ; -- Begin function _ZL13mul_mat_vec_qIL9ggml_type41ELi1ELb1ELb1EEvPKvS2_PKi31ggml_cuda_mm_fusion_args_devicePfj15HIP_vector_typeIjLj3EEjjjS8_jjjS8_jjjj
	.p2align	8
	.type	_ZL13mul_mat_vec_qIL9ggml_type41ELi1ELb1ELb1EEvPKvS2_PKi31ggml_cuda_mm_fusion_args_devicePfj15HIP_vector_typeIjLj3EEjjjS8_jjjS8_jjjj,@function
_ZL13mul_mat_vec_qIL9ggml_type41ELi1ELb1ELb1EEvPKvS2_PKi31ggml_cuda_mm_fusion_args_devicePfj15HIP_vector_typeIjLj3EEjjjS8_jjjS8_jjjj: ; @_ZL13mul_mat_vec_qIL9ggml_type41ELi1ELb1ELb1EEvPKvS2_PKi31ggml_cuda_mm_fusion_args_devicePfj15HIP_vector_typeIjLj3EEjjjS8_jjjS8_jjjj
; %bb.0:
	s_clause 0x3
	s_load_dwordx8 s[12:19], s[4:5], 0x0
	s_load_dwordx4 s[28:31], s[4:5], 0x20
	s_load_dwordx4 s[36:39], s[4:5], 0x40
	s_load_dwordx4 s[20:23], s[4:5], 0x68
	s_mov_b32 s10, s7
	s_waitcnt lgkmcnt(0)
	s_cmp_lg_u64 s[16:17], 0
	s_cselect_b32 s0, -1, 0
	s_cmp_eq_u64 s[16:17], 0
	s_cbranch_scc1 .LBB1_5
; %bb.1:
	s_mov_b32 s11, 0
	s_lshl_b64 s[2:3], s[10:11], 2
	s_add_u32 s2, s16, s2
	s_addc_u32 s3, s17, s3
	s_load_dword s34, s[2:3], 0x0
	s_clause 0x1
	s_load_dword s35, s[4:5], 0x50
	s_load_dword s33, s[4:5], 0x78
	s_cbranch_execnz .LBB1_3
.LBB1_2:
	s_load_dwordx2 s[2:3], s[4:5], 0x5c
	s_waitcnt lgkmcnt(0)
	s_mul_hi_u32 s1, s2, s10
	s_add_i32 s1, s10, s1
	s_lshr_b32 s34, s1, s3
.LBB1_3:
	s_andn2_b32 vcc_lo, exec_lo, s0
	s_cbranch_vccnz .LBB1_6
; %bb.4:
	s_mul_hi_u32 s0, s37, s10
	s_waitcnt lgkmcnt(0)
	s_mov_b32 s1, s34
	s_add_i32 s0, s10, s0
	s_lshr_b32 s0, s0, s38
	s_mul_i32 s0, s0, s39
	s_sub_i32 s11, s10, s0
	s_branch .LBB1_7
.LBB1_5:
                                        ; implicit-def: $sgpr34
	s_clause 0x1
	s_load_dword s35, s[4:5], 0x50
	s_load_dword s33, s[4:5], 0x78
	s_branch .LBB1_2
.LBB1_6:
	s_mov_b32 s1, s10
	s_mov_b32 s11, s10
.LBB1_7:
	s_load_dwordx4 s[24:27], s[4:5], 0x80
	v_or_b32_e32 v2, v0, v1
	s_cmp_lg_u64 s[18:19], 0
	v_mov_b32_e32 v12, 0
	v_mov_b32_e32 v13, 0
	s_cselect_b32 s0, -1, 0
	v_cmp_eq_u32_e32 vcc_lo, 0, v2
	s_mov_b32 s17, 0
	s_mul_i32 s2, s1, s22
	s_and_b32 s3, s0, vcc_lo
	s_and_saveexec_b32 s1, s3
	s_cbranch_execz .LBB1_9
; %bb.8:
	s_waitcnt lgkmcnt(0)
	s_mul_i32 s16, s26, s8
	s_mov_b32 s3, s17
	s_lshl_b64 s[38:39], s[16:17], 2
	v_lshlrev_b32_e32 v2, 2, v0
	s_add_u32 s7, s18, s38
	s_addc_u32 s9, s19, s39
	s_lshl_b64 s[16:17], s[2:3], 2
	s_add_u32 s3, s7, s16
	s_addc_u32 s9, s9, s17
	s_ashr_i32 s7, s6, 31
	s_lshl_b64 s[16:17], s[6:7], 2
	s_add_u32 s16, s3, s16
	s_addc_u32 s17, s9, s17
	global_load_dword v13, v2, s[16:17]
.LBB1_9:
	s_or_b32 exec_lo, exec_lo, s1
	s_cmp_lg_u64 s[28:29], 0
	s_cselect_b32 s9, -1, 0
	s_cmp_lg_u64 s[30:31], 0
	s_cselect_b32 s1, -1, 0
	s_and_b32 s3, s1, s9
	s_and_b32 s3, s3, vcc_lo
	s_and_saveexec_b32 s16, s3
	s_cbranch_execz .LBB1_11
; %bb.10:
	s_waitcnt lgkmcnt(0)
	s_mul_i32 s18, s26, s8
	s_mov_b32 s19, 0
	v_lshlrev_b32_e32 v2, 2, v0
	s_lshl_b64 s[38:39], s[18:19], 2
	s_mov_b32 s3, s19
	s_add_u32 s7, s30, s38
	s_addc_u32 s17, s31, s39
	s_lshl_b64 s[2:3], s[2:3], 2
	s_add_u32 s18, s7, s2
	s_addc_u32 s17, s17, s3
	s_ashr_i32 s7, s6, 31
	s_lshl_b64 s[2:3], s[6:7], 2
	s_add_u32 s2, s18, s2
	s_addc_u32 s3, s17, s3
	global_load_dword v12, v2, s[2:3]
.LBB1_11:
	s_or_b32 exec_lo, exec_lo, s16
	v_lshl_or_b32 v2, v1, 5, v0
	v_mov_b32_e32 v16, 0
	v_cndmask_b32_e64 v14, 0, 1, s9
	v_mov_b32_e32 v15, 0
	s_lshr_b32 s3, s36, 7
	v_lshrrev_b32_e32 v17, 2, v2
	s_mov_b32 s7, exec_lo
	v_cmpx_gt_u32_e64 s3, v17
	s_cbranch_execz .LBB1_17
; %bb.12:
	v_lshrrev_b32_e32 v2, 2, v2
	s_mul_i32 s2, s11, s21
	v_and_b32_e32 v4, 3, v0
	s_mul_hi_u32 s17, s2, 36
	s_mul_i32 s16, s2, 36
	s_waitcnt lgkmcnt(0)
	s_mul_i32 s2, s25, s8
	v_mad_u64_u32 v[2:3], null, 0x90, v2, s[16:17]
	s_mul_i32 s35, s35, s6
	v_mov_b32_e32 v16, 0
	v_mov_b32_e32 v18, 0xff0000
	;; [unrolled: 1-line block ×3, first 2 shown]
	v_lshlrev_b32_e32 v20, 2, v4
	v_mov_b32_e32 v15, 0
	v_mad_u64_u32 v[2:3], null, s2, 36, v[2:3]
	s_mul_hi_u32 s2, s23, s8
	s_mul_i32 s11, s34, s20
	s_add_i32 s2, s8, s2
	s_lshr_b32 s2, s2, s33
	v_mad_u64_u32 v[2:3], null, v4, 36, v[2:3]
	s_mul_i32 s2, s2, s24
	s_add_i32 s2, s2, s35
	v_add_co_u32 v2, vcc_lo, s14, v2
	v_add_co_ci_u32_e64 v3, null, s15, v3, vcc_lo
	s_add_i32 s14, s11, s2
	v_add_co_u32 v10, vcc_lo, v2, 32
	v_add_co_ci_u32_e64 v11, null, 0, v3, vcc_lo
	s_mov_b32 s11, 0
	s_branch .LBB1_14
.LBB1_13:                               ;   in Loop: Header=BB1_14 Depth=1
	s_waitcnt vmcnt(1)
	v_and_b32_e32 v24, 1, v23
	v_and_b32_e32 v25, 4, v23
	;; [unrolled: 1-line block ×3, first 2 shown]
	v_lshlrev_b32_e32 v26, 8, v23
	v_and_b32_e32 v28, 8, v23
	v_cmp_eq_u32_e32 vcc_lo, 0, v24
	v_lshlrev_b32_e32 v29, 4, v23
	v_and_b32_e32 v30, 0x80, v23
	v_lshrrev_b32_e32 v31, 4, v23
	v_and_b32_e32 v32, 0x8000, v23
	v_cndmask_b32_e64 v24, 1, 0xff, vcc_lo
	v_cmp_eq_u32_e32 vcc_lo, 0, v25
	v_and_b32_e32 v33, 0x40000, v23
	v_and_b32_e32 v35, 0x100000, v23
	v_lshrrev_b32_e32 v34, 8, v23
	v_and_or_b32 v24, 0x200, v26, v24
	v_cndmask_b32_e32 v25, 0x10000, v18, vcc_lo
	v_cmp_eq_u32_e32 vcc_lo, 0, v27
	v_and_b32_e32 v27, 64, v23
	v_and_b32_e32 v36, 0x80000, v23
	v_add_nc_u32_e32 v24, 0xff00, v24
	v_and_b32_e32 v38, 0x800000, v23
	v_cndmask_b32_e64 v26, 1, 0xff, vcc_lo
	v_cmp_eq_u32_e32 vcc_lo, 0, v28
	v_lshrrev_b32_e32 v37, 12, v23
	v_add_nc_u32_e32 v17, 8, v17
	v_add_co_u32 v10, s2, 0x480, v10
	v_cndmask_b32_e32 v28, 0x1000000, v19, vcc_lo
	v_cmp_eq_u32_e32 vcc_lo, 0, v27
	v_and_or_b32 v26, 0x200, v29, v26
	v_add_co_ci_u32_e64 v11, null, 0, v11, s2
	v_or3_b32 v24, v28, v25, v24
	v_cndmask_b32_e32 v27, 0x10000, v18, vcc_lo
	v_cmp_eq_u32_e32 vcc_lo, 0, v30
	v_and_b32_e32 v30, 0x100, v23
	v_add_nc_u32_e32 v26, 0xff00, v26
	v_and_b32_e32 v25, 0x400, v23
	v_and_b32_e32 v28, 0x1000, v23
	v_cndmask_b32_e32 v29, 0x1000000, v19, vcc_lo
	v_cmp_eq_u32_e32 vcc_lo, 0, v30
	v_and_b32_e32 v30, 0x4000, v23
	v_or3_b32 v26, v29, v27, v26
	v_cndmask_b32_e64 v27, 1, 0xff, vcc_lo
	v_cmp_eq_u32_e32 vcc_lo, 0, v25
	v_and_b32_e32 v29, 0x800, v23
	v_and_or_b32 v27, 0x200, v23, v27
	v_cndmask_b32_e32 v25, 0x10000, v18, vcc_lo
	v_cmp_eq_u32_e32 vcc_lo, 0, v28
	v_add_nc_u32_e32 v27, 0xff00, v27
	v_cndmask_b32_e64 v28, 1, 0xff, vcc_lo
	v_cmp_eq_u32_e32 vcc_lo, 0, v29
	v_and_or_b32 v28, 0x200, v31, v28
	v_cndmask_b32_e32 v29, 0x1000000, v19, vcc_lo
	v_cmp_eq_u32_e32 vcc_lo, 0, v30
	v_and_b32_e32 v31, 0x10000, v23
	v_add_nc_u32_e32 v28, 0xff00, v28
	v_or3_b32 v25, v29, v25, v27
	v_cndmask_b32_e32 v30, 0x10000, v18, vcc_lo
	v_cmp_eq_u32_e32 vcc_lo, 0, v32
	v_cndmask_b32_e32 v32, 0x1000000, v19, vcc_lo
	v_cmp_eq_u32_e32 vcc_lo, 0, v31
	v_or3_b32 v27, v32, v30, v28
	v_cndmask_b32_e64 v31, 1, 0xff, vcc_lo
	v_cmp_eq_u32_e32 vcc_lo, 0, v33
	v_and_b32_e32 v28, 0x1000000, v23
	v_and_b32_e32 v32, 0x4000000, v23
	v_and_or_b32 v31, 0x200, v34, v31
	v_cndmask_b32_e32 v33, 0x10000, v18, vcc_lo
	v_cmp_eq_u32_e32 vcc_lo, 0, v35
	v_and_b32_e32 v35, 0x400000, v23
	v_add_nc_u32_e32 v31, 0xff00, v31
	v_cndmask_b32_e64 v34, 1, 0xff, vcc_lo
	v_cmp_eq_u32_e32 vcc_lo, 0, v36
	v_and_or_b32 v34, 0x200, v37, v34
	v_cndmask_b32_e32 v36, 0x1000000, v19, vcc_lo
	v_cmp_eq_u32_e32 vcc_lo, 0, v35
	v_add_nc_u32_e32 v34, 0xff00, v34
	v_or3_b32 v29, v36, v33, v31
	v_cndmask_b32_e32 v35, 0x10000, v18, vcc_lo
	v_cmp_eq_u32_e32 vcc_lo, 0, v38
	v_mov_b32_e32 v31, 0
	v_lshrrev_b32_e32 v33, 16, v23
	v_cndmask_b32_e32 v37, 0x1000000, v19, vcc_lo
	v_cmp_eq_u32_e32 vcc_lo, 0, v28
	v_dot4c_i32_i8 v31, v24, v7
	v_and_b32_e32 v7, 0x8000000, v23
	v_or3_b32 v30, v37, v35, v34
	v_cndmask_b32_e64 v28, 1, 0xff, vcc_lo
	v_cmp_eq_u32_e32 vcc_lo, 0, v32
	v_dot4c_i32_i8 v31, v26, v8
	v_and_b32_e32 v8, 0x10000000, v23
	v_ashrrev_i32_e32 v26, 28, v23
	v_and_or_b32 v28, 0x200, v33, v28
	v_cndmask_b32_e32 v24, 0x10000, v18, vcc_lo
	v_cmp_eq_u32_e32 vcc_lo, 0, v7
	v_dot4c_i32_i8 v31, v25, v9
	v_lshlrev_b32_e32 v25, 8, v26
	v_add_nc_u32_e32 v9, 0xff00, v28
	v_cndmask_b32_e32 v7, 0x1000000, v19, vcc_lo
	v_cmp_eq_u32_e32 vcc_lo, 0, v8
	v_dot4c_i32_i8 v31, v27, v2
	v_and_b32_e32 v2, 2.0, v23
	v_or3_b32 v7, v7, v24, v9
	v_cndmask_b32_e64 v8, 1, 0xff, vcc_lo
	v_and_b32_e32 v9, 8, v26
	v_cmp_eq_u32_e32 vcc_lo, 0, v2
	v_dot4c_i32_i8 v31, v29, v3
	v_and_or_b32 v8, 0x200, v25, v8
	v_cndmask_b32_e32 v2, 0x10000, v18, vcc_lo
	v_cmp_eq_u32_e32 vcc_lo, 0, v9
	v_dot4c_i32_i8 v31, v30, v4
	v_add_nc_u32_e32 v8, 0xff00, v8
	v_cndmask_b32_e32 v3, 0x1000000, v19, vcc_lo
	v_dot4c_i32_i8 v31, v7, v5
	v_cmp_le_u32_e32 vcc_lo, s3, v17
	v_or3_b32 v2, v3, v2, v8
	v_cvt_f32_f16_e32 v3, v21
	s_or_b32 s11, vcc_lo, s11
	s_waitcnt vmcnt(0)
	v_dot4c_i32_i8 v31, v2, v22
	v_mul_f32_e32 v2, v3, v6
	v_cvt_f32_i32_e32 v3, v31
	v_fmac_f32_e32 v16, v2, v3
	s_andn2_b32 exec_lo, exec_lo, s11
	s_cbranch_execz .LBB1_16
.LBB1_14:                               ; =>This Inner Loop Header: Depth=1
	v_add_nc_u32_e32 v24, s14, v17
	v_mad_i64_i32 v[21:22], null, v24, 18, s[12:13]
	v_add_co_u32 v25, vcc_lo, v21, v20
	v_add_co_ci_u32_e64 v26, null, 0, v22, vcc_lo
	s_clause 0x1
	global_load_dwordx4 v[6:9], v[10:11], off offset:-32
	global_load_dwordx4 v[2:5], v[10:11], off offset:-16
	s_clause 0x1
	global_load_ushort v21, v[21:22], off
	global_load_dword v23, v[25:26], off offset:2
	global_load_dword v22, v[10:11], off
	s_andn2_b32 vcc_lo, exec_lo, s9
	s_waitcnt vmcnt(4)
	v_cvt_f32_f16_e32 v6, v6
	s_cbranch_vccnz .LBB1_13
; %bb.15:                               ;   in Loop: Header=BB1_14 Depth=1
	v_mad_i64_i32 v[24:25], null, v24, 18, s[28:29]
	v_add_co_u32 v26, vcc_lo, v24, v20
	v_add_co_ci_u32_e64 v27, null, 0, v25, vcc_lo
	s_clause 0x1
	global_load_dword v26, v[26:27], off offset:2
	global_load_ushort v24, v[24:25], off
	v_mov_b32_e32 v25, 0
	s_waitcnt vmcnt(1)
	v_and_b32_e32 v27, 1, v26
	v_and_b32_e32 v28, 4, v26
	;; [unrolled: 1-line block ×5, first 2 shown]
	v_cmp_eq_u32_e32 vcc_lo, 0, v27
	v_and_b32_e32 v33, 0x80, v26
	v_and_b32_e32 v35, 0x100, v26
	;; [unrolled: 1-line block ×4, first 2 shown]
	v_cndmask_b32_e64 v27, 1, 0xff, vcc_lo
	v_cmp_eq_u32_e32 vcc_lo, 0, v28
	v_and_b32_e32 v38, 0x1000, v26
	v_and_b32_e32 v39, 0x4000, v26
	;; [unrolled: 1-line block ×4, first 2 shown]
	v_cndmask_b32_e32 v28, 0x10000, v18, vcc_lo
	v_cmp_eq_u32_e32 vcc_lo, 0, v29
	v_and_b32_e32 v43, 0x40000, v26
	v_and_b32_e32 v44, 0x80000, v26
	;; [unrolled: 1-line block ×3, first 2 shown]
	v_lshlrev_b32_e32 v30, 8, v26
	v_cndmask_b32_e32 v29, 0x1000000, v19, vcc_lo
	v_cmp_eq_u32_e32 vcc_lo, 0, v31
	v_and_b32_e32 v47, 0x400000, v26
	v_lshlrev_b32_e32 v34, 4, v26
	v_and_b32_e32 v48, 0x800000, v26
	v_and_or_b32 v27, 0x200, v30, v27
	v_cndmask_b32_e64 v31, 1, 0xff, vcc_lo
	v_cmp_eq_u32_e32 vcc_lo, 0, v32
	v_and_b32_e32 v50, 0x1000000, v26
	v_lshrrev_b32_e32 v41, 4, v26
	v_add_nc_u32_e32 v27, 0xff00, v27
	v_and_or_b32 v31, 0x200, v34, v31
	v_cndmask_b32_e32 v32, 0x10000, v18, vcc_lo
	v_cmp_eq_u32_e32 vcc_lo, 0, v33
	v_lshrrev_b32_e32 v45, 8, v26
	v_lshrrev_b32_e32 v49, 12, v26
	v_and_b32_e32 v51, 0x4000000, v26
	v_and_b32_e32 v52, 0x8000000, v26
	v_cndmask_b32_e32 v33, 0x1000000, v19, vcc_lo
	v_cmp_eq_u32_e32 vcc_lo, 0, v35
	v_lshrrev_b32_e32 v53, 16, v26
	v_ashrrev_i32_e32 v54, 28, v26
	v_and_b32_e32 v55, 0x10000000, v26
	v_and_b32_e32 v56, 2.0, v26
	v_cndmask_b32_e64 v35, 1, 0xff, vcc_lo
	v_cmp_eq_u32_e32 vcc_lo, 0, v36
	v_add_nc_u32_e32 v31, 0xff00, v31
	v_or3_b32 v27, v29, v28, v27
	s_waitcnt vmcnt(0)
	v_cvt_f32_f16_e32 v24, v24
	v_and_or_b32 v26, 0x200, v26, v35
	v_cndmask_b32_e32 v36, 0x10000, v18, vcc_lo
	v_cmp_eq_u32_e32 vcc_lo, 0, v37
	v_or3_b32 v31, v33, v32, v31
	v_dot4c_i32_i8 v25, v27, v7
	v_add_nc_u32_e32 v26, 0xff00, v26
	v_mul_f32_e32 v24, v6, v24
	v_cndmask_b32_e32 v37, 0x1000000, v19, vcc_lo
	v_cmp_eq_u32_e32 vcc_lo, 0, v38
	v_dot4c_i32_i8 v25, v31, v8
	v_or3_b32 v26, v37, v36, v26
	v_cndmask_b32_e64 v38, 1, 0xff, vcc_lo
	v_cmp_eq_u32_e32 vcc_lo, 0, v39
	v_dot4c_i32_i8 v25, v26, v9
	v_and_or_b32 v29, 0x200, v41, v38
	v_cndmask_b32_e32 v39, 0x10000, v18, vcc_lo
	v_cmp_eq_u32_e32 vcc_lo, 0, v40
	v_lshlrev_b32_e32 v26, 8, v54
	v_add_nc_u32_e32 v29, 0xff00, v29
	v_cndmask_b32_e32 v40, 0x1000000, v19, vcc_lo
	v_cmp_eq_u32_e32 vcc_lo, 0, v42
	v_or3_b32 v29, v40, v39, v29
	v_cndmask_b32_e64 v42, 1, 0xff, vcc_lo
	v_cmp_eq_u32_e32 vcc_lo, 0, v43
	v_dot4c_i32_i8 v25, v29, v2
	v_and_or_b32 v32, 0x200, v45, v42
	v_cndmask_b32_e32 v43, 0x10000, v18, vcc_lo
	v_cmp_eq_u32_e32 vcc_lo, 0, v44
	v_and_b32_e32 v29, 8, v54
	v_add_nc_u32_e32 v32, 0xff00, v32
	v_cndmask_b32_e32 v44, 0x1000000, v19, vcc_lo
	v_cmp_eq_u32_e32 vcc_lo, 0, v46
	v_or3_b32 v32, v44, v43, v32
	v_cndmask_b32_e64 v46, 1, 0xff, vcc_lo
	v_cmp_eq_u32_e32 vcc_lo, 0, v47
	v_dot4c_i32_i8 v25, v32, v3
	v_and_or_b32 v31, 0x200, v49, v46
	v_cndmask_b32_e32 v47, 0x10000, v18, vcc_lo
	v_cmp_eq_u32_e32 vcc_lo, 0, v48
	v_add_nc_u32_e32 v31, 0xff00, v31
	v_cndmask_b32_e32 v30, 0x1000000, v19, vcc_lo
	v_cmp_eq_u32_e32 vcc_lo, 0, v50
	v_cndmask_b32_e64 v48, 1, 0xff, vcc_lo
	v_cmp_eq_u32_e32 vcc_lo, 0, v51
	v_and_or_b32 v33, 0x200, v53, v48
	v_cndmask_b32_e32 v34, 0x10000, v18, vcc_lo
	v_cmp_eq_u32_e32 vcc_lo, 0, v52
	v_add_nc_u32_e32 v33, 0xff00, v33
	v_cndmask_b32_e32 v28, 0x1000000, v19, vcc_lo
	v_cmp_eq_u32_e32 vcc_lo, 0, v55
	v_or3_b32 v28, v28, v34, v33
	v_cndmask_b32_e64 v27, 1, 0xff, vcc_lo
	v_cmp_eq_u32_e32 vcc_lo, 0, v56
	v_and_or_b32 v26, 0x200, v26, v27
	v_or3_b32 v27, v30, v47, v31
	v_cndmask_b32_e32 v30, 0x10000, v18, vcc_lo
	v_cmp_eq_u32_e32 vcc_lo, 0, v29
	v_add_nc_u32_e32 v26, 0xff00, v26
	v_dot4c_i32_i8 v25, v27, v4
	v_cndmask_b32_e32 v29, 0x1000000, v19, vcc_lo
	v_dot4c_i32_i8 v25, v28, v5
	v_or3_b32 v26, v29, v30, v26
	v_dot4c_i32_i8 v25, v26, v22
	v_cvt_f32_i32_e32 v25, v25
	v_fmac_f32_e32 v15, v24, v25
	s_branch .LBB1_13
.LBB1_16:
	s_or_b32 exec_lo, exec_lo, s11
.LBB1_17:
	s_or_b32 exec_lo, exec_lo, s7
	s_load_dword s2, s[4:5], 0x30
	s_waitcnt vmcnt(0) lgkmcnt(0)
	; wave barrier
	buffer_gl0_inv
	s_mov_b32 s3, exec_lo
	v_cmpx_eq_u32_e32 0, v1
	s_cbranch_execz .LBB1_44
; %bb.18:
	v_mbcnt_lo_u32_b32 v2, -1, 0
	v_xor_b32_e32 v1, 16, v2
	v_xor_b32_e32 v4, 8, v2
	;; [unrolled: 1-line block ×3, first 2 shown]
	v_cmp_gt_i32_e32 vcc_lo, 32, v1
	v_cndmask_b32_e32 v1, v2, v1, vcc_lo
	v_cmp_gt_i32_e32 vcc_lo, 32, v4
	v_lshlrev_b32_e32 v1, 2, v1
	v_cndmask_b32_e32 v4, v2, v4, vcc_lo
	v_cmp_gt_i32_e32 vcc_lo, 32, v5
	ds_bpermute_b32 v3, v1, v16
	v_lshlrev_b32_e32 v4, 2, v4
	v_cndmask_b32_e32 v5, v2, v5, vcc_lo
	v_lshlrev_b32_e32 v5, 2, v5
	s_waitcnt lgkmcnt(0)
	v_add_f32_e32 v3, v16, v3
	ds_bpermute_b32 v6, v4, v3
	s_waitcnt lgkmcnt(0)
	v_add_f32_e32 v3, v3, v6
	v_xor_b32_e32 v6, 2, v2
	ds_bpermute_b32 v7, v5, v3
	v_cmp_gt_i32_e32 vcc_lo, 32, v6
	v_cndmask_b32_e32 v6, v2, v6, vcc_lo
	v_lshlrev_b32_e32 v6, 2, v6
	s_waitcnt lgkmcnt(0)
	v_add_f32_e32 v3, v3, v7
	v_xor_b32_e32 v7, 1, v2
	ds_bpermute_b32 v8, v6, v3
	v_cmp_gt_i32_e32 vcc_lo, 32, v7
	v_cndmask_b32_e32 v2, v2, v7, vcc_lo
	v_cmp_ne_u32_e32 vcc_lo, 1, v14
	v_lshlrev_b32_e32 v7, 2, v2
	s_waitcnt lgkmcnt(0)
	v_add_f32_e32 v2, v3, v8
	ds_bpermute_b32 v3, v7, v2
	s_cbranch_vccnz .LBB1_20
; %bb.19:
	ds_bpermute_b32 v1, v1, v15
	s_waitcnt lgkmcnt(0)
	v_add_f32_e32 v1, v15, v1
	ds_bpermute_b32 v4, v4, v1
	s_waitcnt lgkmcnt(0)
	v_add_f32_e32 v1, v1, v4
	;; [unrolled: 3-line block ×5, first 2 shown]
.LBB1_20:
	v_cmp_eq_u32_e32 vcc_lo, 0, v0
	s_and_b32 exec_lo, exec_lo, vcc_lo
	s_cbranch_execz .LBB1_44
; %bb.21:
	s_waitcnt lgkmcnt(0)
	v_add_f32_e32 v1, v2, v3
	v_cmp_ne_u32_e32 vcc_lo, 1, v14
	v_add_f32_e32 v2, v13, v1
	v_cndmask_b32_e64 v1, v1, v2, s0
	s_cbranch_vccnz .LBB1_43
; %bb.22:
	v_add_f32_e32 v2, v12, v15
	s_cmp_lt_i32 s2, 2
	s_mov_b32 s0, 0
	v_cndmask_b32_e64 v2, v15, v2, s1
	s_cbranch_scc1 .LBB1_26
; %bb.23:
	s_cmp_gt_i32 s2, 2
	s_cbranch_scc0 .LBB1_27
; %bb.24:
	s_cmp_eq_u32 s2, 3
	s_cbranch_scc0 .LBB1_28
; %bb.25:
	v_max_f32_e32 v3, v2, v2
	s_mov_b32 s1, 0
	v_min_f32_e32 v3, 0x40e00000, v3
	v_mul_f32_e32 v4, 0xbfd9db23, v3
	v_mul_f32_e32 v5, 0x3fb8aa3b, v4
	v_cmp_ngt_f32_e32 vcc_lo, 0xc2ce8ed0, v4
	v_fma_f32 v6, 0x3fb8aa3b, v4, -v5
	v_rndne_f32_e32 v7, v5
	v_fmamk_f32 v6, v4, 0x32a5705f, v6
	v_sub_f32_e32 v5, v5, v7
	v_add_f32_e32 v5, v5, v6
	v_cvt_i32_f32_e32 v6, v7
	v_exp_f32_e32 v5, v5
	v_ldexp_f32 v5, v5, v6
	v_cndmask_b32_e32 v5, 0, v5, vcc_lo
	v_cmp_nlt_f32_e32 vcc_lo, 0x42b17218, v4
	v_cndmask_b32_e32 v4, 0x7f800000, v5, vcc_lo
	v_add_f32_e32 v4, 1.0, v4
	v_div_scale_f32 v5, null, v4, v4, v3
	v_div_scale_f32 v8, vcc_lo, v3, v4, v3
	v_rcp_f32_e32 v6, v5
	v_fma_f32 v7, -v5, v6, 1.0
	v_fmac_f32_e32 v6, v7, v6
	v_mul_f32_e32 v7, v8, v6
	v_fma_f32 v9, -v5, v7, v8
	v_fmac_f32_e32 v7, v9, v6
	v_max_f32_e32 v9, v1, v1
	v_fma_f32 v5, -v5, v7, v8
	v_min_f32_e32 v8, 0x40e00000, v9
	v_div_fmas_f32 v5, v5, v6, v7
	v_max_f32_e32 v6, 0xc0e00000, v8
	v_div_fixup_f32 v3, v5, v4, v3
	v_add_f32_e32 v4, 1.0, v6
	v_mul_f32_e32 v3, v4, v3
	s_branch .LBB1_29
.LBB1_26:
	s_mov_b32 s1, 0
                                        ; implicit-def: $vgpr3
	s_cbranch_execnz .LBB1_33
	s_branch .LBB1_34
.LBB1_27:
	s_mov_b32 s3, -1
	s_mov_b32 s1, 0
                                        ; implicit-def: $vgpr3
	s_branch .LBB1_30
.LBB1_28:
	s_mov_b32 s1, -1
                                        ; implicit-def: $vgpr3
.LBB1_29:
	s_mov_b32 s3, 0
.LBB1_30:
	s_and_b32 vcc_lo, exec_lo, s3
	s_cbranch_vccz .LBB1_32
; %bb.31:
	v_mul_f32_e32 v3, 0xbfb8aa3b, v2
	v_cmp_nlt_f32_e32 vcc_lo, 0x42ce8ed0, v2
	v_rndne_f32_e32 v4, v3
	v_fma_f32 v5, 0xbfb8aa3b, v2, -v3
	v_sub_f32_e32 v3, v3, v4
	v_fmamk_f32 v5, v2, 0xb2a5705f, v5
	v_cvt_i32_f32_e32 v4, v4
	v_add_f32_e32 v3, v3, v5
	v_exp_f32_e32 v3, v3
	v_ldexp_f32 v3, v3, v4
	v_cndmask_b32_e32 v3, 0, v3, vcc_lo
	v_cmp_ngt_f32_e32 vcc_lo, 0xc2b17218, v2
	v_cndmask_b32_e32 v3, 0x7f800000, v3, vcc_lo
	v_add_f32_e32 v3, 1.0, v3
	v_div_scale_f32 v4, null, v3, v3, v2
	v_rcp_f32_e32 v5, v4
	v_fma_f32 v6, -v4, v5, 1.0
	v_fmac_f32_e32 v5, v6, v5
	v_div_scale_f32 v6, vcc_lo, v2, v3, v2
	v_mul_f32_e32 v7, v6, v5
	v_fma_f32 v8, -v4, v7, v6
	v_fmac_f32_e32 v7, v8, v5
	v_fma_f32 v4, -v4, v7, v6
	v_div_fmas_f32 v4, v4, v5, v7
	v_div_fixup_f32 v3, v4, v3, v2
	v_mul_f32_e32 v3, v1, v3
.LBB1_32:
	s_branch .LBB1_34
.LBB1_33:
	s_cmp_lg_u32 s2, 1
	s_mov_b32 s0, -1
	s_cselect_b32 s1, -1, 0
.LBB1_34:
	s_andn2_b32 vcc_lo, exec_lo, s1
	s_cbranch_vccz .LBB1_36
; %bb.35:
	s_andn2_b32 vcc_lo, exec_lo, s0
	s_cbranch_vccz .LBB1_37
	s_branch .LBB1_42
.LBB1_36:
	v_mul_f32_e32 v3, v2, v1
	s_cbranch_execnz .LBB1_42
.LBB1_37:
	v_mul_f32_e32 v3, 0x3d372713, v2
	v_mul_f32_e32 v4, 0x3f4c422a, v2
	v_fma_f32 v3, v2, v3, 1.0
	v_mul_f32_e32 v3, v4, v3
                                        ; implicit-def: $vgpr4
	v_cmp_ngt_f32_e64 s0, 0x3f200000, |v3|
	s_and_saveexec_b32 s1, s0
	s_xor_b32 s0, exec_lo, s1
	s_cbranch_execz .LBB1_39
; %bb.38:
	v_add_f32_e64 v4, |v3|, |v3|
	v_mul_f32_e32 v5, 0x3fb8aa3b, v4
	v_cmp_ngt_f32_e32 vcc_lo, 0xc2ce8ed0, v4
	v_rndne_f32_e32 v6, v5
	v_fma_f32 v7, 0x3fb8aa3b, v4, -v5
	v_sub_f32_e32 v5, v5, v6
	v_fmamk_f32 v7, v4, 0x32a5705f, v7
	v_cvt_i32_f32_e32 v6, v6
	v_add_f32_e32 v5, v5, v7
	v_exp_f32_e32 v5, v5
	v_ldexp_f32 v5, v5, v6
	v_cndmask_b32_e32 v5, 0, v5, vcc_lo
	v_cmp_nlt_f32_e32 vcc_lo, 0x42b17218, v4
	v_cndmask_b32_e32 v4, 0x7f800000, v5, vcc_lo
	v_add_f32_e32 v4, 1.0, v4
	v_rcp_f32_e32 v4, v4
	v_fma_f32 v4, v4, -2.0, 1.0
.LBB1_39:
	s_andn2_saveexec_b32 s0, s0
	s_cbranch_execz .LBB1_41
; %bb.40:
	v_mul_f32_e32 v4, v3, v3
	s_mov_b32 s1, 0xbbbac73d
	v_fmaak_f32 v5, s1, v4, 0x3ca908c9
	v_fmaak_f32 v5, v4, v5, 0xbd5c1c4e
	;; [unrolled: 1-line block ×4, first 2 shown]
	v_mul_f32_e64 v5, |v3|, v5
	v_fma_f32 v4, v4, v5, |v3|
.LBB1_41:
	s_or_b32 exec_lo, exec_lo, s0
	v_bfi_b32 v3, 0x7fffffff, v4, v3
	v_mul_f32_e32 v2, 0.5, v2
	v_add_f32_e32 v3, 1.0, v3
	v_mul_f32_e32 v2, v2, v3
	v_mul_f32_e32 v3, v1, v2
.LBB1_42:
	v_mov_b32_e32 v1, v3
.LBB1_43:
	s_load_dwordx2 s[0:1], s[4:5], 0x38
	s_mul_i32 s2, s22, s10
	s_mul_i32 s3, s26, s8
	s_add_i32 s2, s2, s6
	v_lshlrev_b32_e32 v0, 2, v0
	s_add_i32 s2, s2, s3
	s_mov_b32 s3, 0
	s_lshl_b64 s[2:3], s[2:3], 2
	s_waitcnt lgkmcnt(0)
	s_add_u32 s0, s0, s2
	s_addc_u32 s1, s1, s3
	global_store_dword v0, v1, s[0:1]
.LBB1_44:
	s_endpgm
	.section	.rodata,"a",@progbits
	.p2align	6, 0x0
	.amdhsa_kernel _ZL13mul_mat_vec_qIL9ggml_type41ELi1ELb1ELb1EEvPKvS2_PKi31ggml_cuda_mm_fusion_args_devicePfj15HIP_vector_typeIjLj3EEjjjS8_jjjS8_jjjj
		.amdhsa_group_segment_fixed_size 0
		.amdhsa_private_segment_fixed_size 0
		.amdhsa_kernarg_size 144
		.amdhsa_user_sgpr_count 6
		.amdhsa_user_sgpr_private_segment_buffer 1
		.amdhsa_user_sgpr_dispatch_ptr 0
		.amdhsa_user_sgpr_queue_ptr 0
		.amdhsa_user_sgpr_kernarg_segment_ptr 1
		.amdhsa_user_sgpr_dispatch_id 0
		.amdhsa_user_sgpr_flat_scratch_init 0
		.amdhsa_user_sgpr_private_segment_size 0
		.amdhsa_wavefront_size32 1
		.amdhsa_uses_dynamic_stack 0
		.amdhsa_system_sgpr_private_segment_wavefront_offset 0
		.amdhsa_system_sgpr_workgroup_id_x 1
		.amdhsa_system_sgpr_workgroup_id_y 1
		.amdhsa_system_sgpr_workgroup_id_z 1
		.amdhsa_system_sgpr_workgroup_info 0
		.amdhsa_system_vgpr_workitem_id 1
		.amdhsa_next_free_vgpr 57
		.amdhsa_next_free_sgpr 40
		.amdhsa_reserve_vcc 1
		.amdhsa_reserve_flat_scratch 0
		.amdhsa_float_round_mode_32 0
		.amdhsa_float_round_mode_16_64 0
		.amdhsa_float_denorm_mode_32 3
		.amdhsa_float_denorm_mode_16_64 3
		.amdhsa_dx10_clamp 1
		.amdhsa_ieee_mode 1
		.amdhsa_fp16_overflow 0
		.amdhsa_workgroup_processor_mode 1
		.amdhsa_memory_ordered 1
		.amdhsa_forward_progress 1
		.amdhsa_shared_vgpr_count 0
		.amdhsa_exception_fp_ieee_invalid_op 0
		.amdhsa_exception_fp_denorm_src 0
		.amdhsa_exception_fp_ieee_div_zero 0
		.amdhsa_exception_fp_ieee_overflow 0
		.amdhsa_exception_fp_ieee_underflow 0
		.amdhsa_exception_fp_ieee_inexact 0
		.amdhsa_exception_int_div_zero 0
	.end_amdhsa_kernel
	.section	.text._ZL13mul_mat_vec_qIL9ggml_type41ELi1ELb1ELb1EEvPKvS2_PKi31ggml_cuda_mm_fusion_args_devicePfj15HIP_vector_typeIjLj3EEjjjS8_jjjS8_jjjj,"axG",@progbits,_ZL13mul_mat_vec_qIL9ggml_type41ELi1ELb1ELb1EEvPKvS2_PKi31ggml_cuda_mm_fusion_args_devicePfj15HIP_vector_typeIjLj3EEjjjS8_jjjS8_jjjj,comdat
.Lfunc_end1:
	.size	_ZL13mul_mat_vec_qIL9ggml_type41ELi1ELb1ELb1EEvPKvS2_PKi31ggml_cuda_mm_fusion_args_devicePfj15HIP_vector_typeIjLj3EEjjjS8_jjjS8_jjjj, .Lfunc_end1-_ZL13mul_mat_vec_qIL9ggml_type41ELi1ELb1ELb1EEvPKvS2_PKi31ggml_cuda_mm_fusion_args_devicePfj15HIP_vector_typeIjLj3EEjjjS8_jjjS8_jjjj
                                        ; -- End function
	.set _ZL13mul_mat_vec_qIL9ggml_type41ELi1ELb1ELb1EEvPKvS2_PKi31ggml_cuda_mm_fusion_args_devicePfj15HIP_vector_typeIjLj3EEjjjS8_jjjS8_jjjj.num_vgpr, 57
	.set _ZL13mul_mat_vec_qIL9ggml_type41ELi1ELb1ELb1EEvPKvS2_PKi31ggml_cuda_mm_fusion_args_devicePfj15HIP_vector_typeIjLj3EEjjjS8_jjjS8_jjjj.num_agpr, 0
	.set _ZL13mul_mat_vec_qIL9ggml_type41ELi1ELb1ELb1EEvPKvS2_PKi31ggml_cuda_mm_fusion_args_devicePfj15HIP_vector_typeIjLj3EEjjjS8_jjjS8_jjjj.numbered_sgpr, 40
	.set _ZL13mul_mat_vec_qIL9ggml_type41ELi1ELb1ELb1EEvPKvS2_PKi31ggml_cuda_mm_fusion_args_devicePfj15HIP_vector_typeIjLj3EEjjjS8_jjjS8_jjjj.num_named_barrier, 0
	.set _ZL13mul_mat_vec_qIL9ggml_type41ELi1ELb1ELb1EEvPKvS2_PKi31ggml_cuda_mm_fusion_args_devicePfj15HIP_vector_typeIjLj3EEjjjS8_jjjS8_jjjj.private_seg_size, 0
	.set _ZL13mul_mat_vec_qIL9ggml_type41ELi1ELb1ELb1EEvPKvS2_PKi31ggml_cuda_mm_fusion_args_devicePfj15HIP_vector_typeIjLj3EEjjjS8_jjjS8_jjjj.uses_vcc, 1
	.set _ZL13mul_mat_vec_qIL9ggml_type41ELi1ELb1ELb1EEvPKvS2_PKi31ggml_cuda_mm_fusion_args_devicePfj15HIP_vector_typeIjLj3EEjjjS8_jjjS8_jjjj.uses_flat_scratch, 0
	.set _ZL13mul_mat_vec_qIL9ggml_type41ELi1ELb1ELb1EEvPKvS2_PKi31ggml_cuda_mm_fusion_args_devicePfj15HIP_vector_typeIjLj3EEjjjS8_jjjS8_jjjj.has_dyn_sized_stack, 0
	.set _ZL13mul_mat_vec_qIL9ggml_type41ELi1ELb1ELb1EEvPKvS2_PKi31ggml_cuda_mm_fusion_args_devicePfj15HIP_vector_typeIjLj3EEjjjS8_jjjS8_jjjj.has_recursion, 0
	.set _ZL13mul_mat_vec_qIL9ggml_type41ELi1ELb1ELb1EEvPKvS2_PKi31ggml_cuda_mm_fusion_args_devicePfj15HIP_vector_typeIjLj3EEjjjS8_jjjS8_jjjj.has_indirect_call, 0
	.section	.AMDGPU.csdata,"",@progbits
; Kernel info:
; codeLenInByte = 3568
; TotalNumSgprs: 42
; NumVgprs: 57
; ScratchSize: 0
; MemoryBound: 0
; FloatMode: 240
; IeeeMode: 1
; LDSByteSize: 0 bytes/workgroup (compile time only)
; SGPRBlocks: 0
; VGPRBlocks: 7
; NumSGPRsForWavesPerEU: 42
; NumVGPRsForWavesPerEU: 57
; Occupancy: 16
; WaveLimiterHint : 0
; COMPUTE_PGM_RSRC2:SCRATCH_EN: 0
; COMPUTE_PGM_RSRC2:USER_SGPR: 6
; COMPUTE_PGM_RSRC2:TRAP_HANDLER: 0
; COMPUTE_PGM_RSRC2:TGID_X_EN: 1
; COMPUTE_PGM_RSRC2:TGID_Y_EN: 1
; COMPUTE_PGM_RSRC2:TGID_Z_EN: 1
; COMPUTE_PGM_RSRC2:TIDIG_COMP_CNT: 1
	.section	.text._ZL13mul_mat_vec_qIL9ggml_type41ELi1ELb0ELb1EEvPKvS2_PKi31ggml_cuda_mm_fusion_args_devicePfj15HIP_vector_typeIjLj3EEjjjS8_jjjS8_jjjj,"axG",@progbits,_ZL13mul_mat_vec_qIL9ggml_type41ELi1ELb0ELb1EEvPKvS2_PKi31ggml_cuda_mm_fusion_args_devicePfj15HIP_vector_typeIjLj3EEjjjS8_jjjS8_jjjj,comdat
	.globl	_ZL13mul_mat_vec_qIL9ggml_type41ELi1ELb0ELb1EEvPKvS2_PKi31ggml_cuda_mm_fusion_args_devicePfj15HIP_vector_typeIjLj3EEjjjS8_jjjS8_jjjj ; -- Begin function _ZL13mul_mat_vec_qIL9ggml_type41ELi1ELb0ELb1EEvPKvS2_PKi31ggml_cuda_mm_fusion_args_devicePfj15HIP_vector_typeIjLj3EEjjjS8_jjjS8_jjjj
	.p2align	8
	.type	_ZL13mul_mat_vec_qIL9ggml_type41ELi1ELb0ELb1EEvPKvS2_PKi31ggml_cuda_mm_fusion_args_devicePfj15HIP_vector_typeIjLj3EEjjjS8_jjjS8_jjjj,@function
_ZL13mul_mat_vec_qIL9ggml_type41ELi1ELb0ELb1EEvPKvS2_PKi31ggml_cuda_mm_fusion_args_devicePfj15HIP_vector_typeIjLj3EEjjjS8_jjjS8_jjjj: ; @_ZL13mul_mat_vec_qIL9ggml_type41ELi1ELb0ELb1EEvPKvS2_PKi31ggml_cuda_mm_fusion_args_devicePfj15HIP_vector_typeIjLj3EEjjjS8_jjjS8_jjjj
; %bb.0:
	s_clause 0x1
	s_load_dwordx2 s[0:1], s[4:5], 0x10
	s_load_dwordx4 s[16:19], s[4:5], 0x40
	s_mov_b32 s10, s7
	s_waitcnt lgkmcnt(0)
	s_cmp_lg_u64 s[0:1], 0
	s_cselect_b32 s7, -1, 0
	s_cmp_eq_u64 s[0:1], 0
	s_cbranch_scc1 .LBB2_5
; %bb.1:
	s_mov_b32 s11, 0
	s_lshl_b64 s[2:3], s[10:11], 2
	s_add_u32 s0, s0, s2
	s_addc_u32 s1, s1, s3
	s_load_dword s20, s[0:1], 0x0
	s_clause 0x1
	s_load_dwordx4 s[0:3], s[4:5], 0x68
	s_load_dword s21, s[4:5], 0x50
	s_cbranch_execnz .LBB2_3
.LBB2_2:
	s_load_dwordx2 s[12:13], s[4:5], 0x5c
	s_waitcnt lgkmcnt(0)
	s_mul_hi_u32 s9, s12, s10
	s_add_i32 s9, s10, s9
	s_lshr_b32 s20, s9, s13
.LBB2_3:
	s_load_dword s11, s[4:5], 0x78
	s_andn2_b32 vcc_lo, exec_lo, s7
	s_cbranch_vccnz .LBB2_6
; %bb.4:
	s_mul_hi_u32 s7, s17, s10
	s_add_i32 s7, s10, s7
	s_lshr_b32 s7, s7, s18
	s_mul_i32 s7, s7, s19
	s_sub_i32 s17, s10, s7
	s_branch .LBB2_7
.LBB2_5:
                                        ; implicit-def: $sgpr20
	s_clause 0x1
	s_load_dwordx4 s[0:3], s[4:5], 0x68
	s_load_dword s21, s[4:5], 0x50
	s_branch .LBB2_2
.LBB2_6:
	s_mov_b32 s17, s10
.LBB2_7:
	s_load_dwordx4 s[12:15], s[4:5], 0x80
	v_lshl_or_b32 v2, v1, 5, v0
	v_mov_b32_e32 v4, 0
	s_lshr_b32 s9, s16, 7
	s_mov_b32 s7, exec_lo
	v_lshrrev_b32_e32 v5, 2, v2
	v_cmpx_gt_u32_e64 s9, v5
	s_cbranch_execz .LBB2_11
; %bb.8:
	v_lshrrev_b32_e32 v2, 2, v2
	s_waitcnt lgkmcnt(0)
	s_mul_i32 s1, s17, s1
	v_and_b32_e32 v7, 3, v0
	s_mul_hi_u32 s17, s1, 36
	s_mul_i32 s16, s1, 36
	s_mul_i32 s1, s13, s8
	v_mad_u64_u32 v[2:3], null, 0x90, v2, s[16:17]
	s_load_dwordx4 s[16:19], s[4:5], 0x0
	s_mul_i32 s21, s21, s6
	v_mov_b32_e32 v4, 0
	v_mov_b32_e32 v6, 0xff0000
	v_mov_b32_e32 v8, 0xff000000
	s_mul_i32 s0, s20, s0
	v_mad_u64_u32 v[2:3], null, s1, 36, v[2:3]
	s_mul_hi_u32 s1, s3, s8
	s_add_i32 s1, s8, s1
	s_lshr_b32 s1, s1, s11
	v_mad_u64_u32 v[2:3], null, v7, 36, v[2:3]
	s_mul_i32 s1, s1, s12
	v_lshlrev_b32_e32 v7, 2, v7
	s_add_i32 s1, s1, s21
	s_add_i32 s3, s0, s1
	s_mov_b32 s1, 0
	s_waitcnt lgkmcnt(0)
	v_add_co_u32 v2, vcc_lo, s18, v2
	v_add_co_ci_u32_e64 v3, null, s19, v3, vcc_lo
	v_add_co_u32 v2, vcc_lo, v2, 32
	v_add_co_ci_u32_e64 v3, null, 0, v3, vcc_lo
.LBB2_9:                                ; =>This Inner Loop Header: Depth=1
	v_add_nc_u32_e32 v9, s3, v5
	v_mov_b32_e32 v20, 0
	v_add_nc_u32_e32 v5, 8, v5
	v_mad_i64_i32 v[9:10], null, v9, 18, s[16:17]
	v_cmp_le_u32_e64 s0, s9, v5
	s_or_b32 s1, s0, s1
	v_add_co_u32 v11, vcc_lo, v9, v7
	v_add_co_ci_u32_e64 v12, null, 0, v10, vcc_lo
	s_clause 0x1
	global_load_ushort v17, v[9:10], off
	global_load_dword v18, v[11:12], off offset:2
	s_clause 0x2
	global_load_dwordx4 v[9:12], v[2:3], off offset:-32
	global_load_dwordx4 v[13:16], v[2:3], off offset:-16
	global_load_dword v19, v[2:3], off
	s_waitcnt vmcnt(3)
	v_and_b32_e32 v21, 1, v18
	v_and_b32_e32 v22, 4, v18
	;; [unrolled: 1-line block ×5, first 2 shown]
	v_cmp_eq_u32_e32 vcc_lo, 0, v21
	v_and_b32_e32 v27, 0x80, v18
	v_and_b32_e32 v29, 0x100, v18
	;; [unrolled: 1-line block ×4, first 2 shown]
	v_cndmask_b32_e64 v21, 1, 0xff, vcc_lo
	v_cmp_eq_u32_e32 vcc_lo, 0, v22
	v_and_b32_e32 v32, 0x1000, v18
	v_and_b32_e32 v33, 0x4000, v18
	;; [unrolled: 1-line block ×4, first 2 shown]
	v_cndmask_b32_e32 v22, 0x10000, v6, vcc_lo
	v_cmp_eq_u32_e32 vcc_lo, 0, v23
	v_and_b32_e32 v37, 0x40000, v18
	v_and_b32_e32 v38, 0x80000, v18
	;; [unrolled: 1-line block ×3, first 2 shown]
	v_lshlrev_b32_e32 v24, 8, v18
	v_cndmask_b32_e32 v23, 0x1000000, v8, vcc_lo
	v_cmp_eq_u32_e32 vcc_lo, 0, v25
	v_and_b32_e32 v41, 0x400000, v18
	v_lshlrev_b32_e32 v28, 4, v18
	v_and_b32_e32 v42, 0x800000, v18
	v_and_or_b32 v21, 0x200, v24, v21
	v_cndmask_b32_e64 v25, 1, 0xff, vcc_lo
	v_cmp_eq_u32_e32 vcc_lo, 0, v26
	v_and_b32_e32 v44, 0x1000000, v18
	v_lshrrev_b32_e32 v35, 4, v18
	v_add_nc_u32_e32 v21, 0xff00, v21
	v_and_or_b32 v25, 0x200, v28, v25
	v_cndmask_b32_e32 v26, 0x10000, v6, vcc_lo
	v_cmp_eq_u32_e32 vcc_lo, 0, v27
	v_lshrrev_b32_e32 v39, 8, v18
	v_lshrrev_b32_e32 v43, 12, v18
	v_and_b32_e32 v45, 0x4000000, v18
	v_and_b32_e32 v46, 0x8000000, v18
	v_cndmask_b32_e32 v27, 0x1000000, v8, vcc_lo
	v_cmp_eq_u32_e32 vcc_lo, 0, v29
	v_lshrrev_b32_e32 v47, 16, v18
	v_ashrrev_i32_e32 v48, 28, v18
	v_and_b32_e32 v49, 0x10000000, v18
	v_and_b32_e32 v50, 2.0, v18
	v_cndmask_b32_e64 v29, 1, 0xff, vcc_lo
	v_cmp_eq_u32_e32 vcc_lo, 0, v30
	v_add_nc_u32_e32 v25, 0xff00, v25
	v_or3_b32 v21, v23, v22, v21
	v_and_b32_e32 v24, 8, v48
	v_and_or_b32 v18, 0x200, v18, v29
	v_cndmask_b32_e32 v30, 0x10000, v6, vcc_lo
	v_cmp_eq_u32_e32 vcc_lo, 0, v31
	v_or3_b32 v23, v27, v26, v25
	s_waitcnt vmcnt(2)
	v_dot4c_i32_i8 v20, v21, v10
	v_add_nc_u32_e32 v18, 0xff00, v18
	v_lshlrev_b32_e32 v48, 8, v48
	v_cndmask_b32_e32 v31, 0x1000000, v8, vcc_lo
	v_cmp_eq_u32_e32 vcc_lo, 0, v32
	v_dot4c_i32_i8 v20, v23, v11
	v_cvt_f32_f16_e32 v9, v9
	v_or3_b32 v18, v31, v30, v18
	v_cndmask_b32_e64 v32, 1, 0xff, vcc_lo
	v_cmp_eq_u32_e32 vcc_lo, 0, v33
	v_dot4c_i32_i8 v20, v18, v12
	v_and_or_b32 v28, 0x200, v35, v32
	v_cndmask_b32_e32 v33, 0x10000, v6, vcc_lo
	v_cmp_eq_u32_e32 vcc_lo, 0, v34
	v_add_nc_u32_e32 v21, 0xff00, v28
	v_cndmask_b32_e32 v34, 0x1000000, v8, vcc_lo
	v_cmp_eq_u32_e32 vcc_lo, 0, v36
	v_or3_b32 v21, v34, v33, v21
	v_cndmask_b32_e64 v36, 1, 0xff, vcc_lo
	v_cmp_eq_u32_e32 vcc_lo, 0, v37
	s_waitcnt vmcnt(1)
	v_dot4c_i32_i8 v20, v21, v13
	v_and_or_b32 v22, 0x200, v39, v36
	v_cndmask_b32_e32 v37, 0x10000, v6, vcc_lo
	v_cmp_eq_u32_e32 vcc_lo, 0, v38
	v_add_nc_u32_e32 v22, 0xff00, v22
	v_cndmask_b32_e32 v38, 0x1000000, v8, vcc_lo
	v_cmp_eq_u32_e32 vcc_lo, 0, v40
	v_or3_b32 v12, v38, v37, v22
	v_cndmask_b32_e64 v40, 1, 0xff, vcc_lo
	v_cmp_eq_u32_e32 vcc_lo, 0, v41
	v_dot4c_i32_i8 v20, v12, v14
	v_and_or_b32 v10, 0x200, v43, v40
	v_cndmask_b32_e32 v41, 0x10000, v6, vcc_lo
	v_cmp_eq_u32_e32 vcc_lo, 0, v42
	v_add_nc_u32_e32 v10, 0xff00, v10
	v_cndmask_b32_e32 v42, 0x1000000, v8, vcc_lo
	v_cmp_eq_u32_e32 vcc_lo, 0, v44
	v_or3_b32 v10, v42, v41, v10
	v_cndmask_b32_e64 v44, 1, 0xff, vcc_lo
	v_cmp_eq_u32_e32 vcc_lo, 0, v45
	;; [unrolled: 10-line block ×3, first 2 shown]
	v_dot4c_i32_i8 v20, v11, v16
	v_and_or_b32 v13, 0x200, v48, v49
	v_cndmask_b32_e32 v50, 0x10000, v6, vcc_lo
	v_cmp_eq_u32_e32 vcc_lo, 0, v24
	v_cvt_f32_f16_e32 v11, v17
	v_add_nc_u32_e32 v13, 0xff00, v13
	v_cndmask_b32_e32 v12, 0x1000000, v8, vcc_lo
	v_mul_f32_e32 v9, v11, v9
	v_add_co_u32 v2, vcc_lo, 0x480, v2
	v_add_co_ci_u32_e64 v3, null, 0, v3, vcc_lo
	v_or3_b32 v10, v12, v50, v13
	s_waitcnt vmcnt(0)
	v_dot4c_i32_i8 v20, v10, v19
	v_cvt_f32_i32_e32 v10, v20
	v_fmac_f32_e32 v4, v9, v10
	s_andn2_b32 exec_lo, exec_lo, s1
	s_cbranch_execnz .LBB2_9
; %bb.10:
	s_or_b32 exec_lo, exec_lo, s1
.LBB2_11:
	s_or_b32 exec_lo, exec_lo, s7
	s_waitcnt lgkmcnt(0)
	; wave barrier
	buffer_gl0_inv
	s_mov_b32 s0, exec_lo
	v_cmpx_eq_u32_e32 0, v1
	s_cbranch_execz .LBB2_14
; %bb.12:
	v_mbcnt_lo_u32_b32 v1, -1, 0
	v_xor_b32_e32 v2, 16, v1
	v_xor_b32_e32 v3, 8, v1
	v_cmp_gt_i32_e32 vcc_lo, 32, v2
	v_cndmask_b32_e32 v2, v1, v2, vcc_lo
	v_cmp_gt_i32_e32 vcc_lo, 32, v3
	v_lshlrev_b32_e32 v2, 2, v2
	v_cndmask_b32_e32 v3, v1, v3, vcc_lo
	ds_bpermute_b32 v2, v2, v4
	v_lshlrev_b32_e32 v3, 2, v3
	s_waitcnt lgkmcnt(0)
	v_add_f32_e32 v2, v4, v2
	v_xor_b32_e32 v4, 4, v1
	ds_bpermute_b32 v3, v3, v2
	v_cmp_gt_i32_e32 vcc_lo, 32, v4
	v_cndmask_b32_e32 v4, v1, v4, vcc_lo
	v_lshlrev_b32_e32 v4, 2, v4
	s_waitcnt lgkmcnt(0)
	v_add_f32_e32 v2, v2, v3
	ds_bpermute_b32 v3, v4, v2
	v_xor_b32_e32 v4, 2, v1
	v_cmp_gt_i32_e32 vcc_lo, 32, v4
	v_cndmask_b32_e32 v4, v1, v4, vcc_lo
	v_lshlrev_b32_e32 v4, 2, v4
	s_waitcnt lgkmcnt(0)
	v_add_f32_e32 v2, v2, v3
	ds_bpermute_b32 v3, v4, v2
	v_xor_b32_e32 v4, 1, v1
	v_cmp_gt_i32_e32 vcc_lo, 32, v4
	v_cndmask_b32_e32 v1, v1, v4, vcc_lo
	v_cmp_eq_u32_e32 vcc_lo, 0, v0
	v_lshlrev_b32_e32 v4, 2, v1
	s_waitcnt lgkmcnt(0)
	v_add_f32_e32 v1, v2, v3
	ds_bpermute_b32 v2, v4, v1
	s_and_b32 exec_lo, exec_lo, vcc_lo
	s_cbranch_execz .LBB2_14
; %bb.13:
	s_load_dwordx2 s[0:1], s[4:5], 0x38
	s_mul_i32 s2, s2, s10
	s_mul_i32 s3, s14, s8
	s_add_i32 s2, s2, s6
	s_waitcnt lgkmcnt(0)
	v_add_f32_e32 v0, v1, v2
	s_add_i32 s2, s2, s3
	s_mov_b32 s3, 0
	v_mov_b32_e32 v1, 0
	s_lshl_b64 s[2:3], s[2:3], 2
	s_add_u32 s0, s0, s2
	s_addc_u32 s1, s1, s3
	global_store_dword v1, v0, s[0:1]
.LBB2_14:
	s_endpgm
	.section	.rodata,"a",@progbits
	.p2align	6, 0x0
	.amdhsa_kernel _ZL13mul_mat_vec_qIL9ggml_type41ELi1ELb0ELb1EEvPKvS2_PKi31ggml_cuda_mm_fusion_args_devicePfj15HIP_vector_typeIjLj3EEjjjS8_jjjS8_jjjj
		.amdhsa_group_segment_fixed_size 0
		.amdhsa_private_segment_fixed_size 0
		.amdhsa_kernarg_size 144
		.amdhsa_user_sgpr_count 6
		.amdhsa_user_sgpr_private_segment_buffer 1
		.amdhsa_user_sgpr_dispatch_ptr 0
		.amdhsa_user_sgpr_queue_ptr 0
		.amdhsa_user_sgpr_kernarg_segment_ptr 1
		.amdhsa_user_sgpr_dispatch_id 0
		.amdhsa_user_sgpr_flat_scratch_init 0
		.amdhsa_user_sgpr_private_segment_size 0
		.amdhsa_wavefront_size32 1
		.amdhsa_uses_dynamic_stack 0
		.amdhsa_system_sgpr_private_segment_wavefront_offset 0
		.amdhsa_system_sgpr_workgroup_id_x 1
		.amdhsa_system_sgpr_workgroup_id_y 1
		.amdhsa_system_sgpr_workgroup_id_z 1
		.amdhsa_system_sgpr_workgroup_info 0
		.amdhsa_system_vgpr_workitem_id 1
		.amdhsa_next_free_vgpr 51
		.amdhsa_next_free_sgpr 22
		.amdhsa_reserve_vcc 1
		.amdhsa_reserve_flat_scratch 0
		.amdhsa_float_round_mode_32 0
		.amdhsa_float_round_mode_16_64 0
		.amdhsa_float_denorm_mode_32 3
		.amdhsa_float_denorm_mode_16_64 3
		.amdhsa_dx10_clamp 1
		.amdhsa_ieee_mode 1
		.amdhsa_fp16_overflow 0
		.amdhsa_workgroup_processor_mode 1
		.amdhsa_memory_ordered 1
		.amdhsa_forward_progress 1
		.amdhsa_shared_vgpr_count 0
		.amdhsa_exception_fp_ieee_invalid_op 0
		.amdhsa_exception_fp_denorm_src 0
		.amdhsa_exception_fp_ieee_div_zero 0
		.amdhsa_exception_fp_ieee_overflow 0
		.amdhsa_exception_fp_ieee_underflow 0
		.amdhsa_exception_fp_ieee_inexact 0
		.amdhsa_exception_int_div_zero 0
	.end_amdhsa_kernel
	.section	.text._ZL13mul_mat_vec_qIL9ggml_type41ELi1ELb0ELb1EEvPKvS2_PKi31ggml_cuda_mm_fusion_args_devicePfj15HIP_vector_typeIjLj3EEjjjS8_jjjS8_jjjj,"axG",@progbits,_ZL13mul_mat_vec_qIL9ggml_type41ELi1ELb0ELb1EEvPKvS2_PKi31ggml_cuda_mm_fusion_args_devicePfj15HIP_vector_typeIjLj3EEjjjS8_jjjS8_jjjj,comdat
.Lfunc_end2:
	.size	_ZL13mul_mat_vec_qIL9ggml_type41ELi1ELb0ELb1EEvPKvS2_PKi31ggml_cuda_mm_fusion_args_devicePfj15HIP_vector_typeIjLj3EEjjjS8_jjjS8_jjjj, .Lfunc_end2-_ZL13mul_mat_vec_qIL9ggml_type41ELi1ELb0ELb1EEvPKvS2_PKi31ggml_cuda_mm_fusion_args_devicePfj15HIP_vector_typeIjLj3EEjjjS8_jjjS8_jjjj
                                        ; -- End function
	.set _ZL13mul_mat_vec_qIL9ggml_type41ELi1ELb0ELb1EEvPKvS2_PKi31ggml_cuda_mm_fusion_args_devicePfj15HIP_vector_typeIjLj3EEjjjS8_jjjS8_jjjj.num_vgpr, 51
	.set _ZL13mul_mat_vec_qIL9ggml_type41ELi1ELb0ELb1EEvPKvS2_PKi31ggml_cuda_mm_fusion_args_devicePfj15HIP_vector_typeIjLj3EEjjjS8_jjjS8_jjjj.num_agpr, 0
	.set _ZL13mul_mat_vec_qIL9ggml_type41ELi1ELb0ELb1EEvPKvS2_PKi31ggml_cuda_mm_fusion_args_devicePfj15HIP_vector_typeIjLj3EEjjjS8_jjjS8_jjjj.numbered_sgpr, 22
	.set _ZL13mul_mat_vec_qIL9ggml_type41ELi1ELb0ELb1EEvPKvS2_PKi31ggml_cuda_mm_fusion_args_devicePfj15HIP_vector_typeIjLj3EEjjjS8_jjjS8_jjjj.num_named_barrier, 0
	.set _ZL13mul_mat_vec_qIL9ggml_type41ELi1ELb0ELb1EEvPKvS2_PKi31ggml_cuda_mm_fusion_args_devicePfj15HIP_vector_typeIjLj3EEjjjS8_jjjS8_jjjj.private_seg_size, 0
	.set _ZL13mul_mat_vec_qIL9ggml_type41ELi1ELb0ELb1EEvPKvS2_PKi31ggml_cuda_mm_fusion_args_devicePfj15HIP_vector_typeIjLj3EEjjjS8_jjjS8_jjjj.uses_vcc, 1
	.set _ZL13mul_mat_vec_qIL9ggml_type41ELi1ELb0ELb1EEvPKvS2_PKi31ggml_cuda_mm_fusion_args_devicePfj15HIP_vector_typeIjLj3EEjjjS8_jjjS8_jjjj.uses_flat_scratch, 0
	.set _ZL13mul_mat_vec_qIL9ggml_type41ELi1ELb0ELb1EEvPKvS2_PKi31ggml_cuda_mm_fusion_args_devicePfj15HIP_vector_typeIjLj3EEjjjS8_jjjS8_jjjj.has_dyn_sized_stack, 0
	.set _ZL13mul_mat_vec_qIL9ggml_type41ELi1ELb0ELb1EEvPKvS2_PKi31ggml_cuda_mm_fusion_args_devicePfj15HIP_vector_typeIjLj3EEjjjS8_jjjS8_jjjj.has_recursion, 0
	.set _ZL13mul_mat_vec_qIL9ggml_type41ELi1ELb0ELb1EEvPKvS2_PKi31ggml_cuda_mm_fusion_args_devicePfj15HIP_vector_typeIjLj3EEjjjS8_jjjS8_jjjj.has_indirect_call, 0
	.section	.AMDGPU.csdata,"",@progbits
; Kernel info:
; codeLenInByte = 1588
; TotalNumSgprs: 24
; NumVgprs: 51
; ScratchSize: 0
; MemoryBound: 0
; FloatMode: 240
; IeeeMode: 1
; LDSByteSize: 0 bytes/workgroup (compile time only)
; SGPRBlocks: 0
; VGPRBlocks: 6
; NumSGPRsForWavesPerEU: 24
; NumVGPRsForWavesPerEU: 51
; Occupancy: 16
; WaveLimiterHint : 0
; COMPUTE_PGM_RSRC2:SCRATCH_EN: 0
; COMPUTE_PGM_RSRC2:USER_SGPR: 6
; COMPUTE_PGM_RSRC2:TRAP_HANDLER: 0
; COMPUTE_PGM_RSRC2:TGID_X_EN: 1
; COMPUTE_PGM_RSRC2:TGID_Y_EN: 1
; COMPUTE_PGM_RSRC2:TGID_Z_EN: 1
; COMPUTE_PGM_RSRC2:TIDIG_COMP_CNT: 1
	.section	.text._ZL13mul_mat_vec_qIL9ggml_type41ELi1ELb1ELb0EEvPKvS2_PKi31ggml_cuda_mm_fusion_args_devicePfj15HIP_vector_typeIjLj3EEjjjS8_jjjS8_jjjj,"axG",@progbits,_ZL13mul_mat_vec_qIL9ggml_type41ELi1ELb1ELb0EEvPKvS2_PKi31ggml_cuda_mm_fusion_args_devicePfj15HIP_vector_typeIjLj3EEjjjS8_jjjS8_jjjj,comdat
	.globl	_ZL13mul_mat_vec_qIL9ggml_type41ELi1ELb1ELb0EEvPKvS2_PKi31ggml_cuda_mm_fusion_args_devicePfj15HIP_vector_typeIjLj3EEjjjS8_jjjS8_jjjj ; -- Begin function _ZL13mul_mat_vec_qIL9ggml_type41ELi1ELb1ELb0EEvPKvS2_PKi31ggml_cuda_mm_fusion_args_devicePfj15HIP_vector_typeIjLj3EEjjjS8_jjjS8_jjjj
	.p2align	8
	.type	_ZL13mul_mat_vec_qIL9ggml_type41ELi1ELb1ELb0EEvPKvS2_PKi31ggml_cuda_mm_fusion_args_devicePfj15HIP_vector_typeIjLj3EEjjjS8_jjjS8_jjjj,@function
_ZL13mul_mat_vec_qIL9ggml_type41ELi1ELb1ELb0EEvPKvS2_PKi31ggml_cuda_mm_fusion_args_devicePfj15HIP_vector_typeIjLj3EEjjjS8_jjjS8_jjjj: ; @_ZL13mul_mat_vec_qIL9ggml_type41ELi1ELb1ELb0EEvPKvS2_PKi31ggml_cuda_mm_fusion_args_devicePfj15HIP_vector_typeIjLj3EEjjjS8_jjjS8_jjjj
; %bb.0:
	s_clause 0x3
	s_load_dwordx8 s[12:19], s[4:5], 0x0
	s_load_dwordx4 s[28:31], s[4:5], 0x20
	s_load_dwordx4 s[36:39], s[4:5], 0x40
	;; [unrolled: 1-line block ×3, first 2 shown]
	s_mov_b32 s10, s7
	s_waitcnt lgkmcnt(0)
	s_cmp_lg_u64 s[16:17], 0
	s_cselect_b32 s0, -1, 0
	s_cmp_eq_u64 s[16:17], 0
	s_cbranch_scc1 .LBB3_5
; %bb.1:
	s_mov_b32 s11, 0
	s_lshl_b64 s[2:3], s[10:11], 2
	s_add_u32 s2, s16, s2
	s_addc_u32 s3, s17, s3
	s_load_dword s34, s[2:3], 0x0
	s_clause 0x1
	s_load_dword s35, s[4:5], 0x50
	s_load_dword s33, s[4:5], 0x78
	s_cbranch_execnz .LBB3_3
.LBB3_2:
	s_load_dwordx2 s[2:3], s[4:5], 0x5c
	s_waitcnt lgkmcnt(0)
	s_mul_hi_u32 s1, s2, s10
	s_add_i32 s1, s10, s1
	s_lshr_b32 s34, s1, s3
.LBB3_3:
	s_andn2_b32 vcc_lo, exec_lo, s0
	s_cbranch_vccnz .LBB3_6
; %bb.4:
	s_mul_hi_u32 s0, s37, s10
	s_waitcnt lgkmcnt(0)
	s_mov_b32 s1, s34
	s_add_i32 s0, s10, s0
	s_lshr_b32 s0, s0, s38
	s_mul_i32 s0, s0, s39
	s_sub_i32 s11, s10, s0
	s_branch .LBB3_7
.LBB3_5:
                                        ; implicit-def: $sgpr34
	s_clause 0x1
	s_load_dword s35, s[4:5], 0x50
	s_load_dword s33, s[4:5], 0x78
	s_branch .LBB3_2
.LBB3_6:
	s_mov_b32 s1, s10
	s_mov_b32 s11, s10
.LBB3_7:
	s_load_dwordx4 s[24:27], s[4:5], 0x80
	v_or_b32_e32 v2, v0, v1
	s_cmp_lg_u64 s[18:19], 0
	v_mov_b32_e32 v12, 0
	v_mov_b32_e32 v13, 0
	s_cselect_b32 s0, -1, 0
	v_cmp_eq_u32_e32 vcc_lo, 0, v2
	s_mov_b32 s17, 0
	s_mul_i32 s2, s1, s22
	s_and_b32 s3, s0, vcc_lo
	s_and_saveexec_b32 s1, s3
	s_cbranch_execz .LBB3_9
; %bb.8:
	s_waitcnt lgkmcnt(0)
	s_mul_i32 s16, s26, s8
	s_mov_b32 s3, s17
	s_lshl_b64 s[38:39], s[16:17], 2
	v_lshlrev_b32_e32 v2, 2, v0
	s_add_u32 s7, s18, s38
	s_addc_u32 s9, s19, s39
	s_lshl_b64 s[16:17], s[2:3], 2
	s_add_u32 s3, s7, s16
	s_addc_u32 s9, s9, s17
	s_ashr_i32 s7, s6, 31
	s_lshl_b64 s[16:17], s[6:7], 2
	s_add_u32 s16, s3, s16
	s_addc_u32 s17, s9, s17
	global_load_dword v13, v2, s[16:17]
.LBB3_9:
	s_or_b32 exec_lo, exec_lo, s1
	s_cmp_lg_u64 s[28:29], 0
	s_cselect_b32 s9, -1, 0
	s_cmp_lg_u64 s[30:31], 0
	s_cselect_b32 s1, -1, 0
	s_and_b32 s3, s1, s9
	s_and_b32 s3, s3, vcc_lo
	s_and_saveexec_b32 s16, s3
	s_cbranch_execz .LBB3_11
; %bb.10:
	s_waitcnt lgkmcnt(0)
	s_mul_i32 s18, s26, s8
	s_mov_b32 s19, 0
	v_lshlrev_b32_e32 v2, 2, v0
	s_lshl_b64 s[38:39], s[18:19], 2
	s_mov_b32 s3, s19
	s_add_u32 s7, s30, s38
	s_addc_u32 s17, s31, s39
	s_lshl_b64 s[2:3], s[2:3], 2
	s_add_u32 s18, s7, s2
	s_addc_u32 s17, s17, s3
	s_ashr_i32 s7, s6, 31
	s_lshl_b64 s[2:3], s[6:7], 2
	s_add_u32 s2, s18, s2
	s_addc_u32 s3, s17, s3
	global_load_dword v12, v2, s[2:3]
.LBB3_11:
	s_or_b32 exec_lo, exec_lo, s16
	v_lshl_or_b32 v2, v1, 5, v0
	v_mov_b32_e32 v16, 0
	v_cndmask_b32_e64 v14, 0, 1, s9
	v_mov_b32_e32 v15, 0
	s_lshr_b32 s3, s36, 7
	v_lshrrev_b32_e32 v17, 2, v2
	s_mov_b32 s7, exec_lo
	v_cmpx_gt_u32_e64 s3, v17
	s_cbranch_execz .LBB3_17
; %bb.12:
	v_lshrrev_b32_e32 v2, 2, v2
	s_mul_i32 s2, s11, s21
	v_and_b32_e32 v4, 3, v0
	s_mul_hi_u32 s17, s2, 36
	s_mul_i32 s16, s2, 36
	s_waitcnt lgkmcnt(0)
	s_mul_i32 s2, s25, s8
	v_mad_u64_u32 v[2:3], null, 0x90, v2, s[16:17]
	s_mul_i32 s35, s35, s6
	v_mov_b32_e32 v16, 0
	v_mov_b32_e32 v18, 0xff0000
	;; [unrolled: 1-line block ×3, first 2 shown]
	v_lshlrev_b32_e32 v20, 2, v4
	v_mov_b32_e32 v15, 0
	v_mad_u64_u32 v[2:3], null, s2, 36, v[2:3]
	s_mul_hi_u32 s2, s23, s8
	s_mul_i32 s11, s34, s20
	s_add_i32 s2, s8, s2
	s_lshr_b32 s2, s2, s33
	v_mad_u64_u32 v[2:3], null, v4, 36, v[2:3]
	s_mul_i32 s2, s2, s24
	s_add_i32 s2, s2, s35
	v_add_co_u32 v2, vcc_lo, s14, v2
	v_add_co_ci_u32_e64 v3, null, s15, v3, vcc_lo
	s_add_i32 s14, s11, s2
	v_add_co_u32 v10, vcc_lo, v2, 32
	v_add_co_ci_u32_e64 v11, null, 0, v3, vcc_lo
	s_mov_b32 s11, 0
	s_branch .LBB3_14
.LBB3_13:                               ;   in Loop: Header=BB3_14 Depth=1
	s_waitcnt vmcnt(1)
	v_and_b32_e32 v24, 1, v23
	v_and_b32_e32 v25, 4, v23
	;; [unrolled: 1-line block ×3, first 2 shown]
	v_lshlrev_b32_e32 v26, 8, v23
	v_and_b32_e32 v28, 8, v23
	v_cmp_eq_u32_e32 vcc_lo, 0, v24
	v_lshlrev_b32_e32 v29, 4, v23
	v_and_b32_e32 v30, 0x80, v23
	v_lshrrev_b32_e32 v31, 4, v23
	v_and_b32_e32 v32, 0x8000, v23
	v_cndmask_b32_e64 v24, 1, 0xff, vcc_lo
	v_cmp_eq_u32_e32 vcc_lo, 0, v25
	v_and_b32_e32 v33, 0x40000, v23
	v_and_b32_e32 v35, 0x100000, v23
	v_lshrrev_b32_e32 v34, 8, v23
	v_and_or_b32 v24, 0x200, v26, v24
	v_cndmask_b32_e32 v25, 0x10000, v18, vcc_lo
	v_cmp_eq_u32_e32 vcc_lo, 0, v27
	v_and_b32_e32 v27, 64, v23
	v_and_b32_e32 v36, 0x80000, v23
	v_add_nc_u32_e32 v24, 0xff00, v24
	v_and_b32_e32 v38, 0x800000, v23
	v_cndmask_b32_e64 v26, 1, 0xff, vcc_lo
	v_cmp_eq_u32_e32 vcc_lo, 0, v28
	v_lshrrev_b32_e32 v37, 12, v23
	v_add_nc_u32_e32 v17, 8, v17
	v_add_co_u32 v10, s2, 0x480, v10
	v_cndmask_b32_e32 v28, 0x1000000, v19, vcc_lo
	v_cmp_eq_u32_e32 vcc_lo, 0, v27
	v_and_or_b32 v26, 0x200, v29, v26
	v_add_co_ci_u32_e64 v11, null, 0, v11, s2
	v_or3_b32 v24, v28, v25, v24
	v_cndmask_b32_e32 v27, 0x10000, v18, vcc_lo
	v_cmp_eq_u32_e32 vcc_lo, 0, v30
	v_and_b32_e32 v30, 0x100, v23
	v_add_nc_u32_e32 v26, 0xff00, v26
	v_and_b32_e32 v25, 0x400, v23
	v_and_b32_e32 v28, 0x1000, v23
	v_cndmask_b32_e32 v29, 0x1000000, v19, vcc_lo
	v_cmp_eq_u32_e32 vcc_lo, 0, v30
	v_and_b32_e32 v30, 0x4000, v23
	v_or3_b32 v26, v29, v27, v26
	v_cndmask_b32_e64 v27, 1, 0xff, vcc_lo
	v_cmp_eq_u32_e32 vcc_lo, 0, v25
	v_and_b32_e32 v29, 0x800, v23
	v_and_or_b32 v27, 0x200, v23, v27
	v_cndmask_b32_e32 v25, 0x10000, v18, vcc_lo
	v_cmp_eq_u32_e32 vcc_lo, 0, v28
	v_add_nc_u32_e32 v27, 0xff00, v27
	v_cndmask_b32_e64 v28, 1, 0xff, vcc_lo
	v_cmp_eq_u32_e32 vcc_lo, 0, v29
	v_and_or_b32 v28, 0x200, v31, v28
	v_cndmask_b32_e32 v29, 0x1000000, v19, vcc_lo
	v_cmp_eq_u32_e32 vcc_lo, 0, v30
	v_and_b32_e32 v31, 0x10000, v23
	v_add_nc_u32_e32 v28, 0xff00, v28
	v_or3_b32 v25, v29, v25, v27
	v_cndmask_b32_e32 v30, 0x10000, v18, vcc_lo
	v_cmp_eq_u32_e32 vcc_lo, 0, v32
	v_cndmask_b32_e32 v32, 0x1000000, v19, vcc_lo
	v_cmp_eq_u32_e32 vcc_lo, 0, v31
	v_or3_b32 v27, v32, v30, v28
	v_cndmask_b32_e64 v31, 1, 0xff, vcc_lo
	v_cmp_eq_u32_e32 vcc_lo, 0, v33
	v_and_b32_e32 v28, 0x1000000, v23
	v_and_b32_e32 v32, 0x4000000, v23
	v_and_or_b32 v31, 0x200, v34, v31
	v_cndmask_b32_e32 v33, 0x10000, v18, vcc_lo
	v_cmp_eq_u32_e32 vcc_lo, 0, v35
	v_and_b32_e32 v35, 0x400000, v23
	v_add_nc_u32_e32 v31, 0xff00, v31
	v_cndmask_b32_e64 v34, 1, 0xff, vcc_lo
	v_cmp_eq_u32_e32 vcc_lo, 0, v36
	v_and_or_b32 v34, 0x200, v37, v34
	v_cndmask_b32_e32 v36, 0x1000000, v19, vcc_lo
	v_cmp_eq_u32_e32 vcc_lo, 0, v35
	v_add_nc_u32_e32 v34, 0xff00, v34
	v_or3_b32 v29, v36, v33, v31
	v_cndmask_b32_e32 v35, 0x10000, v18, vcc_lo
	v_cmp_eq_u32_e32 vcc_lo, 0, v38
	v_mov_b32_e32 v31, 0
	v_lshrrev_b32_e32 v33, 16, v23
	v_cndmask_b32_e32 v37, 0x1000000, v19, vcc_lo
	v_cmp_eq_u32_e32 vcc_lo, 0, v28
	v_dot4c_i32_i8 v31, v24, v7
	v_and_b32_e32 v7, 0x8000000, v23
	v_or3_b32 v30, v37, v35, v34
	v_cndmask_b32_e64 v28, 1, 0xff, vcc_lo
	v_cmp_eq_u32_e32 vcc_lo, 0, v32
	v_dot4c_i32_i8 v31, v26, v8
	v_and_b32_e32 v8, 0x10000000, v23
	v_ashrrev_i32_e32 v26, 28, v23
	v_and_or_b32 v28, 0x200, v33, v28
	v_cndmask_b32_e32 v24, 0x10000, v18, vcc_lo
	v_cmp_eq_u32_e32 vcc_lo, 0, v7
	v_dot4c_i32_i8 v31, v25, v9
	v_lshlrev_b32_e32 v25, 8, v26
	v_add_nc_u32_e32 v9, 0xff00, v28
	v_cndmask_b32_e32 v7, 0x1000000, v19, vcc_lo
	v_cmp_eq_u32_e32 vcc_lo, 0, v8
	v_dot4c_i32_i8 v31, v27, v2
	v_and_b32_e32 v2, 2.0, v23
	v_or3_b32 v7, v7, v24, v9
	v_cndmask_b32_e64 v8, 1, 0xff, vcc_lo
	v_and_b32_e32 v9, 8, v26
	v_cmp_eq_u32_e32 vcc_lo, 0, v2
	v_dot4c_i32_i8 v31, v29, v3
	v_and_or_b32 v8, 0x200, v25, v8
	v_cndmask_b32_e32 v2, 0x10000, v18, vcc_lo
	v_cmp_eq_u32_e32 vcc_lo, 0, v9
	v_dot4c_i32_i8 v31, v30, v4
	v_add_nc_u32_e32 v8, 0xff00, v8
	v_cndmask_b32_e32 v3, 0x1000000, v19, vcc_lo
	v_dot4c_i32_i8 v31, v7, v5
	v_cmp_le_u32_e32 vcc_lo, s3, v17
	v_or3_b32 v2, v3, v2, v8
	v_cvt_f32_f16_e32 v3, v21
	s_or_b32 s11, vcc_lo, s11
	s_waitcnt vmcnt(0)
	v_dot4c_i32_i8 v31, v2, v22
	v_mul_f32_e32 v2, v3, v6
	v_cvt_f32_i32_e32 v3, v31
	v_fmac_f32_e32 v16, v2, v3
	s_andn2_b32 exec_lo, exec_lo, s11
	s_cbranch_execz .LBB3_16
.LBB3_14:                               ; =>This Inner Loop Header: Depth=1
	v_add_nc_u32_e32 v24, s14, v17
	v_mad_i64_i32 v[21:22], null, v24, 18, s[12:13]
	v_add_co_u32 v25, vcc_lo, v21, v20
	v_add_co_ci_u32_e64 v26, null, 0, v22, vcc_lo
	s_clause 0x1
	global_load_dwordx4 v[6:9], v[10:11], off offset:-32
	global_load_dwordx4 v[2:5], v[10:11], off offset:-16
	s_clause 0x1
	global_load_ushort v21, v[21:22], off
	global_load_dword v23, v[25:26], off offset:2
	global_load_dword v22, v[10:11], off
	s_andn2_b32 vcc_lo, exec_lo, s9
	s_waitcnt vmcnt(4)
	v_cvt_f32_f16_e32 v6, v6
	s_cbranch_vccnz .LBB3_13
; %bb.15:                               ;   in Loop: Header=BB3_14 Depth=1
	v_mad_i64_i32 v[24:25], null, v24, 18, s[28:29]
	v_add_co_u32 v26, vcc_lo, v24, v20
	v_add_co_ci_u32_e64 v27, null, 0, v25, vcc_lo
	s_clause 0x1
	global_load_dword v26, v[26:27], off offset:2
	global_load_ushort v24, v[24:25], off
	v_mov_b32_e32 v25, 0
	s_waitcnt vmcnt(1)
	v_and_b32_e32 v27, 1, v26
	v_and_b32_e32 v28, 4, v26
	;; [unrolled: 1-line block ×5, first 2 shown]
	v_cmp_eq_u32_e32 vcc_lo, 0, v27
	v_and_b32_e32 v33, 0x80, v26
	v_and_b32_e32 v35, 0x100, v26
	v_and_b32_e32 v36, 0x400, v26
	v_and_b32_e32 v37, 0x800, v26
	v_cndmask_b32_e64 v27, 1, 0xff, vcc_lo
	v_cmp_eq_u32_e32 vcc_lo, 0, v28
	v_and_b32_e32 v38, 0x1000, v26
	v_and_b32_e32 v39, 0x4000, v26
	;; [unrolled: 1-line block ×4, first 2 shown]
	v_cndmask_b32_e32 v28, 0x10000, v18, vcc_lo
	v_cmp_eq_u32_e32 vcc_lo, 0, v29
	v_and_b32_e32 v43, 0x40000, v26
	v_and_b32_e32 v44, 0x80000, v26
	;; [unrolled: 1-line block ×3, first 2 shown]
	v_lshlrev_b32_e32 v30, 8, v26
	v_cndmask_b32_e32 v29, 0x1000000, v19, vcc_lo
	v_cmp_eq_u32_e32 vcc_lo, 0, v31
	v_and_b32_e32 v47, 0x400000, v26
	v_lshlrev_b32_e32 v34, 4, v26
	v_and_b32_e32 v48, 0x800000, v26
	v_and_or_b32 v27, 0x200, v30, v27
	v_cndmask_b32_e64 v31, 1, 0xff, vcc_lo
	v_cmp_eq_u32_e32 vcc_lo, 0, v32
	v_and_b32_e32 v50, 0x1000000, v26
	v_lshrrev_b32_e32 v41, 4, v26
	v_add_nc_u32_e32 v27, 0xff00, v27
	v_and_or_b32 v31, 0x200, v34, v31
	v_cndmask_b32_e32 v32, 0x10000, v18, vcc_lo
	v_cmp_eq_u32_e32 vcc_lo, 0, v33
	v_lshrrev_b32_e32 v45, 8, v26
	v_lshrrev_b32_e32 v49, 12, v26
	v_and_b32_e32 v51, 0x4000000, v26
	v_and_b32_e32 v52, 0x8000000, v26
	v_cndmask_b32_e32 v33, 0x1000000, v19, vcc_lo
	v_cmp_eq_u32_e32 vcc_lo, 0, v35
	v_lshrrev_b32_e32 v53, 16, v26
	v_ashrrev_i32_e32 v54, 28, v26
	v_and_b32_e32 v55, 0x10000000, v26
	v_and_b32_e32 v56, 2.0, v26
	v_cndmask_b32_e64 v35, 1, 0xff, vcc_lo
	v_cmp_eq_u32_e32 vcc_lo, 0, v36
	v_add_nc_u32_e32 v31, 0xff00, v31
	v_or3_b32 v27, v29, v28, v27
	s_waitcnt vmcnt(0)
	v_cvt_f32_f16_e32 v24, v24
	v_and_or_b32 v26, 0x200, v26, v35
	v_cndmask_b32_e32 v36, 0x10000, v18, vcc_lo
	v_cmp_eq_u32_e32 vcc_lo, 0, v37
	v_or3_b32 v31, v33, v32, v31
	v_dot4c_i32_i8 v25, v27, v7
	v_add_nc_u32_e32 v26, 0xff00, v26
	v_mul_f32_e32 v24, v6, v24
	v_cndmask_b32_e32 v37, 0x1000000, v19, vcc_lo
	v_cmp_eq_u32_e32 vcc_lo, 0, v38
	v_dot4c_i32_i8 v25, v31, v8
	v_or3_b32 v26, v37, v36, v26
	v_cndmask_b32_e64 v38, 1, 0xff, vcc_lo
	v_cmp_eq_u32_e32 vcc_lo, 0, v39
	v_dot4c_i32_i8 v25, v26, v9
	v_and_or_b32 v29, 0x200, v41, v38
	v_cndmask_b32_e32 v39, 0x10000, v18, vcc_lo
	v_cmp_eq_u32_e32 vcc_lo, 0, v40
	v_lshlrev_b32_e32 v26, 8, v54
	v_add_nc_u32_e32 v29, 0xff00, v29
	v_cndmask_b32_e32 v40, 0x1000000, v19, vcc_lo
	v_cmp_eq_u32_e32 vcc_lo, 0, v42
	v_or3_b32 v29, v40, v39, v29
	v_cndmask_b32_e64 v42, 1, 0xff, vcc_lo
	v_cmp_eq_u32_e32 vcc_lo, 0, v43
	v_dot4c_i32_i8 v25, v29, v2
	v_and_or_b32 v32, 0x200, v45, v42
	v_cndmask_b32_e32 v43, 0x10000, v18, vcc_lo
	v_cmp_eq_u32_e32 vcc_lo, 0, v44
	v_and_b32_e32 v29, 8, v54
	v_add_nc_u32_e32 v32, 0xff00, v32
	v_cndmask_b32_e32 v44, 0x1000000, v19, vcc_lo
	v_cmp_eq_u32_e32 vcc_lo, 0, v46
	v_or3_b32 v32, v44, v43, v32
	v_cndmask_b32_e64 v46, 1, 0xff, vcc_lo
	v_cmp_eq_u32_e32 vcc_lo, 0, v47
	v_dot4c_i32_i8 v25, v32, v3
	v_and_or_b32 v31, 0x200, v49, v46
	v_cndmask_b32_e32 v47, 0x10000, v18, vcc_lo
	v_cmp_eq_u32_e32 vcc_lo, 0, v48
	v_add_nc_u32_e32 v31, 0xff00, v31
	v_cndmask_b32_e32 v30, 0x1000000, v19, vcc_lo
	v_cmp_eq_u32_e32 vcc_lo, 0, v50
	v_cndmask_b32_e64 v48, 1, 0xff, vcc_lo
	v_cmp_eq_u32_e32 vcc_lo, 0, v51
	v_and_or_b32 v33, 0x200, v53, v48
	v_cndmask_b32_e32 v34, 0x10000, v18, vcc_lo
	v_cmp_eq_u32_e32 vcc_lo, 0, v52
	v_add_nc_u32_e32 v33, 0xff00, v33
	v_cndmask_b32_e32 v28, 0x1000000, v19, vcc_lo
	v_cmp_eq_u32_e32 vcc_lo, 0, v55
	v_or3_b32 v28, v28, v34, v33
	v_cndmask_b32_e64 v27, 1, 0xff, vcc_lo
	v_cmp_eq_u32_e32 vcc_lo, 0, v56
	v_and_or_b32 v26, 0x200, v26, v27
	v_or3_b32 v27, v30, v47, v31
	v_cndmask_b32_e32 v30, 0x10000, v18, vcc_lo
	v_cmp_eq_u32_e32 vcc_lo, 0, v29
	v_add_nc_u32_e32 v26, 0xff00, v26
	v_dot4c_i32_i8 v25, v27, v4
	v_cndmask_b32_e32 v29, 0x1000000, v19, vcc_lo
	v_dot4c_i32_i8 v25, v28, v5
	v_or3_b32 v26, v29, v30, v26
	v_dot4c_i32_i8 v25, v26, v22
	v_cvt_f32_i32_e32 v25, v25
	v_fmac_f32_e32 v15, v24, v25
	s_branch .LBB3_13
.LBB3_16:
	s_or_b32 exec_lo, exec_lo, s11
.LBB3_17:
	s_or_b32 exec_lo, exec_lo, s7
	s_load_dword s2, s[4:5], 0x30
	s_waitcnt vmcnt(0) lgkmcnt(0)
	; wave barrier
	buffer_gl0_inv
	s_mov_b32 s3, exec_lo
	v_cmpx_eq_u32_e32 0, v1
	s_cbranch_execz .LBB3_44
; %bb.18:
	v_mbcnt_lo_u32_b32 v2, -1, 0
	v_xor_b32_e32 v1, 16, v2
	v_xor_b32_e32 v4, 8, v2
	;; [unrolled: 1-line block ×3, first 2 shown]
	v_cmp_gt_i32_e32 vcc_lo, 32, v1
	v_cndmask_b32_e32 v1, v2, v1, vcc_lo
	v_cmp_gt_i32_e32 vcc_lo, 32, v4
	v_lshlrev_b32_e32 v1, 2, v1
	v_cndmask_b32_e32 v4, v2, v4, vcc_lo
	v_cmp_gt_i32_e32 vcc_lo, 32, v5
	ds_bpermute_b32 v3, v1, v16
	v_lshlrev_b32_e32 v4, 2, v4
	v_cndmask_b32_e32 v5, v2, v5, vcc_lo
	v_lshlrev_b32_e32 v5, 2, v5
	s_waitcnt lgkmcnt(0)
	v_add_f32_e32 v3, v16, v3
	ds_bpermute_b32 v6, v4, v3
	s_waitcnt lgkmcnt(0)
	v_add_f32_e32 v3, v3, v6
	v_xor_b32_e32 v6, 2, v2
	ds_bpermute_b32 v7, v5, v3
	v_cmp_gt_i32_e32 vcc_lo, 32, v6
	v_cndmask_b32_e32 v6, v2, v6, vcc_lo
	v_lshlrev_b32_e32 v6, 2, v6
	s_waitcnt lgkmcnt(0)
	v_add_f32_e32 v3, v3, v7
	v_xor_b32_e32 v7, 1, v2
	ds_bpermute_b32 v8, v6, v3
	v_cmp_gt_i32_e32 vcc_lo, 32, v7
	v_cndmask_b32_e32 v2, v2, v7, vcc_lo
	v_cmp_ne_u32_e32 vcc_lo, 1, v14
	v_lshlrev_b32_e32 v7, 2, v2
	s_waitcnt lgkmcnt(0)
	v_add_f32_e32 v2, v3, v8
	ds_bpermute_b32 v3, v7, v2
	s_cbranch_vccnz .LBB3_20
; %bb.19:
	ds_bpermute_b32 v1, v1, v15
	s_waitcnt lgkmcnt(0)
	v_add_f32_e32 v1, v15, v1
	ds_bpermute_b32 v4, v4, v1
	s_waitcnt lgkmcnt(0)
	v_add_f32_e32 v1, v1, v4
	;; [unrolled: 3-line block ×5, first 2 shown]
.LBB3_20:
	v_cmp_eq_u32_e32 vcc_lo, 0, v0
	s_and_b32 exec_lo, exec_lo, vcc_lo
	s_cbranch_execz .LBB3_44
; %bb.21:
	s_waitcnt lgkmcnt(0)
	v_add_f32_e32 v1, v2, v3
	v_cmp_ne_u32_e32 vcc_lo, 1, v14
	v_add_f32_e32 v2, v13, v1
	v_cndmask_b32_e64 v1, v1, v2, s0
	s_cbranch_vccnz .LBB3_43
; %bb.22:
	v_add_f32_e32 v2, v12, v15
	s_cmp_lt_i32 s2, 2
	s_mov_b32 s0, 0
	v_cndmask_b32_e64 v2, v15, v2, s1
	s_cbranch_scc1 .LBB3_26
; %bb.23:
	s_cmp_gt_i32 s2, 2
	s_cbranch_scc0 .LBB3_27
; %bb.24:
	s_cmp_eq_u32 s2, 3
	s_cbranch_scc0 .LBB3_28
; %bb.25:
	v_max_f32_e32 v3, v2, v2
	s_mov_b32 s1, 0
	v_min_f32_e32 v3, 0x40e00000, v3
	v_mul_f32_e32 v4, 0xbfd9db23, v3
	v_mul_f32_e32 v5, 0x3fb8aa3b, v4
	v_cmp_ngt_f32_e32 vcc_lo, 0xc2ce8ed0, v4
	v_fma_f32 v6, 0x3fb8aa3b, v4, -v5
	v_rndne_f32_e32 v7, v5
	v_fmamk_f32 v6, v4, 0x32a5705f, v6
	v_sub_f32_e32 v5, v5, v7
	v_add_f32_e32 v5, v5, v6
	v_cvt_i32_f32_e32 v6, v7
	v_exp_f32_e32 v5, v5
	v_ldexp_f32 v5, v5, v6
	v_cndmask_b32_e32 v5, 0, v5, vcc_lo
	v_cmp_nlt_f32_e32 vcc_lo, 0x42b17218, v4
	v_cndmask_b32_e32 v4, 0x7f800000, v5, vcc_lo
	v_add_f32_e32 v4, 1.0, v4
	v_div_scale_f32 v5, null, v4, v4, v3
	v_div_scale_f32 v8, vcc_lo, v3, v4, v3
	v_rcp_f32_e32 v6, v5
	v_fma_f32 v7, -v5, v6, 1.0
	v_fmac_f32_e32 v6, v7, v6
	v_mul_f32_e32 v7, v8, v6
	v_fma_f32 v9, -v5, v7, v8
	v_fmac_f32_e32 v7, v9, v6
	v_max_f32_e32 v9, v1, v1
	v_fma_f32 v5, -v5, v7, v8
	v_min_f32_e32 v8, 0x40e00000, v9
	v_div_fmas_f32 v5, v5, v6, v7
	v_max_f32_e32 v6, 0xc0e00000, v8
	v_div_fixup_f32 v3, v5, v4, v3
	v_add_f32_e32 v4, 1.0, v6
	v_mul_f32_e32 v3, v4, v3
	s_branch .LBB3_29
.LBB3_26:
	s_mov_b32 s1, 0
                                        ; implicit-def: $vgpr3
	s_cbranch_execnz .LBB3_33
	s_branch .LBB3_34
.LBB3_27:
	s_mov_b32 s3, -1
	s_mov_b32 s1, 0
                                        ; implicit-def: $vgpr3
	s_branch .LBB3_30
.LBB3_28:
	s_mov_b32 s1, -1
                                        ; implicit-def: $vgpr3
.LBB3_29:
	s_mov_b32 s3, 0
.LBB3_30:
	s_and_b32 vcc_lo, exec_lo, s3
	s_cbranch_vccz .LBB3_32
; %bb.31:
	v_mul_f32_e32 v3, 0xbfb8aa3b, v2
	v_cmp_nlt_f32_e32 vcc_lo, 0x42ce8ed0, v2
	v_rndne_f32_e32 v4, v3
	v_fma_f32 v5, 0xbfb8aa3b, v2, -v3
	v_sub_f32_e32 v3, v3, v4
	v_fmamk_f32 v5, v2, 0xb2a5705f, v5
	v_cvt_i32_f32_e32 v4, v4
	v_add_f32_e32 v3, v3, v5
	v_exp_f32_e32 v3, v3
	v_ldexp_f32 v3, v3, v4
	v_cndmask_b32_e32 v3, 0, v3, vcc_lo
	v_cmp_ngt_f32_e32 vcc_lo, 0xc2b17218, v2
	v_cndmask_b32_e32 v3, 0x7f800000, v3, vcc_lo
	v_add_f32_e32 v3, 1.0, v3
	v_div_scale_f32 v4, null, v3, v3, v2
	v_rcp_f32_e32 v5, v4
	v_fma_f32 v6, -v4, v5, 1.0
	v_fmac_f32_e32 v5, v6, v5
	v_div_scale_f32 v6, vcc_lo, v2, v3, v2
	v_mul_f32_e32 v7, v6, v5
	v_fma_f32 v8, -v4, v7, v6
	v_fmac_f32_e32 v7, v8, v5
	v_fma_f32 v4, -v4, v7, v6
	v_div_fmas_f32 v4, v4, v5, v7
	v_div_fixup_f32 v3, v4, v3, v2
	v_mul_f32_e32 v3, v1, v3
.LBB3_32:
	s_branch .LBB3_34
.LBB3_33:
	s_cmp_lg_u32 s2, 1
	s_mov_b32 s0, -1
	s_cselect_b32 s1, -1, 0
.LBB3_34:
	s_andn2_b32 vcc_lo, exec_lo, s1
	s_cbranch_vccz .LBB3_36
; %bb.35:
	s_andn2_b32 vcc_lo, exec_lo, s0
	s_cbranch_vccz .LBB3_37
	s_branch .LBB3_42
.LBB3_36:
	v_mul_f32_e32 v3, v2, v1
	s_cbranch_execnz .LBB3_42
.LBB3_37:
	v_mul_f32_e32 v3, 0x3d372713, v2
	v_mul_f32_e32 v4, 0x3f4c422a, v2
	v_fma_f32 v3, v2, v3, 1.0
	v_mul_f32_e32 v3, v4, v3
                                        ; implicit-def: $vgpr4
	v_cmp_ngt_f32_e64 s0, 0x3f200000, |v3|
	s_and_saveexec_b32 s1, s0
	s_xor_b32 s0, exec_lo, s1
	s_cbranch_execz .LBB3_39
; %bb.38:
	v_add_f32_e64 v4, |v3|, |v3|
	v_mul_f32_e32 v5, 0x3fb8aa3b, v4
	v_cmp_ngt_f32_e32 vcc_lo, 0xc2ce8ed0, v4
	v_rndne_f32_e32 v6, v5
	v_fma_f32 v7, 0x3fb8aa3b, v4, -v5
	v_sub_f32_e32 v5, v5, v6
	v_fmamk_f32 v7, v4, 0x32a5705f, v7
	v_cvt_i32_f32_e32 v6, v6
	v_add_f32_e32 v5, v5, v7
	v_exp_f32_e32 v5, v5
	v_ldexp_f32 v5, v5, v6
	v_cndmask_b32_e32 v5, 0, v5, vcc_lo
	v_cmp_nlt_f32_e32 vcc_lo, 0x42b17218, v4
	v_cndmask_b32_e32 v4, 0x7f800000, v5, vcc_lo
	v_add_f32_e32 v4, 1.0, v4
	v_rcp_f32_e32 v4, v4
	v_fma_f32 v4, v4, -2.0, 1.0
.LBB3_39:
	s_andn2_saveexec_b32 s0, s0
	s_cbranch_execz .LBB3_41
; %bb.40:
	v_mul_f32_e32 v4, v3, v3
	s_mov_b32 s1, 0xbbbac73d
	v_fmaak_f32 v5, s1, v4, 0x3ca908c9
	v_fmaak_f32 v5, v4, v5, 0xbd5c1c4e
	;; [unrolled: 1-line block ×4, first 2 shown]
	v_mul_f32_e64 v5, |v3|, v5
	v_fma_f32 v4, v4, v5, |v3|
.LBB3_41:
	s_or_b32 exec_lo, exec_lo, s0
	v_bfi_b32 v3, 0x7fffffff, v4, v3
	v_mul_f32_e32 v2, 0.5, v2
	v_add_f32_e32 v3, 1.0, v3
	v_mul_f32_e32 v2, v2, v3
	v_mul_f32_e32 v3, v1, v2
.LBB3_42:
	v_mov_b32_e32 v1, v3
.LBB3_43:
	s_load_dwordx2 s[0:1], s[4:5], 0x38
	s_mul_i32 s2, s22, s10
	s_mul_i32 s3, s26, s8
	s_add_i32 s2, s2, s6
	v_lshlrev_b32_e32 v0, 2, v0
	s_add_i32 s2, s2, s3
	s_mov_b32 s3, 0
	s_lshl_b64 s[2:3], s[2:3], 2
	s_waitcnt lgkmcnt(0)
	s_add_u32 s0, s0, s2
	s_addc_u32 s1, s1, s3
	global_store_dword v0, v1, s[0:1]
.LBB3_44:
	s_endpgm
	.section	.rodata,"a",@progbits
	.p2align	6, 0x0
	.amdhsa_kernel _ZL13mul_mat_vec_qIL9ggml_type41ELi1ELb1ELb0EEvPKvS2_PKi31ggml_cuda_mm_fusion_args_devicePfj15HIP_vector_typeIjLj3EEjjjS8_jjjS8_jjjj
		.amdhsa_group_segment_fixed_size 0
		.amdhsa_private_segment_fixed_size 0
		.amdhsa_kernarg_size 144
		.amdhsa_user_sgpr_count 6
		.amdhsa_user_sgpr_private_segment_buffer 1
		.amdhsa_user_sgpr_dispatch_ptr 0
		.amdhsa_user_sgpr_queue_ptr 0
		.amdhsa_user_sgpr_kernarg_segment_ptr 1
		.amdhsa_user_sgpr_dispatch_id 0
		.amdhsa_user_sgpr_flat_scratch_init 0
		.amdhsa_user_sgpr_private_segment_size 0
		.amdhsa_wavefront_size32 1
		.amdhsa_uses_dynamic_stack 0
		.amdhsa_system_sgpr_private_segment_wavefront_offset 0
		.amdhsa_system_sgpr_workgroup_id_x 1
		.amdhsa_system_sgpr_workgroup_id_y 1
		.amdhsa_system_sgpr_workgroup_id_z 1
		.amdhsa_system_sgpr_workgroup_info 0
		.amdhsa_system_vgpr_workitem_id 1
		.amdhsa_next_free_vgpr 57
		.amdhsa_next_free_sgpr 40
		.amdhsa_reserve_vcc 1
		.amdhsa_reserve_flat_scratch 0
		.amdhsa_float_round_mode_32 0
		.amdhsa_float_round_mode_16_64 0
		.amdhsa_float_denorm_mode_32 3
		.amdhsa_float_denorm_mode_16_64 3
		.amdhsa_dx10_clamp 1
		.amdhsa_ieee_mode 1
		.amdhsa_fp16_overflow 0
		.amdhsa_workgroup_processor_mode 1
		.amdhsa_memory_ordered 1
		.amdhsa_forward_progress 1
		.amdhsa_shared_vgpr_count 0
		.amdhsa_exception_fp_ieee_invalid_op 0
		.amdhsa_exception_fp_denorm_src 0
		.amdhsa_exception_fp_ieee_div_zero 0
		.amdhsa_exception_fp_ieee_overflow 0
		.amdhsa_exception_fp_ieee_underflow 0
		.amdhsa_exception_fp_ieee_inexact 0
		.amdhsa_exception_int_div_zero 0
	.end_amdhsa_kernel
	.section	.text._ZL13mul_mat_vec_qIL9ggml_type41ELi1ELb1ELb0EEvPKvS2_PKi31ggml_cuda_mm_fusion_args_devicePfj15HIP_vector_typeIjLj3EEjjjS8_jjjS8_jjjj,"axG",@progbits,_ZL13mul_mat_vec_qIL9ggml_type41ELi1ELb1ELb0EEvPKvS2_PKi31ggml_cuda_mm_fusion_args_devicePfj15HIP_vector_typeIjLj3EEjjjS8_jjjS8_jjjj,comdat
.Lfunc_end3:
	.size	_ZL13mul_mat_vec_qIL9ggml_type41ELi1ELb1ELb0EEvPKvS2_PKi31ggml_cuda_mm_fusion_args_devicePfj15HIP_vector_typeIjLj3EEjjjS8_jjjS8_jjjj, .Lfunc_end3-_ZL13mul_mat_vec_qIL9ggml_type41ELi1ELb1ELb0EEvPKvS2_PKi31ggml_cuda_mm_fusion_args_devicePfj15HIP_vector_typeIjLj3EEjjjS8_jjjS8_jjjj
                                        ; -- End function
	.set _ZL13mul_mat_vec_qIL9ggml_type41ELi1ELb1ELb0EEvPKvS2_PKi31ggml_cuda_mm_fusion_args_devicePfj15HIP_vector_typeIjLj3EEjjjS8_jjjS8_jjjj.num_vgpr, 57
	.set _ZL13mul_mat_vec_qIL9ggml_type41ELi1ELb1ELb0EEvPKvS2_PKi31ggml_cuda_mm_fusion_args_devicePfj15HIP_vector_typeIjLj3EEjjjS8_jjjS8_jjjj.num_agpr, 0
	.set _ZL13mul_mat_vec_qIL9ggml_type41ELi1ELb1ELb0EEvPKvS2_PKi31ggml_cuda_mm_fusion_args_devicePfj15HIP_vector_typeIjLj3EEjjjS8_jjjS8_jjjj.numbered_sgpr, 40
	.set _ZL13mul_mat_vec_qIL9ggml_type41ELi1ELb1ELb0EEvPKvS2_PKi31ggml_cuda_mm_fusion_args_devicePfj15HIP_vector_typeIjLj3EEjjjS8_jjjS8_jjjj.num_named_barrier, 0
	.set _ZL13mul_mat_vec_qIL9ggml_type41ELi1ELb1ELb0EEvPKvS2_PKi31ggml_cuda_mm_fusion_args_devicePfj15HIP_vector_typeIjLj3EEjjjS8_jjjS8_jjjj.private_seg_size, 0
	.set _ZL13mul_mat_vec_qIL9ggml_type41ELi1ELb1ELb0EEvPKvS2_PKi31ggml_cuda_mm_fusion_args_devicePfj15HIP_vector_typeIjLj3EEjjjS8_jjjS8_jjjj.uses_vcc, 1
	.set _ZL13mul_mat_vec_qIL9ggml_type41ELi1ELb1ELb0EEvPKvS2_PKi31ggml_cuda_mm_fusion_args_devicePfj15HIP_vector_typeIjLj3EEjjjS8_jjjS8_jjjj.uses_flat_scratch, 0
	.set _ZL13mul_mat_vec_qIL9ggml_type41ELi1ELb1ELb0EEvPKvS2_PKi31ggml_cuda_mm_fusion_args_devicePfj15HIP_vector_typeIjLj3EEjjjS8_jjjS8_jjjj.has_dyn_sized_stack, 0
	.set _ZL13mul_mat_vec_qIL9ggml_type41ELi1ELb1ELb0EEvPKvS2_PKi31ggml_cuda_mm_fusion_args_devicePfj15HIP_vector_typeIjLj3EEjjjS8_jjjS8_jjjj.has_recursion, 0
	.set _ZL13mul_mat_vec_qIL9ggml_type41ELi1ELb1ELb0EEvPKvS2_PKi31ggml_cuda_mm_fusion_args_devicePfj15HIP_vector_typeIjLj3EEjjjS8_jjjS8_jjjj.has_indirect_call, 0
	.section	.AMDGPU.csdata,"",@progbits
; Kernel info:
; codeLenInByte = 3568
; TotalNumSgprs: 42
; NumVgprs: 57
; ScratchSize: 0
; MemoryBound: 0
; FloatMode: 240
; IeeeMode: 1
; LDSByteSize: 0 bytes/workgroup (compile time only)
; SGPRBlocks: 0
; VGPRBlocks: 7
; NumSGPRsForWavesPerEU: 42
; NumVGPRsForWavesPerEU: 57
; Occupancy: 16
; WaveLimiterHint : 0
; COMPUTE_PGM_RSRC2:SCRATCH_EN: 0
; COMPUTE_PGM_RSRC2:USER_SGPR: 6
; COMPUTE_PGM_RSRC2:TRAP_HANDLER: 0
; COMPUTE_PGM_RSRC2:TGID_X_EN: 1
; COMPUTE_PGM_RSRC2:TGID_Y_EN: 1
; COMPUTE_PGM_RSRC2:TGID_Z_EN: 1
; COMPUTE_PGM_RSRC2:TIDIG_COMP_CNT: 1
	.section	.text._ZL13mul_mat_vec_qIL9ggml_type41ELi1ELb0ELb0EEvPKvS2_PKi31ggml_cuda_mm_fusion_args_devicePfj15HIP_vector_typeIjLj3EEjjjS8_jjjS8_jjjj,"axG",@progbits,_ZL13mul_mat_vec_qIL9ggml_type41ELi1ELb0ELb0EEvPKvS2_PKi31ggml_cuda_mm_fusion_args_devicePfj15HIP_vector_typeIjLj3EEjjjS8_jjjS8_jjjj,comdat
	.globl	_ZL13mul_mat_vec_qIL9ggml_type41ELi1ELb0ELb0EEvPKvS2_PKi31ggml_cuda_mm_fusion_args_devicePfj15HIP_vector_typeIjLj3EEjjjS8_jjjS8_jjjj ; -- Begin function _ZL13mul_mat_vec_qIL9ggml_type41ELi1ELb0ELb0EEvPKvS2_PKi31ggml_cuda_mm_fusion_args_devicePfj15HIP_vector_typeIjLj3EEjjjS8_jjjS8_jjjj
	.p2align	8
	.type	_ZL13mul_mat_vec_qIL9ggml_type41ELi1ELb0ELb0EEvPKvS2_PKi31ggml_cuda_mm_fusion_args_devicePfj15HIP_vector_typeIjLj3EEjjjS8_jjjS8_jjjj,@function
_ZL13mul_mat_vec_qIL9ggml_type41ELi1ELb0ELb0EEvPKvS2_PKi31ggml_cuda_mm_fusion_args_devicePfj15HIP_vector_typeIjLj3EEjjjS8_jjjS8_jjjj: ; @_ZL13mul_mat_vec_qIL9ggml_type41ELi1ELb0ELb0EEvPKvS2_PKi31ggml_cuda_mm_fusion_args_devicePfj15HIP_vector_typeIjLj3EEjjjS8_jjjS8_jjjj
; %bb.0:
	s_clause 0x1
	s_load_dwordx2 s[0:1], s[4:5], 0x10
	s_load_dwordx4 s[16:19], s[4:5], 0x40
	s_mov_b32 s10, s7
	s_waitcnt lgkmcnt(0)
	s_cmp_lg_u64 s[0:1], 0
	s_cselect_b32 s7, -1, 0
	s_cmp_eq_u64 s[0:1], 0
	s_cbranch_scc1 .LBB4_5
; %bb.1:
	s_mov_b32 s11, 0
	s_lshl_b64 s[2:3], s[10:11], 2
	s_add_u32 s0, s0, s2
	s_addc_u32 s1, s1, s3
	s_load_dword s20, s[0:1], 0x0
	s_clause 0x1
	s_load_dwordx4 s[0:3], s[4:5], 0x68
	s_load_dword s21, s[4:5], 0x50
	s_cbranch_execnz .LBB4_3
.LBB4_2:
	s_load_dwordx2 s[12:13], s[4:5], 0x5c
	s_waitcnt lgkmcnt(0)
	s_mul_hi_u32 s9, s12, s10
	s_add_i32 s9, s10, s9
	s_lshr_b32 s20, s9, s13
.LBB4_3:
	s_load_dword s11, s[4:5], 0x78
	s_andn2_b32 vcc_lo, exec_lo, s7
	s_cbranch_vccnz .LBB4_6
; %bb.4:
	s_mul_hi_u32 s7, s17, s10
	s_add_i32 s7, s10, s7
	s_lshr_b32 s7, s7, s18
	s_mul_i32 s7, s7, s19
	s_sub_i32 s17, s10, s7
	s_branch .LBB4_7
.LBB4_5:
                                        ; implicit-def: $sgpr20
	s_clause 0x1
	s_load_dwordx4 s[0:3], s[4:5], 0x68
	s_load_dword s21, s[4:5], 0x50
	s_branch .LBB4_2
.LBB4_6:
	s_mov_b32 s17, s10
.LBB4_7:
	s_load_dwordx4 s[12:15], s[4:5], 0x80
	v_lshl_or_b32 v2, v1, 5, v0
	v_mov_b32_e32 v4, 0
	s_lshr_b32 s9, s16, 7
	s_mov_b32 s7, exec_lo
	v_lshrrev_b32_e32 v5, 2, v2
	v_cmpx_gt_u32_e64 s9, v5
	s_cbranch_execz .LBB4_11
; %bb.8:
	v_lshrrev_b32_e32 v2, 2, v2
	s_waitcnt lgkmcnt(0)
	s_mul_i32 s1, s17, s1
	v_and_b32_e32 v7, 3, v0
	s_mul_hi_u32 s17, s1, 36
	s_mul_i32 s16, s1, 36
	s_mul_i32 s1, s13, s8
	v_mad_u64_u32 v[2:3], null, 0x90, v2, s[16:17]
	s_load_dwordx4 s[16:19], s[4:5], 0x0
	s_mul_i32 s21, s21, s6
	v_mov_b32_e32 v4, 0
	v_mov_b32_e32 v6, 0xff0000
	;; [unrolled: 1-line block ×3, first 2 shown]
	s_mul_i32 s0, s20, s0
	v_mad_u64_u32 v[2:3], null, s1, 36, v[2:3]
	s_mul_hi_u32 s1, s3, s8
	s_add_i32 s1, s8, s1
	s_lshr_b32 s1, s1, s11
	v_mad_u64_u32 v[2:3], null, v7, 36, v[2:3]
	s_mul_i32 s1, s1, s12
	v_lshlrev_b32_e32 v7, 2, v7
	s_add_i32 s1, s1, s21
	s_add_i32 s3, s0, s1
	s_mov_b32 s1, 0
	s_waitcnt lgkmcnt(0)
	v_add_co_u32 v2, vcc_lo, s18, v2
	v_add_co_ci_u32_e64 v3, null, s19, v3, vcc_lo
	v_add_co_u32 v2, vcc_lo, v2, 32
	v_add_co_ci_u32_e64 v3, null, 0, v3, vcc_lo
.LBB4_9:                                ; =>This Inner Loop Header: Depth=1
	v_add_nc_u32_e32 v9, s3, v5
	v_mov_b32_e32 v20, 0
	v_add_nc_u32_e32 v5, 8, v5
	v_mad_i64_i32 v[9:10], null, v9, 18, s[16:17]
	v_cmp_le_u32_e64 s0, s9, v5
	s_or_b32 s1, s0, s1
	v_add_co_u32 v11, vcc_lo, v9, v7
	v_add_co_ci_u32_e64 v12, null, 0, v10, vcc_lo
	s_clause 0x1
	global_load_ushort v17, v[9:10], off
	global_load_dword v18, v[11:12], off offset:2
	s_clause 0x2
	global_load_dwordx4 v[9:12], v[2:3], off offset:-32
	global_load_dwordx4 v[13:16], v[2:3], off offset:-16
	global_load_dword v19, v[2:3], off
	s_waitcnt vmcnt(3)
	v_and_b32_e32 v21, 1, v18
	v_and_b32_e32 v22, 4, v18
	;; [unrolled: 1-line block ×5, first 2 shown]
	v_cmp_eq_u32_e32 vcc_lo, 0, v21
	v_and_b32_e32 v27, 0x80, v18
	v_and_b32_e32 v29, 0x100, v18
	;; [unrolled: 1-line block ×4, first 2 shown]
	v_cndmask_b32_e64 v21, 1, 0xff, vcc_lo
	v_cmp_eq_u32_e32 vcc_lo, 0, v22
	v_and_b32_e32 v32, 0x1000, v18
	v_and_b32_e32 v33, 0x4000, v18
	;; [unrolled: 1-line block ×4, first 2 shown]
	v_cndmask_b32_e32 v22, 0x10000, v6, vcc_lo
	v_cmp_eq_u32_e32 vcc_lo, 0, v23
	v_and_b32_e32 v37, 0x40000, v18
	v_and_b32_e32 v38, 0x80000, v18
	;; [unrolled: 1-line block ×3, first 2 shown]
	v_lshlrev_b32_e32 v24, 8, v18
	v_cndmask_b32_e32 v23, 0x1000000, v8, vcc_lo
	v_cmp_eq_u32_e32 vcc_lo, 0, v25
	v_and_b32_e32 v41, 0x400000, v18
	v_lshlrev_b32_e32 v28, 4, v18
	v_and_b32_e32 v42, 0x800000, v18
	v_and_or_b32 v21, 0x200, v24, v21
	v_cndmask_b32_e64 v25, 1, 0xff, vcc_lo
	v_cmp_eq_u32_e32 vcc_lo, 0, v26
	v_and_b32_e32 v44, 0x1000000, v18
	v_lshrrev_b32_e32 v35, 4, v18
	v_add_nc_u32_e32 v21, 0xff00, v21
	v_and_or_b32 v25, 0x200, v28, v25
	v_cndmask_b32_e32 v26, 0x10000, v6, vcc_lo
	v_cmp_eq_u32_e32 vcc_lo, 0, v27
	v_lshrrev_b32_e32 v39, 8, v18
	v_lshrrev_b32_e32 v43, 12, v18
	v_and_b32_e32 v45, 0x4000000, v18
	v_and_b32_e32 v46, 0x8000000, v18
	v_cndmask_b32_e32 v27, 0x1000000, v8, vcc_lo
	v_cmp_eq_u32_e32 vcc_lo, 0, v29
	v_lshrrev_b32_e32 v47, 16, v18
	v_ashrrev_i32_e32 v48, 28, v18
	v_and_b32_e32 v49, 0x10000000, v18
	v_and_b32_e32 v50, 2.0, v18
	v_cndmask_b32_e64 v29, 1, 0xff, vcc_lo
	v_cmp_eq_u32_e32 vcc_lo, 0, v30
	v_add_nc_u32_e32 v25, 0xff00, v25
	v_or3_b32 v21, v23, v22, v21
	v_and_b32_e32 v24, 8, v48
	v_and_or_b32 v18, 0x200, v18, v29
	v_cndmask_b32_e32 v30, 0x10000, v6, vcc_lo
	v_cmp_eq_u32_e32 vcc_lo, 0, v31
	v_or3_b32 v23, v27, v26, v25
	s_waitcnt vmcnt(2)
	v_dot4c_i32_i8 v20, v21, v10
	v_add_nc_u32_e32 v18, 0xff00, v18
	v_lshlrev_b32_e32 v48, 8, v48
	v_cndmask_b32_e32 v31, 0x1000000, v8, vcc_lo
	v_cmp_eq_u32_e32 vcc_lo, 0, v32
	v_dot4c_i32_i8 v20, v23, v11
	v_cvt_f32_f16_e32 v9, v9
	v_or3_b32 v18, v31, v30, v18
	v_cndmask_b32_e64 v32, 1, 0xff, vcc_lo
	v_cmp_eq_u32_e32 vcc_lo, 0, v33
	v_dot4c_i32_i8 v20, v18, v12
	v_and_or_b32 v28, 0x200, v35, v32
	v_cndmask_b32_e32 v33, 0x10000, v6, vcc_lo
	v_cmp_eq_u32_e32 vcc_lo, 0, v34
	v_add_nc_u32_e32 v21, 0xff00, v28
	v_cndmask_b32_e32 v34, 0x1000000, v8, vcc_lo
	v_cmp_eq_u32_e32 vcc_lo, 0, v36
	v_or3_b32 v21, v34, v33, v21
	v_cndmask_b32_e64 v36, 1, 0xff, vcc_lo
	v_cmp_eq_u32_e32 vcc_lo, 0, v37
	s_waitcnt vmcnt(1)
	v_dot4c_i32_i8 v20, v21, v13
	v_and_or_b32 v22, 0x200, v39, v36
	v_cndmask_b32_e32 v37, 0x10000, v6, vcc_lo
	v_cmp_eq_u32_e32 vcc_lo, 0, v38
	v_add_nc_u32_e32 v22, 0xff00, v22
	v_cndmask_b32_e32 v38, 0x1000000, v8, vcc_lo
	v_cmp_eq_u32_e32 vcc_lo, 0, v40
	v_or3_b32 v12, v38, v37, v22
	v_cndmask_b32_e64 v40, 1, 0xff, vcc_lo
	v_cmp_eq_u32_e32 vcc_lo, 0, v41
	v_dot4c_i32_i8 v20, v12, v14
	v_and_or_b32 v10, 0x200, v43, v40
	v_cndmask_b32_e32 v41, 0x10000, v6, vcc_lo
	v_cmp_eq_u32_e32 vcc_lo, 0, v42
	v_add_nc_u32_e32 v10, 0xff00, v10
	v_cndmask_b32_e32 v42, 0x1000000, v8, vcc_lo
	v_cmp_eq_u32_e32 vcc_lo, 0, v44
	v_or3_b32 v10, v42, v41, v10
	v_cndmask_b32_e64 v44, 1, 0xff, vcc_lo
	v_cmp_eq_u32_e32 vcc_lo, 0, v45
	;; [unrolled: 10-line block ×3, first 2 shown]
	v_dot4c_i32_i8 v20, v11, v16
	v_and_or_b32 v13, 0x200, v48, v49
	v_cndmask_b32_e32 v50, 0x10000, v6, vcc_lo
	v_cmp_eq_u32_e32 vcc_lo, 0, v24
	v_cvt_f32_f16_e32 v11, v17
	v_add_nc_u32_e32 v13, 0xff00, v13
	v_cndmask_b32_e32 v12, 0x1000000, v8, vcc_lo
	v_mul_f32_e32 v9, v11, v9
	v_add_co_u32 v2, vcc_lo, 0x480, v2
	v_add_co_ci_u32_e64 v3, null, 0, v3, vcc_lo
	v_or3_b32 v10, v12, v50, v13
	s_waitcnt vmcnt(0)
	v_dot4c_i32_i8 v20, v10, v19
	v_cvt_f32_i32_e32 v10, v20
	v_fmac_f32_e32 v4, v9, v10
	s_andn2_b32 exec_lo, exec_lo, s1
	s_cbranch_execnz .LBB4_9
; %bb.10:
	s_or_b32 exec_lo, exec_lo, s1
.LBB4_11:
	s_or_b32 exec_lo, exec_lo, s7
	s_waitcnt lgkmcnt(0)
	; wave barrier
	buffer_gl0_inv
	s_mov_b32 s0, exec_lo
	v_cmpx_eq_u32_e32 0, v1
	s_cbranch_execz .LBB4_14
; %bb.12:
	v_mbcnt_lo_u32_b32 v1, -1, 0
	v_xor_b32_e32 v2, 16, v1
	v_xor_b32_e32 v3, 8, v1
	v_cmp_gt_i32_e32 vcc_lo, 32, v2
	v_cndmask_b32_e32 v2, v1, v2, vcc_lo
	v_cmp_gt_i32_e32 vcc_lo, 32, v3
	v_lshlrev_b32_e32 v2, 2, v2
	v_cndmask_b32_e32 v3, v1, v3, vcc_lo
	ds_bpermute_b32 v2, v2, v4
	v_lshlrev_b32_e32 v3, 2, v3
	s_waitcnt lgkmcnt(0)
	v_add_f32_e32 v2, v4, v2
	v_xor_b32_e32 v4, 4, v1
	ds_bpermute_b32 v3, v3, v2
	v_cmp_gt_i32_e32 vcc_lo, 32, v4
	v_cndmask_b32_e32 v4, v1, v4, vcc_lo
	v_lshlrev_b32_e32 v4, 2, v4
	s_waitcnt lgkmcnt(0)
	v_add_f32_e32 v2, v2, v3
	ds_bpermute_b32 v3, v4, v2
	v_xor_b32_e32 v4, 2, v1
	v_cmp_gt_i32_e32 vcc_lo, 32, v4
	v_cndmask_b32_e32 v4, v1, v4, vcc_lo
	v_lshlrev_b32_e32 v4, 2, v4
	s_waitcnt lgkmcnt(0)
	v_add_f32_e32 v2, v2, v3
	ds_bpermute_b32 v3, v4, v2
	v_xor_b32_e32 v4, 1, v1
	v_cmp_gt_i32_e32 vcc_lo, 32, v4
	v_cndmask_b32_e32 v1, v1, v4, vcc_lo
	v_cmp_eq_u32_e32 vcc_lo, 0, v0
	v_lshlrev_b32_e32 v4, 2, v1
	s_waitcnt lgkmcnt(0)
	v_add_f32_e32 v1, v2, v3
	ds_bpermute_b32 v2, v4, v1
	s_and_b32 exec_lo, exec_lo, vcc_lo
	s_cbranch_execz .LBB4_14
; %bb.13:
	s_load_dwordx2 s[0:1], s[4:5], 0x38
	s_mul_i32 s2, s2, s10
	s_mul_i32 s3, s14, s8
	s_add_i32 s2, s2, s6
	s_waitcnt lgkmcnt(0)
	v_add_f32_e32 v0, v1, v2
	s_add_i32 s2, s2, s3
	s_mov_b32 s3, 0
	v_mov_b32_e32 v1, 0
	s_lshl_b64 s[2:3], s[2:3], 2
	s_add_u32 s0, s0, s2
	s_addc_u32 s1, s1, s3
	global_store_dword v1, v0, s[0:1]
.LBB4_14:
	s_endpgm
	.section	.rodata,"a",@progbits
	.p2align	6, 0x0
	.amdhsa_kernel _ZL13mul_mat_vec_qIL9ggml_type41ELi1ELb0ELb0EEvPKvS2_PKi31ggml_cuda_mm_fusion_args_devicePfj15HIP_vector_typeIjLj3EEjjjS8_jjjS8_jjjj
		.amdhsa_group_segment_fixed_size 0
		.amdhsa_private_segment_fixed_size 0
		.amdhsa_kernarg_size 144
		.amdhsa_user_sgpr_count 6
		.amdhsa_user_sgpr_private_segment_buffer 1
		.amdhsa_user_sgpr_dispatch_ptr 0
		.amdhsa_user_sgpr_queue_ptr 0
		.amdhsa_user_sgpr_kernarg_segment_ptr 1
		.amdhsa_user_sgpr_dispatch_id 0
		.amdhsa_user_sgpr_flat_scratch_init 0
		.amdhsa_user_sgpr_private_segment_size 0
		.amdhsa_wavefront_size32 1
		.amdhsa_uses_dynamic_stack 0
		.amdhsa_system_sgpr_private_segment_wavefront_offset 0
		.amdhsa_system_sgpr_workgroup_id_x 1
		.amdhsa_system_sgpr_workgroup_id_y 1
		.amdhsa_system_sgpr_workgroup_id_z 1
		.amdhsa_system_sgpr_workgroup_info 0
		.amdhsa_system_vgpr_workitem_id 1
		.amdhsa_next_free_vgpr 51
		.amdhsa_next_free_sgpr 22
		.amdhsa_reserve_vcc 1
		.amdhsa_reserve_flat_scratch 0
		.amdhsa_float_round_mode_32 0
		.amdhsa_float_round_mode_16_64 0
		.amdhsa_float_denorm_mode_32 3
		.amdhsa_float_denorm_mode_16_64 3
		.amdhsa_dx10_clamp 1
		.amdhsa_ieee_mode 1
		.amdhsa_fp16_overflow 0
		.amdhsa_workgroup_processor_mode 1
		.amdhsa_memory_ordered 1
		.amdhsa_forward_progress 1
		.amdhsa_shared_vgpr_count 0
		.amdhsa_exception_fp_ieee_invalid_op 0
		.amdhsa_exception_fp_denorm_src 0
		.amdhsa_exception_fp_ieee_div_zero 0
		.amdhsa_exception_fp_ieee_overflow 0
		.amdhsa_exception_fp_ieee_underflow 0
		.amdhsa_exception_fp_ieee_inexact 0
		.amdhsa_exception_int_div_zero 0
	.end_amdhsa_kernel
	.section	.text._ZL13mul_mat_vec_qIL9ggml_type41ELi1ELb0ELb0EEvPKvS2_PKi31ggml_cuda_mm_fusion_args_devicePfj15HIP_vector_typeIjLj3EEjjjS8_jjjS8_jjjj,"axG",@progbits,_ZL13mul_mat_vec_qIL9ggml_type41ELi1ELb0ELb0EEvPKvS2_PKi31ggml_cuda_mm_fusion_args_devicePfj15HIP_vector_typeIjLj3EEjjjS8_jjjS8_jjjj,comdat
.Lfunc_end4:
	.size	_ZL13mul_mat_vec_qIL9ggml_type41ELi1ELb0ELb0EEvPKvS2_PKi31ggml_cuda_mm_fusion_args_devicePfj15HIP_vector_typeIjLj3EEjjjS8_jjjS8_jjjj, .Lfunc_end4-_ZL13mul_mat_vec_qIL9ggml_type41ELi1ELb0ELb0EEvPKvS2_PKi31ggml_cuda_mm_fusion_args_devicePfj15HIP_vector_typeIjLj3EEjjjS8_jjjS8_jjjj
                                        ; -- End function
	.set _ZL13mul_mat_vec_qIL9ggml_type41ELi1ELb0ELb0EEvPKvS2_PKi31ggml_cuda_mm_fusion_args_devicePfj15HIP_vector_typeIjLj3EEjjjS8_jjjS8_jjjj.num_vgpr, 51
	.set _ZL13mul_mat_vec_qIL9ggml_type41ELi1ELb0ELb0EEvPKvS2_PKi31ggml_cuda_mm_fusion_args_devicePfj15HIP_vector_typeIjLj3EEjjjS8_jjjS8_jjjj.num_agpr, 0
	.set _ZL13mul_mat_vec_qIL9ggml_type41ELi1ELb0ELb0EEvPKvS2_PKi31ggml_cuda_mm_fusion_args_devicePfj15HIP_vector_typeIjLj3EEjjjS8_jjjS8_jjjj.numbered_sgpr, 22
	.set _ZL13mul_mat_vec_qIL9ggml_type41ELi1ELb0ELb0EEvPKvS2_PKi31ggml_cuda_mm_fusion_args_devicePfj15HIP_vector_typeIjLj3EEjjjS8_jjjS8_jjjj.num_named_barrier, 0
	.set _ZL13mul_mat_vec_qIL9ggml_type41ELi1ELb0ELb0EEvPKvS2_PKi31ggml_cuda_mm_fusion_args_devicePfj15HIP_vector_typeIjLj3EEjjjS8_jjjS8_jjjj.private_seg_size, 0
	.set _ZL13mul_mat_vec_qIL9ggml_type41ELi1ELb0ELb0EEvPKvS2_PKi31ggml_cuda_mm_fusion_args_devicePfj15HIP_vector_typeIjLj3EEjjjS8_jjjS8_jjjj.uses_vcc, 1
	.set _ZL13mul_mat_vec_qIL9ggml_type41ELi1ELb0ELb0EEvPKvS2_PKi31ggml_cuda_mm_fusion_args_devicePfj15HIP_vector_typeIjLj3EEjjjS8_jjjS8_jjjj.uses_flat_scratch, 0
	.set _ZL13mul_mat_vec_qIL9ggml_type41ELi1ELb0ELb0EEvPKvS2_PKi31ggml_cuda_mm_fusion_args_devicePfj15HIP_vector_typeIjLj3EEjjjS8_jjjS8_jjjj.has_dyn_sized_stack, 0
	.set _ZL13mul_mat_vec_qIL9ggml_type41ELi1ELb0ELb0EEvPKvS2_PKi31ggml_cuda_mm_fusion_args_devicePfj15HIP_vector_typeIjLj3EEjjjS8_jjjS8_jjjj.has_recursion, 0
	.set _ZL13mul_mat_vec_qIL9ggml_type41ELi1ELb0ELb0EEvPKvS2_PKi31ggml_cuda_mm_fusion_args_devicePfj15HIP_vector_typeIjLj3EEjjjS8_jjjS8_jjjj.has_indirect_call, 0
	.section	.AMDGPU.csdata,"",@progbits
; Kernel info:
; codeLenInByte = 1588
; TotalNumSgprs: 24
; NumVgprs: 51
; ScratchSize: 0
; MemoryBound: 0
; FloatMode: 240
; IeeeMode: 1
; LDSByteSize: 0 bytes/workgroup (compile time only)
; SGPRBlocks: 0
; VGPRBlocks: 6
; NumSGPRsForWavesPerEU: 24
; NumVGPRsForWavesPerEU: 51
; Occupancy: 16
; WaveLimiterHint : 0
; COMPUTE_PGM_RSRC2:SCRATCH_EN: 0
; COMPUTE_PGM_RSRC2:USER_SGPR: 6
; COMPUTE_PGM_RSRC2:TRAP_HANDLER: 0
; COMPUTE_PGM_RSRC2:TGID_X_EN: 1
; COMPUTE_PGM_RSRC2:TGID_Y_EN: 1
; COMPUTE_PGM_RSRC2:TGID_Z_EN: 1
; COMPUTE_PGM_RSRC2:TIDIG_COMP_CNT: 1
	.section	.text._ZL13mul_mat_vec_qIL9ggml_type41ELi2ELb0ELb0EEvPKvS2_PKi31ggml_cuda_mm_fusion_args_devicePfj15HIP_vector_typeIjLj3EEjjjS8_jjjS8_jjjj,"axG",@progbits,_ZL13mul_mat_vec_qIL9ggml_type41ELi2ELb0ELb0EEvPKvS2_PKi31ggml_cuda_mm_fusion_args_devicePfj15HIP_vector_typeIjLj3EEjjjS8_jjjS8_jjjj,comdat
	.globl	_ZL13mul_mat_vec_qIL9ggml_type41ELi2ELb0ELb0EEvPKvS2_PKi31ggml_cuda_mm_fusion_args_devicePfj15HIP_vector_typeIjLj3EEjjjS8_jjjS8_jjjj ; -- Begin function _ZL13mul_mat_vec_qIL9ggml_type41ELi2ELb0ELb0EEvPKvS2_PKi31ggml_cuda_mm_fusion_args_devicePfj15HIP_vector_typeIjLj3EEjjjS8_jjjS8_jjjj
	.p2align	8
	.type	_ZL13mul_mat_vec_qIL9ggml_type41ELi2ELb0ELb0EEvPKvS2_PKi31ggml_cuda_mm_fusion_args_devicePfj15HIP_vector_typeIjLj3EEjjjS8_jjjS8_jjjj,@function
_ZL13mul_mat_vec_qIL9ggml_type41ELi2ELb0ELb0EEvPKvS2_PKi31ggml_cuda_mm_fusion_args_devicePfj15HIP_vector_typeIjLj3EEjjjS8_jjjS8_jjjj: ; @_ZL13mul_mat_vec_qIL9ggml_type41ELi2ELb0ELb0EEvPKvS2_PKi31ggml_cuda_mm_fusion_args_devicePfj15HIP_vector_typeIjLj3EEjjjS8_jjjS8_jjjj
; %bb.0:
	s_clause 0x5
	s_load_dword s2, s[4:5], 0x40
	s_load_dwordx4 s[12:15], s[4:5], 0x50
	s_load_dword s0, s[4:5], 0x60
	s_load_dwordx4 s[16:19], s[4:5], 0x68
	s_load_dword s1, s[4:5], 0x78
	s_load_dwordx4 s[20:23], s[4:5], 0x80
	v_lshl_or_b32 v2, v1, 5, v0
	v_mov_b32_e32 v6, 0
	v_mov_b32_e32 v8, 0
	s_mov_b32 s3, exec_lo
	v_lshrrev_b32_e32 v7, 2, v2
	s_waitcnt lgkmcnt(0)
	s_lshr_b32 s9, s2, 7
	v_cmpx_gt_u32_e64 s9, v7
	s_cbranch_execz .LBB5_4
; %bb.1:
	s_mul_i32 s10, s17, s7
	s_mul_hi_u32 s2, s15, s7
	s_mul_hi_u32 s11, s10, 36
	s_mul_i32 s10, s10, 36
	s_add_i32 s2, s7, s2
	v_mad_u64_u32 v[2:3], null, 0x90, v7, s[10:11]
	s_load_dwordx4 s[24:27], s[4:5], 0x0
	s_lshr_b32 s0, s2, s0
	v_and_b32_e32 v8, 3, v0
	s_mul_i32 s2, s0, s16
	s_mul_i32 s0, s21, s8
	s_mul_hi_u32 s15, s19, s8
	v_mad_u64_u32 v[2:3], null, s0, 36, v[2:3]
	s_add_i32 s15, s8, s15
	s_mul_i32 s12, s12, s6
	s_lshr_b32 s1, s15, s1
	v_lshlrev_b32_e32 v9, 2, v8
	s_mul_i32 s15, s1, s20
	s_mul_hi_u32 s1, s0, 36
	v_mad_u64_u32 v[4:5], null, v8, 36, v[2:3]
	s_mul_i32 s0, s0, 36
	v_mov_b32_e32 v6, 0
	v_lshl_add_u32 v10, v7, 2, s13
	v_mov_b32_e32 v11, 0xff0000
	s_waitcnt lgkmcnt(0)
	s_add_u32 s0, s26, s0
	s_addc_u32 s1, s27, s1
	v_add_co_u32 v4, vcc_lo, s26, v4
	s_add_u32 s0, s0, s10
	s_addc_u32 s1, s1, s11
	v_add_co_ci_u32_e64 v5, null, s27, v5, vcc_lo
	v_mad_u64_u32 v[2:3], null, v8, 36, s[0:1]
	v_add_co_u32 v4, vcc_lo, v4, 32
	v_add_co_ci_u32_e64 v5, null, 0, v5, vcc_lo
	v_mov_b32_e32 v12, 0xff000000
	v_mov_b32_e32 v8, 0
	s_add_i32 s2, s2, s12
	s_mov_b32 s10, 0
	s_add_i32 s11, s15, s2
.LBB5_2:                                ; =>This Inner Loop Header: Depth=1
	v_add_nc_u32_e32 v13, s11, v7
	v_mad_u64_u32 v[29:30], null, v10, 36, v[2:3]
	v_mov_b32_e32 v34, 0
	v_add_nc_u32_e32 v7, 8, v7
	v_mad_i64_i32 v[13:14], null, v13, 18, s[24:25]
	v_add_nc_u32_e32 v10, 32, v10
	v_add_co_u32 v15, vcc_lo, v13, v9
	v_add_co_ci_u32_e64 v16, null, 0, v14, vcc_lo
	s_clause 0x1
	global_load_ushort v31, v[13:14], off
	global_load_dword v32, v[15:16], off offset:2
	global_load_dwordx4 v[13:16], v[4:5], off offset:-32
	global_load_dwordx4 v[17:20], v[29:30], off
	global_load_dwordx4 v[21:24], v[4:5], off offset:-16
	global_load_dwordx4 v[25:28], v[29:30], off offset:16
	global_load_dword v33, v[4:5], off
	global_load_dword v29, v[29:30], off offset:32
	v_mov_b32_e32 v30, 0
	s_waitcnt vmcnt(5)
	v_cvt_f32_f16_e32 v13, v13
	v_and_b32_e32 v35, 1, v32
	v_and_b32_e32 v36, 4, v32
	;; [unrolled: 1-line block ×5, first 2 shown]
	v_cmp_eq_u32_e64 s2, 0, v35
	v_and_b32_e32 v41, 0x80, v32
	v_and_b32_e32 v43, 0x100, v32
	v_and_b32_e32 v44, 0x400, v32
	v_and_b32_e32 v45, 0x800, v32
	v_cndmask_b32_e64 v35, 1, 0xff, s2
	v_cmp_eq_u32_e64 s2, 0, v36
	v_and_b32_e32 v46, 0x1000, v32
	v_and_b32_e32 v47, 0x4000, v32
	;; [unrolled: 1-line block ×4, first 2 shown]
	v_cndmask_b32_e64 v36, 0x10000, v11, s2
	v_cmp_eq_u32_e64 s2, 0, v37
	v_and_b32_e32 v51, 0x40000, v32
	v_lshlrev_b32_e32 v38, 8, v32
	v_and_b32_e32 v52, 0x80000, v32
	v_lshlrev_b32_e32 v42, 4, v32
	v_cndmask_b32_e64 v37, 0x1000000, v12, s2
	v_cmp_eq_u32_e64 s2, 0, v39
	v_and_b32_e32 v54, 0x100000, v32
	v_and_or_b32 v35, 0x200, v38, v35
	v_and_b32_e32 v55, 0x400000, v32
	v_and_b32_e32 v57, 0x8000000, v32
	v_cndmask_b32_e64 v39, 1, 0xff, s2
	v_cmp_eq_u32_e64 s2, 0, v40
	v_and_b32_e32 v59, 0x10000000, v32
	v_and_b32_e32 v61, 2.0, v32
	v_add_nc_u32_e32 v35, 0xff00, v35
	v_and_or_b32 v39, 0x200, v42, v39
	v_cndmask_b32_e64 v40, 0x10000, v11, s2
	v_cmp_eq_u32_e64 s2, 0, v41
	v_lshrrev_b32_e32 v49, 4, v32
	v_lshrrev_b32_e32 v53, 8, v32
	v_and_b32_e32 v56, 0x800000, v32
	v_lshrrev_b32_e32 v58, 12, v32
	v_cndmask_b32_e64 v41, 0x1000000, v12, s2
	v_cmp_eq_u32_e64 s2, 0, v43
	v_and_b32_e32 v60, 0x1000000, v32
	v_cmp_eq_u32_e32 vcc_lo, 0, v57
	v_and_b32_e32 v57, 0x4000000, v32
	v_cmp_eq_u32_e64 s0, 0, v59
	v_cndmask_b32_e64 v43, 1, 0xff, s2
	v_cmp_eq_u32_e64 s2, 0, v44
	v_lshrrev_b32_e32 v59, 16, v32
	v_cmp_eq_u32_e64 s1, 0, v61
	v_ashrrev_i32_e32 v61, 28, v32
	v_and_or_b32 v32, 0x200, v32, v43
	v_cndmask_b32_e64 v44, 0x10000, v11, s2
	v_cmp_eq_u32_e64 s2, 0, v45
	v_add_nc_u32_e32 v39, 0xff00, v39
	v_or3_b32 v35, v37, v36, v35
	v_add_nc_u32_e32 v32, 0xff00, v32
	v_cndmask_b32_e64 v42, 1, 0xff, s0
	v_cndmask_b32_e64 v45, 0x1000000, v12, s2
	v_cmp_eq_u32_e64 s2, 0, v46
	v_or3_b32 v36, v41, v40, v39
	v_dot4c_i32_i8 v30, v35, v14
	s_waitcnt vmcnt(4)
	v_dot4c_i32_i8 v34, v35, v18
	v_or3_b32 v18, v45, v44, v32
	v_cndmask_b32_e64 v46, 1, 0xff, s2
	v_cmp_eq_u32_e64 s2, 0, v47
	v_dot4c_i32_i8 v30, v36, v15
	v_dot4c_i32_i8 v34, v36, v19
	v_cndmask_b32_e32 v38, 0x1000000, v12, vcc_lo
	v_and_or_b32 v46, 0x200, v49, v46
	v_cndmask_b32_e64 v47, 0x10000, v11, s2
	v_cmp_eq_u32_e64 s2, 0, v48
	v_dot4c_i32_i8 v30, v18, v16
	v_dot4c_i32_i8 v34, v18, v20
	v_add_nc_u32_e32 v14, 0xff00, v46
	v_and_b32_e32 v49, 8, v61
	v_cndmask_b32_e64 v48, 0x1000000, v12, s2
	v_cmp_eq_u32_e64 s2, 0, v50
	v_lshlrev_b32_e32 v61, 8, v61
	v_cndmask_b32_e64 v43, 0x10000, v11, s1
	v_cmp_eq_u32_e32 vcc_lo, 0, v49
	v_or3_b32 v14, v48, v47, v14
	v_cndmask_b32_e64 v50, 1, 0xff, s2
	v_cmp_eq_u32_e64 s2, 0, v51
	v_and_or_b32 v42, 0x200, v61, v42
	v_cndmask_b32_e32 v49, 0x1000000, v12, vcc_lo
	s_waitcnt vmcnt(3)
	v_dot4c_i32_i8 v30, v14, v21
	v_and_or_b32 v50, 0x200, v53, v50
	v_cndmask_b32_e64 v51, 0x10000, v11, s2
	v_cmp_eq_u32_e64 s2, 0, v52
	s_waitcnt vmcnt(2)
	v_dot4c_i32_i8 v34, v14, v25
	v_add_co_u32 v4, vcc_lo, 0x480, v4
	v_add_nc_u32_e32 v15, 0xff00, v50
	v_cndmask_b32_e64 v52, 0x1000000, v12, s2
	v_cmp_eq_u32_e64 s2, 0, v54
	v_cmp_le_u32_e64 s0, s9, v7
	v_add_co_ci_u32_e64 v5, null, 0, v5, vcc_lo
	v_or3_b32 v15, v52, v51, v15
	v_cndmask_b32_e64 v54, 1, 0xff, s2
	v_cmp_eq_u32_e64 s2, 0, v55
	s_or_b32 s10, s0, s10
	v_dot4c_i32_i8 v30, v15, v22
	v_and_or_b32 v53, 0x200, v58, v54
	v_cndmask_b32_e64 v55, 0x10000, v11, s2
	v_cmp_eq_u32_e64 s2, 0, v56
	v_dot4c_i32_i8 v34, v15, v26
	v_add_nc_u32_e32 v15, 0xff00, v42
	v_add_nc_u32_e32 v16, 0xff00, v53
	v_cndmask_b32_e64 v56, 0x1000000, v12, s2
	v_cmp_eq_u32_e64 s2, 0, v60
	v_or3_b32 v15, v49, v43, v15
	v_or3_b32 v16, v56, v55, v16
	v_cndmask_b32_e64 v60, 1, 0xff, s2
	v_cmp_eq_u32_e64 s2, 0, v57
	v_dot4c_i32_i8 v30, v16, v23
	v_and_or_b32 v54, 0x200, v59, v60
	v_cndmask_b32_e64 v57, 0x10000, v11, s2
	v_dot4c_i32_i8 v34, v16, v27
	v_cvt_f32_f16_e32 v16, v31
	v_add_nc_u32_e32 v14, 0xff00, v54
	v_mul_f32_e32 v13, v16, v13
	v_or3_b32 v14, v38, v57, v14
	v_dot4c_i32_i8 v30, v14, v24
	v_dot4c_i32_i8 v34, v14, v28
	v_cvt_f32_f16_e32 v14, v17
	s_waitcnt vmcnt(1)
	v_dot4c_i32_i8 v30, v15, v33
	s_waitcnt vmcnt(0)
	v_dot4c_i32_i8 v34, v15, v29
	v_mul_f32_e32 v14, v16, v14
	v_cvt_f32_i32_e32 v15, v30
	v_cvt_f32_i32_e32 v16, v34
	v_fmac_f32_e32 v8, v13, v15
	v_fmac_f32_e32 v6, v14, v16
	s_andn2_b32 exec_lo, exec_lo, s10
	s_cbranch_execnz .LBB5_2
; %bb.3:
	s_or_b32 exec_lo, exec_lo, s10
.LBB5_4:
	s_or_b32 exec_lo, exec_lo, s3
	s_mov_b32 s1, 0
	; wave barrier
	buffer_gl0_inv
	s_mov_b32 s0, exec_lo
	v_cmpx_eq_u32_e32 0, v1
	s_cbranch_execz .LBB5_9
; %bb.5:
	v_mbcnt_lo_u32_b32 v5, -1, 0
	s_load_dwordx2 s[2:3], s[4:5], 0x38
	s_mul_i32 s0, s18, s7
	s_mul_i32 s4, s22, s8
	s_add_i32 s0, s0, s6
	v_xor_b32_e32 v1, 16, v5
	v_xor_b32_e32 v2, 8, v5
	;; [unrolled: 1-line block ×3, first 2 shown]
	s_add_i32 s0, s0, s4
	s_lshl_b64 s[0:1], s[0:1], 2
	v_cmp_gt_i32_e32 vcc_lo, 32, v1
	v_cndmask_b32_e32 v1, v5, v1, vcc_lo
	v_cmp_gt_i32_e32 vcc_lo, 32, v2
	v_lshlrev_b32_e32 v1, 2, v1
	v_cndmask_b32_e32 v2, v5, v2, vcc_lo
	s_waitcnt lgkmcnt(0)
	s_add_u32 s0, s2, s0
	s_addc_u32 s1, s3, s1
	ds_bpermute_b32 v3, v1, v8
	v_lshlrev_b32_e32 v2, 2, v2
	s_waitcnt lgkmcnt(0)
	v_add_f32_e32 v4, v8, v3
	v_xor_b32_e32 v3, 4, v5
	ds_bpermute_b32 v7, v2, v4
	v_cmp_gt_i32_e32 vcc_lo, 32, v3
	v_cndmask_b32_e32 v3, v5, v3, vcc_lo
	v_lshlrev_b32_e32 v3, 2, v3
	s_waitcnt lgkmcnt(0)
	v_add_f32_e32 v7, v4, v7
	v_xor_b32_e32 v4, 2, v5
	ds_bpermute_b32 v8, v3, v7
	v_cmp_gt_i32_e32 vcc_lo, 32, v4
	v_cndmask_b32_e32 v4, v5, v4, vcc_lo
	v_cmp_gt_i32_e32 vcc_lo, 32, v9
	v_lshlrev_b32_e32 v4, 2, v4
	v_cndmask_b32_e32 v5, v5, v9, vcc_lo
	v_cmp_eq_u32_e32 vcc_lo, 0, v0
	v_lshlrev_b32_e32 v5, 2, v5
	s_waitcnt lgkmcnt(0)
	v_add_f32_e32 v7, v7, v8
	ds_bpermute_b32 v8, v4, v7
	s_waitcnt lgkmcnt(0)
	v_add_f32_e32 v7, v7, v8
	ds_bpermute_b32 v8, v5, v7
	s_and_saveexec_b32 s2, vcc_lo
	s_cbranch_execz .LBB5_7
; %bb.6:
	s_waitcnt lgkmcnt(0)
	v_add_f32_e32 v0, v7, v8
	v_mov_b32_e32 v7, 0
	global_store_dword v7, v0, s[0:1]
.LBB5_7:
	s_or_b32 exec_lo, exec_lo, s2
	ds_bpermute_b32 v0, v1, v6
	s_waitcnt lgkmcnt(0)
	v_add_f32_e32 v0, v6, v0
	ds_bpermute_b32 v1, v2, v0
	s_waitcnt lgkmcnt(0)
	v_add_f32_e32 v0, v0, v1
	;; [unrolled: 3-line block ×4, first 2 shown]
	ds_bpermute_b32 v1, v5, v0
	s_and_b32 exec_lo, exec_lo, vcc_lo
	s_cbranch_execz .LBB5_9
; %bb.8:
	s_mov_b32 s15, 0
	s_waitcnt lgkmcnt(0)
	v_add_f32_e32 v0, v0, v1
	s_lshl_b64 s[2:3], s[14:15], 2
	v_mov_b32_e32 v1, 0
	s_add_u32 s0, s0, s2
	s_addc_u32 s1, s1, s3
	global_store_dword v1, v0, s[0:1]
.LBB5_9:
	s_endpgm
	.section	.rodata,"a",@progbits
	.p2align	6, 0x0
	.amdhsa_kernel _ZL13mul_mat_vec_qIL9ggml_type41ELi2ELb0ELb0EEvPKvS2_PKi31ggml_cuda_mm_fusion_args_devicePfj15HIP_vector_typeIjLj3EEjjjS8_jjjS8_jjjj
		.amdhsa_group_segment_fixed_size 0
		.amdhsa_private_segment_fixed_size 0
		.amdhsa_kernarg_size 144
		.amdhsa_user_sgpr_count 6
		.amdhsa_user_sgpr_private_segment_buffer 1
		.amdhsa_user_sgpr_dispatch_ptr 0
		.amdhsa_user_sgpr_queue_ptr 0
		.amdhsa_user_sgpr_kernarg_segment_ptr 1
		.amdhsa_user_sgpr_dispatch_id 0
		.amdhsa_user_sgpr_flat_scratch_init 0
		.amdhsa_user_sgpr_private_segment_size 0
		.amdhsa_wavefront_size32 1
		.amdhsa_uses_dynamic_stack 0
		.amdhsa_system_sgpr_private_segment_wavefront_offset 0
		.amdhsa_system_sgpr_workgroup_id_x 1
		.amdhsa_system_sgpr_workgroup_id_y 1
		.amdhsa_system_sgpr_workgroup_id_z 1
		.amdhsa_system_sgpr_workgroup_info 0
		.amdhsa_system_vgpr_workitem_id 1
		.amdhsa_next_free_vgpr 62
		.amdhsa_next_free_sgpr 28
		.amdhsa_reserve_vcc 1
		.amdhsa_reserve_flat_scratch 0
		.amdhsa_float_round_mode_32 0
		.amdhsa_float_round_mode_16_64 0
		.amdhsa_float_denorm_mode_32 3
		.amdhsa_float_denorm_mode_16_64 3
		.amdhsa_dx10_clamp 1
		.amdhsa_ieee_mode 1
		.amdhsa_fp16_overflow 0
		.amdhsa_workgroup_processor_mode 1
		.amdhsa_memory_ordered 1
		.amdhsa_forward_progress 1
		.amdhsa_shared_vgpr_count 0
		.amdhsa_exception_fp_ieee_invalid_op 0
		.amdhsa_exception_fp_denorm_src 0
		.amdhsa_exception_fp_ieee_div_zero 0
		.amdhsa_exception_fp_ieee_overflow 0
		.amdhsa_exception_fp_ieee_underflow 0
		.amdhsa_exception_fp_ieee_inexact 0
		.amdhsa_exception_int_div_zero 0
	.end_amdhsa_kernel
	.section	.text._ZL13mul_mat_vec_qIL9ggml_type41ELi2ELb0ELb0EEvPKvS2_PKi31ggml_cuda_mm_fusion_args_devicePfj15HIP_vector_typeIjLj3EEjjjS8_jjjS8_jjjj,"axG",@progbits,_ZL13mul_mat_vec_qIL9ggml_type41ELi2ELb0ELb0EEvPKvS2_PKi31ggml_cuda_mm_fusion_args_devicePfj15HIP_vector_typeIjLj3EEjjjS8_jjjS8_jjjj,comdat
.Lfunc_end5:
	.size	_ZL13mul_mat_vec_qIL9ggml_type41ELi2ELb0ELb0EEvPKvS2_PKi31ggml_cuda_mm_fusion_args_devicePfj15HIP_vector_typeIjLj3EEjjjS8_jjjS8_jjjj, .Lfunc_end5-_ZL13mul_mat_vec_qIL9ggml_type41ELi2ELb0ELb0EEvPKvS2_PKi31ggml_cuda_mm_fusion_args_devicePfj15HIP_vector_typeIjLj3EEjjjS8_jjjS8_jjjj
                                        ; -- End function
	.set _ZL13mul_mat_vec_qIL9ggml_type41ELi2ELb0ELb0EEvPKvS2_PKi31ggml_cuda_mm_fusion_args_devicePfj15HIP_vector_typeIjLj3EEjjjS8_jjjS8_jjjj.num_vgpr, 62
	.set _ZL13mul_mat_vec_qIL9ggml_type41ELi2ELb0ELb0EEvPKvS2_PKi31ggml_cuda_mm_fusion_args_devicePfj15HIP_vector_typeIjLj3EEjjjS8_jjjS8_jjjj.num_agpr, 0
	.set _ZL13mul_mat_vec_qIL9ggml_type41ELi2ELb0ELb0EEvPKvS2_PKi31ggml_cuda_mm_fusion_args_devicePfj15HIP_vector_typeIjLj3EEjjjS8_jjjS8_jjjj.numbered_sgpr, 28
	.set _ZL13mul_mat_vec_qIL9ggml_type41ELi2ELb0ELb0EEvPKvS2_PKi31ggml_cuda_mm_fusion_args_devicePfj15HIP_vector_typeIjLj3EEjjjS8_jjjS8_jjjj.num_named_barrier, 0
	.set _ZL13mul_mat_vec_qIL9ggml_type41ELi2ELb0ELb0EEvPKvS2_PKi31ggml_cuda_mm_fusion_args_devicePfj15HIP_vector_typeIjLj3EEjjjS8_jjjS8_jjjj.private_seg_size, 0
	.set _ZL13mul_mat_vec_qIL9ggml_type41ELi2ELb0ELb0EEvPKvS2_PKi31ggml_cuda_mm_fusion_args_devicePfj15HIP_vector_typeIjLj3EEjjjS8_jjjS8_jjjj.uses_vcc, 1
	.set _ZL13mul_mat_vec_qIL9ggml_type41ELi2ELb0ELb0EEvPKvS2_PKi31ggml_cuda_mm_fusion_args_devicePfj15HIP_vector_typeIjLj3EEjjjS8_jjjS8_jjjj.uses_flat_scratch, 0
	.set _ZL13mul_mat_vec_qIL9ggml_type41ELi2ELb0ELb0EEvPKvS2_PKi31ggml_cuda_mm_fusion_args_devicePfj15HIP_vector_typeIjLj3EEjjjS8_jjjS8_jjjj.has_dyn_sized_stack, 0
	.set _ZL13mul_mat_vec_qIL9ggml_type41ELi2ELb0ELb0EEvPKvS2_PKi31ggml_cuda_mm_fusion_args_devicePfj15HIP_vector_typeIjLj3EEjjjS8_jjjS8_jjjj.has_recursion, 0
	.set _ZL13mul_mat_vec_qIL9ggml_type41ELi2ELb0ELb0EEvPKvS2_PKi31ggml_cuda_mm_fusion_args_devicePfj15HIP_vector_typeIjLj3EEjjjS8_jjjS8_jjjj.has_indirect_call, 0
	.section	.AMDGPU.csdata,"",@progbits
; Kernel info:
; codeLenInByte = 1860
; TotalNumSgprs: 30
; NumVgprs: 62
; ScratchSize: 0
; MemoryBound: 0
; FloatMode: 240
; IeeeMode: 1
; LDSByteSize: 0 bytes/workgroup (compile time only)
; SGPRBlocks: 0
; VGPRBlocks: 7
; NumSGPRsForWavesPerEU: 30
; NumVGPRsForWavesPerEU: 62
; Occupancy: 16
; WaveLimiterHint : 0
; COMPUTE_PGM_RSRC2:SCRATCH_EN: 0
; COMPUTE_PGM_RSRC2:USER_SGPR: 6
; COMPUTE_PGM_RSRC2:TRAP_HANDLER: 0
; COMPUTE_PGM_RSRC2:TGID_X_EN: 1
; COMPUTE_PGM_RSRC2:TGID_Y_EN: 1
; COMPUTE_PGM_RSRC2:TGID_Z_EN: 1
; COMPUTE_PGM_RSRC2:TIDIG_COMP_CNT: 1
	.section	.text._ZL13mul_mat_vec_qIL9ggml_type41ELi3ELb0ELb0EEvPKvS2_PKi31ggml_cuda_mm_fusion_args_devicePfj15HIP_vector_typeIjLj3EEjjjS8_jjjS8_jjjj,"axG",@progbits,_ZL13mul_mat_vec_qIL9ggml_type41ELi3ELb0ELb0EEvPKvS2_PKi31ggml_cuda_mm_fusion_args_devicePfj15HIP_vector_typeIjLj3EEjjjS8_jjjS8_jjjj,comdat
	.globl	_ZL13mul_mat_vec_qIL9ggml_type41ELi3ELb0ELb0EEvPKvS2_PKi31ggml_cuda_mm_fusion_args_devicePfj15HIP_vector_typeIjLj3EEjjjS8_jjjS8_jjjj ; -- Begin function _ZL13mul_mat_vec_qIL9ggml_type41ELi3ELb0ELb0EEvPKvS2_PKi31ggml_cuda_mm_fusion_args_devicePfj15HIP_vector_typeIjLj3EEjjjS8_jjjS8_jjjj
	.p2align	8
	.type	_ZL13mul_mat_vec_qIL9ggml_type41ELi3ELb0ELb0EEvPKvS2_PKi31ggml_cuda_mm_fusion_args_devicePfj15HIP_vector_typeIjLj3EEjjjS8_jjjS8_jjjj,@function
_ZL13mul_mat_vec_qIL9ggml_type41ELi3ELb0ELb0EEvPKvS2_PKi31ggml_cuda_mm_fusion_args_devicePfj15HIP_vector_typeIjLj3EEjjjS8_jjjS8_jjjj: ; @_ZL13mul_mat_vec_qIL9ggml_type41ELi3ELb0ELb0EEvPKvS2_PKi31ggml_cuda_mm_fusion_args_devicePfj15HIP_vector_typeIjLj3EEjjjS8_jjjS8_jjjj
; %bb.0:
	s_clause 0x5
	s_load_dword s2, s[4:5], 0x40
	s_load_dwordx4 s[12:15], s[4:5], 0x50
	s_load_dword s0, s[4:5], 0x60
	s_load_dwordx4 s[16:19], s[4:5], 0x68
	;; [unrolled: 2-line block ×3, first 2 shown]
	v_lshl_or_b32 v2, v1, 5, v0
	v_mov_b32_e32 v6, 0
	v_mov_b32_e32 v7, 0
	v_mov_b32_e32 v9, 0
	s_mov_b32 s11, exec_lo
	v_lshrrev_b32_e32 v8, 2, v2
	s_waitcnt lgkmcnt(0)
	s_lshr_b32 s23, s2, 7
	v_cmpx_gt_u32_e64 s23, v8
	s_cbranch_execz .LBB6_4
; %bb.1:
	s_mul_i32 s9, s12, s6
	s_mul_hi_u32 s2, s15, s7
	s_mul_hi_u32 s3, s19, s8
	s_mul_i32 s12, s17, s7
	s_add_i32 s15, s7, s2
	s_add_i32 s17, s8, s3
	s_mul_hi_u32 s3, s12, 36
	s_mul_i32 s2, s12, 36
	s_load_dwordx4 s[24:27], s[4:5], 0x0
	v_mad_u64_u32 v[2:3], null, 0x90, v8, s[2:3]
	s_mul_i32 s10, s21, s8
	v_and_b32_e32 v7, 3, v0
	s_mul_i32 s19, s10, 36
	s_lshr_b32 s0, s15, s0
	s_mul_hi_u32 s12, s10, 36
	s_lshr_b32 s1, s17, s1
	v_mad_u64_u32 v[2:3], null, s10, 36, v[2:3]
	s_mul_i32 s15, s0, s16
	s_mul_i32 s16, s1, s20
	v_lshlrev_b32_e32 v9, 2, v8
	v_lshlrev_b32_e32 v10, 2, v7
	v_mov_b32_e32 v6, 0
	v_mov_b32_e32 v13, 0xff0000
	v_mad_u64_u32 v[4:5], null, v7, 36, v[2:3]
	v_add_nc_u32_e32 v11, s13, v9
	s_waitcnt lgkmcnt(0)
	s_add_u32 s0, s26, s19
	s_addc_u32 s1, s27, s12
	s_add_u32 s0, s0, s2
	s_addc_u32 s1, s1, s3
	v_lshl_add_u32 v12, s13, 1, v9
	v_add_co_u32 v4, vcc_lo, s26, v4
	v_add_co_ci_u32_e64 v5, null, s27, v5, vcc_lo
	v_mad_u64_u32 v[2:3], null, v7, 36, s[0:1]
	v_add_co_u32 v4, vcc_lo, v4, 16
	v_add_co_ci_u32_e64 v5, null, 0, v5, vcc_lo
	v_mov_b32_e32 v14, 0xff000000
	v_mov_b32_e32 v7, 0
	;; [unrolled: 1-line block ×3, first 2 shown]
	s_add_i32 s15, s15, s9
	s_mov_b32 s12, 0
	s_add_i32 s13, s16, s15
.LBB6_2:                                ; =>This Inner Loop Header: Depth=1
	v_add_nc_u32_e32 v19, s13, v8
	v_mad_u64_u32 v[31:32], null, v11, 36, v[2:3]
	v_mad_u64_u32 v[39:40], null, v12, 36, v[2:3]
	v_mad_i64_i32 v[23:24], null, v19, 18, s[24:25]
	global_load_dwordx4 v[15:18], v[4:5], off offset:-16
	v_mov_b32_e32 v44, 0
	global_load_dwordx4 v[19:22], v[31:32], off
	v_mov_b32_e32 v45, 0
	v_mov_b32_e32 v46, 0
	v_add_nc_u32_e32 v8, 8, v8
	v_add_co_u32 v25, vcc_lo, v23, v10
	v_add_co_ci_u32_e64 v26, null, 0, v24, vcc_lo
	v_add_nc_u32_e32 v11, 32, v11
	v_add_nc_u32_e32 v12, 32, v12
	s_clause 0x1
	global_load_ushort v41, v[23:24], off
	global_load_dword v42, v[25:26], off offset:2
	s_clause 0x1
	global_load_dwordx4 v[23:26], v[39:40], off
	global_load_dword v43, v[31:32], off offset:32
	global_load_dwordx4 v[27:30], v[4:5], off
	s_clause 0x2
	global_load_dwordx4 v[31:34], v[31:32], off offset:16
	global_load_dwordx4 v[35:38], v[39:40], off offset:16
	global_load_dword v39, v[39:40], off offset:32
	global_load_dword v40, v[4:5], off offset:16
	v_add_co_u32 v4, vcc_lo, 0x480, v4
	v_add_co_ci_u32_e64 v5, null, 0, v5, vcc_lo
	v_cmp_le_u32_e32 vcc_lo, s23, v8
	s_or_b32 s12, vcc_lo, s12
	s_waitcnt vmcnt(10)
	v_cvt_f32_f16_e32 v15, v15
	s_waitcnt vmcnt(9)
	v_cvt_f32_f16_e32 v19, v19
	;; [unrolled: 2-line block ×3, first 2 shown]
	s_waitcnt vmcnt(7)
	v_and_b32_e32 v47, 1, v42
	v_and_b32_e32 v48, 4, v42
	;; [unrolled: 1-line block ×3, first 2 shown]
	v_lshlrev_b32_e32 v50, 8, v42
	v_and_b32_e32 v51, 16, v42
	v_cmp_eq_u32_e64 s1, 0, v47
	v_and_b32_e32 v53, 0x80, v42
	v_and_b32_e32 v58, 0x1000, v42
	v_cmp_eq_u32_e64 s0, 0, v49
	v_and_b32_e32 v52, 64, v42
	v_cndmask_b32_e64 v47, 1, 0xff, s1
	v_cmp_eq_u32_e64 s1, 0, v48
	v_lshlrev_b32_e32 v54, 4, v42
	v_and_b32_e32 v55, 0x100, v42
	v_and_b32_e32 v49, 0x4000, v42
	v_and_or_b32 v47, 0x200, v50, v47
	v_cndmask_b32_e64 v48, 0x10000, v13, s1
	v_cmp_eq_u32_e64 s1, 0, v51
	v_cndmask_b32_e64 v50, 0x1000000, v14, s0
	v_cmp_eq_u32_e64 s0, 0, v53
	v_add_nc_u32_e32 v47, 0xff00, v47
	v_cmp_eq_u32_e64 s10, 0, v58
	v_cndmask_b32_e64 v51, 1, 0xff, s1
	v_and_b32_e32 v56, 0x400, v42
	v_cmp_eq_u32_e64 s1, 0, v52
	v_or3_b32 v47, v50, v48, v47
	v_and_b32_e32 v48, 0x8000, v42
	v_and_or_b32 v51, 0x200, v54, v51
	v_cndmask_b32_e64 v54, 0x1000000, v14, s0
	v_cmp_eq_u32_e64 s0, 0, v55
	v_cndmask_b32_e64 v58, 1, 0xff, s10
	v_cmp_eq_u32_e64 s10, 0, v49
	v_and_b32_e32 v57, 0x800, v42
	v_and_b32_e32 v53, 0x10000, v42
	v_cndmask_b32_e64 v52, 0x10000, v13, s1
	v_add_nc_u32_e32 v51, 0xff00, v51
	v_cndmask_b32_e64 v55, 1, 0xff, s0
	v_cmp_eq_u32_e64 s0, 0, v56
	v_cndmask_b32_e64 v49, 0x10000, v13, s10
	v_cmp_eq_u32_e64 s10, 0, v48
	v_or3_b32 v51, v54, v52, v51
	v_and_b32_e32 v52, 0x40000, v42
	v_cndmask_b32_e64 v56, 0x10000, v13, s0
	v_cmp_eq_u32_e64 s0, 0, v57
	v_and_or_b32 v55, 0x200, v42, v55
	v_cndmask_b32_e64 v48, 0x1000000, v14, s10
	v_cmp_eq_u32_e64 s10, 0, v53
	v_and_b32_e32 v54, 0x80000, v42
	v_cndmask_b32_e64 v57, 0x1000000, v14, s0
	v_add_nc_u32_e32 v55, 0xff00, v55
	v_dot4c_i32_i8 v44, v47, v16
	v_cndmask_b32_e64 v53, 1, 0xff, s10
	v_cmp_eq_u32_e64 s10, 0, v52
	v_lshrrev_b32_e32 v50, 4, v42
	v_or3_b32 v55, v57, v56, v55
	v_and_b32_e32 v57, 0x1000000, v42
	v_dot4c_i32_i8 v44, v51, v17
	v_and_b32_e32 v16, 0x100000, v42
	v_cndmask_b32_e64 v52, 0x10000, v13, s10
	v_cmp_eq_u32_e64 s10, 0, v54
	v_lshrrev_b32_e32 v56, 8, v42
	v_dot4c_i32_i8 v44, v55, v18
	v_and_b32_e32 v17, 0x4000000, v42
	v_and_b32_e32 v18, 0x400000, v42
	;; [unrolled: 1-line block ×3, first 2 shown]
	v_cmp_eq_u32_e64 s0, 0, v57
	v_and_b32_e32 v57, 0x10000000, v42
	v_cndmask_b32_e64 v54, 0x1000000, v14, s10
	v_cmp_eq_u32_e64 s10, 0, v16
	v_and_or_b32 v50, 0x200, v50, v58
	v_dot4c_i32_i8 v45, v47, v20
	s_waitcnt vmcnt(6)
	v_dot4c_i32_i8 v46, v47, v24
	v_cmp_eq_u32_e64 s1, 0, v17
	v_and_b32_e32 v17, 2.0, v42
	v_cmp_eq_u32_e64 s2, 0, v59
	v_and_b32_e32 v59, 0x800000, v42
	v_cmp_eq_u32_e64 s3, 0, v57
	v_lshrrev_b32_e32 v57, 12, v42
	v_cndmask_b32_e64 v16, 1, 0xff, s10
	v_cmp_eq_u32_e64 s10, 0, v18
	v_and_or_b32 v53, 0x200, v56, v53
	v_add_nc_u32_e32 v24, 0xff00, v50
	v_dot4c_i32_i8 v45, v51, v21
	v_dot4c_i32_i8 v46, v51, v25
	v_cmp_eq_u32_e64 s9, 0, v17
	v_lshrrev_b32_e32 v17, 16, v42
	v_ashrrev_i32_e32 v42, 28, v42
	v_cndmask_b32_e64 v18, 0x10000, v13, s10
	v_cmp_eq_u32_e64 s10, 0, v59
	v_cndmask_b32_e64 v58, 1, 0xff, s0
	v_and_or_b32 v16, 0x200, v57, v16
	v_add_nc_u32_e32 v47, 0xff00, v53
	v_or3_b32 v24, v48, v49, v24
	v_dot4c_i32_i8 v45, v55, v22
	v_dot4c_i32_i8 v46, v55, v26
	v_cndmask_b32_e64 v59, 0x1000000, v14, s10
	v_and_b32_e32 v56, 8, v42
	v_cndmask_b32_e64 v57, 1, 0xff, s3
	v_lshlrev_b32_e32 v42, 8, v42
	v_and_or_b32 v17, 0x200, v17, v58
	v_add_nc_u32_e32 v16, 0xff00, v16
	v_or3_b32 v22, v54, v52, v47
	s_waitcnt vmcnt(4)
	v_dot4c_i32_i8 v44, v24, v27
	s_waitcnt vmcnt(3)
	v_dot4c_i32_i8 v45, v24, v31
	s_waitcnt vmcnt(2)
	v_dot4c_i32_i8 v46, v24, v35
	v_cndmask_b32_e64 v58, 0x10000, v13, s1
	v_cmp_eq_u32_e64 s0, 0, v56
	v_cndmask_b32_e64 v56, 0x1000000, v14, s2
	v_and_or_b32 v42, 0x200, v42, v57
	v_add_nc_u32_e32 v17, 0xff00, v17
	v_or3_b32 v16, v59, v18, v16
	v_dot4c_i32_i8 v44, v22, v28
	v_dot4c_i32_i8 v45, v22, v32
	;; [unrolled: 1-line block ×3, first 2 shown]
	v_cndmask_b32_e64 v57, 0x10000, v13, s9
	v_cndmask_b32_e64 v20, 0x1000000, v14, s0
	v_add_nc_u32_e32 v21, 0xff00, v42
	v_or3_b32 v17, v56, v58, v17
	v_dot4c_i32_i8 v44, v16, v29
	v_dot4c_i32_i8 v45, v16, v33
	;; [unrolled: 1-line block ×3, first 2 shown]
	v_or3_b32 v16, v20, v57, v21
	v_cvt_f32_f16_e32 v23, v23
	v_dot4c_i32_i8 v44, v17, v30
	v_dot4c_i32_i8 v45, v17, v34
	;; [unrolled: 1-line block ×3, first 2 shown]
	v_mul_f32_e32 v15, v41, v15
	v_mul_f32_e32 v17, v41, v19
	s_waitcnt vmcnt(0)
	v_dot4c_i32_i8 v44, v16, v40
	v_dot4c_i32_i8 v45, v16, v43
	;; [unrolled: 1-line block ×3, first 2 shown]
	v_mul_f32_e32 v16, v41, v23
	v_cvt_f32_i32_e32 v18, v44
	v_cvt_f32_i32_e32 v19, v45
	;; [unrolled: 1-line block ×3, first 2 shown]
	v_fmac_f32_e32 v9, v15, v18
	v_fmac_f32_e32 v7, v17, v19
	;; [unrolled: 1-line block ×3, first 2 shown]
	s_andn2_b32 exec_lo, exec_lo, s12
	s_cbranch_execnz .LBB6_2
; %bb.3:
	s_or_b32 exec_lo, exec_lo, s12
.LBB6_4:
	s_or_b32 exec_lo, exec_lo, s11
	s_mov_b32 s1, 0
	; wave barrier
	buffer_gl0_inv
	s_mov_b32 s0, exec_lo
	v_cmpx_eq_u32_e32 0, v1
	s_cbranch_execz .LBB6_11
; %bb.5:
	v_mbcnt_lo_u32_b32 v5, -1, 0
	s_load_dwordx2 s[2:3], s[4:5], 0x38
	s_mul_i32 s0, s18, s7
	s_mul_i32 s4, s22, s8
	s_add_i32 s0, s0, s6
	v_xor_b32_e32 v1, 16, v5
	v_xor_b32_e32 v2, 8, v5
	;; [unrolled: 1-line block ×3, first 2 shown]
	s_add_i32 s0, s0, s4
	s_lshl_b64 s[0:1], s[0:1], 2
	v_cmp_gt_i32_e32 vcc_lo, 32, v1
	v_cndmask_b32_e32 v1, v5, v1, vcc_lo
	v_cmp_gt_i32_e32 vcc_lo, 32, v2
	v_lshlrev_b32_e32 v1, 2, v1
	v_cndmask_b32_e32 v2, v5, v2, vcc_lo
	s_waitcnt lgkmcnt(0)
	s_add_u32 s0, s2, s0
	s_addc_u32 s1, s3, s1
	ds_bpermute_b32 v3, v1, v9
	v_lshlrev_b32_e32 v2, 2, v2
	s_waitcnt lgkmcnt(0)
	v_add_f32_e32 v4, v9, v3
	v_xor_b32_e32 v3, 4, v5
	ds_bpermute_b32 v8, v2, v4
	v_cmp_gt_i32_e32 vcc_lo, 32, v3
	v_cndmask_b32_e32 v3, v5, v3, vcc_lo
	v_lshlrev_b32_e32 v3, 2, v3
	s_waitcnt lgkmcnt(0)
	v_add_f32_e32 v8, v4, v8
	v_xor_b32_e32 v4, 2, v5
	ds_bpermute_b32 v9, v3, v8
	v_cmp_gt_i32_e32 vcc_lo, 32, v4
	v_cndmask_b32_e32 v4, v5, v4, vcc_lo
	v_cmp_gt_i32_e32 vcc_lo, 32, v10
	v_lshlrev_b32_e32 v4, 2, v4
	v_cndmask_b32_e32 v5, v5, v10, vcc_lo
	v_cmp_eq_u32_e32 vcc_lo, 0, v0
	v_lshlrev_b32_e32 v5, 2, v5
	s_waitcnt lgkmcnt(0)
	v_add_f32_e32 v8, v8, v9
	ds_bpermute_b32 v9, v4, v8
	s_waitcnt lgkmcnt(0)
	v_add_f32_e32 v8, v8, v9
	ds_bpermute_b32 v9, v5, v8
	s_and_saveexec_b32 s2, vcc_lo
	s_cbranch_execz .LBB6_7
; %bb.6:
	s_waitcnt lgkmcnt(0)
	v_add_f32_e32 v0, v8, v9
	v_mov_b32_e32 v8, 0
	global_store_dword v8, v0, s[0:1]
.LBB6_7:
	s_or_b32 exec_lo, exec_lo, s2
	ds_bpermute_b32 v0, v1, v7
	s_waitcnt lgkmcnt(0)
	v_add_f32_e32 v0, v7, v0
	ds_bpermute_b32 v7, v2, v0
	s_waitcnt lgkmcnt(0)
	v_add_f32_e32 v0, v0, v7
	;; [unrolled: 3-line block ×4, first 2 shown]
	ds_bpermute_b32 v7, v5, v0
	s_and_saveexec_b32 s2, vcc_lo
	s_cbranch_execz .LBB6_9
; %bb.8:
	s_mov_b32 s15, 0
	s_waitcnt lgkmcnt(0)
	v_add_f32_e32 v0, v0, v7
	s_lshl_b64 s[4:5], s[14:15], 2
	v_mov_b32_e32 v7, 0
	s_add_u32 s4, s0, s4
	s_addc_u32 s5, s1, s5
	global_store_dword v7, v0, s[4:5]
.LBB6_9:
	s_or_b32 exec_lo, exec_lo, s2
	ds_bpermute_b32 v0, v1, v6
	s_waitcnt lgkmcnt(0)
	v_add_f32_e32 v0, v6, v0
	ds_bpermute_b32 v1, v2, v0
	s_waitcnt lgkmcnt(0)
	v_add_f32_e32 v0, v0, v1
	;; [unrolled: 3-line block ×4, first 2 shown]
	ds_bpermute_b32 v1, v5, v0
	s_and_b32 exec_lo, exec_lo, vcc_lo
	s_cbranch_execz .LBB6_11
; %bb.10:
	s_lshl_b32 s2, s14, 1
	s_mov_b32 s3, 0
	s_waitcnt lgkmcnt(0)
	v_add_f32_e32 v0, v0, v1
	s_lshl_b64 s[2:3], s[2:3], 2
	v_mov_b32_e32 v1, 0
	s_add_u32 s0, s0, s2
	s_addc_u32 s1, s1, s3
	global_store_dword v1, v0, s[0:1]
.LBB6_11:
	s_endpgm
	.section	.rodata,"a",@progbits
	.p2align	6, 0x0
	.amdhsa_kernel _ZL13mul_mat_vec_qIL9ggml_type41ELi3ELb0ELb0EEvPKvS2_PKi31ggml_cuda_mm_fusion_args_devicePfj15HIP_vector_typeIjLj3EEjjjS8_jjjS8_jjjj
		.amdhsa_group_segment_fixed_size 0
		.amdhsa_private_segment_fixed_size 0
		.amdhsa_kernarg_size 144
		.amdhsa_user_sgpr_count 6
		.amdhsa_user_sgpr_private_segment_buffer 1
		.amdhsa_user_sgpr_dispatch_ptr 0
		.amdhsa_user_sgpr_queue_ptr 0
		.amdhsa_user_sgpr_kernarg_segment_ptr 1
		.amdhsa_user_sgpr_dispatch_id 0
		.amdhsa_user_sgpr_flat_scratch_init 0
		.amdhsa_user_sgpr_private_segment_size 0
		.amdhsa_wavefront_size32 1
		.amdhsa_uses_dynamic_stack 0
		.amdhsa_system_sgpr_private_segment_wavefront_offset 0
		.amdhsa_system_sgpr_workgroup_id_x 1
		.amdhsa_system_sgpr_workgroup_id_y 1
		.amdhsa_system_sgpr_workgroup_id_z 1
		.amdhsa_system_sgpr_workgroup_info 0
		.amdhsa_system_vgpr_workitem_id 1
		.amdhsa_next_free_vgpr 60
		.amdhsa_next_free_sgpr 28
		.amdhsa_reserve_vcc 1
		.amdhsa_reserve_flat_scratch 0
		.amdhsa_float_round_mode_32 0
		.amdhsa_float_round_mode_16_64 0
		.amdhsa_float_denorm_mode_32 3
		.amdhsa_float_denorm_mode_16_64 3
		.amdhsa_dx10_clamp 1
		.amdhsa_ieee_mode 1
		.amdhsa_fp16_overflow 0
		.amdhsa_workgroup_processor_mode 1
		.amdhsa_memory_ordered 1
		.amdhsa_forward_progress 1
		.amdhsa_shared_vgpr_count 0
		.amdhsa_exception_fp_ieee_invalid_op 0
		.amdhsa_exception_fp_denorm_src 0
		.amdhsa_exception_fp_ieee_div_zero 0
		.amdhsa_exception_fp_ieee_overflow 0
		.amdhsa_exception_fp_ieee_underflow 0
		.amdhsa_exception_fp_ieee_inexact 0
		.amdhsa_exception_int_div_zero 0
	.end_amdhsa_kernel
	.section	.text._ZL13mul_mat_vec_qIL9ggml_type41ELi3ELb0ELb0EEvPKvS2_PKi31ggml_cuda_mm_fusion_args_devicePfj15HIP_vector_typeIjLj3EEjjjS8_jjjS8_jjjj,"axG",@progbits,_ZL13mul_mat_vec_qIL9ggml_type41ELi3ELb0ELb0EEvPKvS2_PKi31ggml_cuda_mm_fusion_args_devicePfj15HIP_vector_typeIjLj3EEjjjS8_jjjS8_jjjj,comdat
.Lfunc_end6:
	.size	_ZL13mul_mat_vec_qIL9ggml_type41ELi3ELb0ELb0EEvPKvS2_PKi31ggml_cuda_mm_fusion_args_devicePfj15HIP_vector_typeIjLj3EEjjjS8_jjjS8_jjjj, .Lfunc_end6-_ZL13mul_mat_vec_qIL9ggml_type41ELi3ELb0ELb0EEvPKvS2_PKi31ggml_cuda_mm_fusion_args_devicePfj15HIP_vector_typeIjLj3EEjjjS8_jjjS8_jjjj
                                        ; -- End function
	.set _ZL13mul_mat_vec_qIL9ggml_type41ELi3ELb0ELb0EEvPKvS2_PKi31ggml_cuda_mm_fusion_args_devicePfj15HIP_vector_typeIjLj3EEjjjS8_jjjS8_jjjj.num_vgpr, 60
	.set _ZL13mul_mat_vec_qIL9ggml_type41ELi3ELb0ELb0EEvPKvS2_PKi31ggml_cuda_mm_fusion_args_devicePfj15HIP_vector_typeIjLj3EEjjjS8_jjjS8_jjjj.num_agpr, 0
	.set _ZL13mul_mat_vec_qIL9ggml_type41ELi3ELb0ELb0EEvPKvS2_PKi31ggml_cuda_mm_fusion_args_devicePfj15HIP_vector_typeIjLj3EEjjjS8_jjjS8_jjjj.numbered_sgpr, 28
	.set _ZL13mul_mat_vec_qIL9ggml_type41ELi3ELb0ELb0EEvPKvS2_PKi31ggml_cuda_mm_fusion_args_devicePfj15HIP_vector_typeIjLj3EEjjjS8_jjjS8_jjjj.num_named_barrier, 0
	.set _ZL13mul_mat_vec_qIL9ggml_type41ELi3ELb0ELb0EEvPKvS2_PKi31ggml_cuda_mm_fusion_args_devicePfj15HIP_vector_typeIjLj3EEjjjS8_jjjS8_jjjj.private_seg_size, 0
	.set _ZL13mul_mat_vec_qIL9ggml_type41ELi3ELb0ELb0EEvPKvS2_PKi31ggml_cuda_mm_fusion_args_devicePfj15HIP_vector_typeIjLj3EEjjjS8_jjjS8_jjjj.uses_vcc, 1
	.set _ZL13mul_mat_vec_qIL9ggml_type41ELi3ELb0ELb0EEvPKvS2_PKi31ggml_cuda_mm_fusion_args_devicePfj15HIP_vector_typeIjLj3EEjjjS8_jjjS8_jjjj.uses_flat_scratch, 0
	.set _ZL13mul_mat_vec_qIL9ggml_type41ELi3ELb0ELb0EEvPKvS2_PKi31ggml_cuda_mm_fusion_args_devicePfj15HIP_vector_typeIjLj3EEjjjS8_jjjS8_jjjj.has_dyn_sized_stack, 0
	.set _ZL13mul_mat_vec_qIL9ggml_type41ELi3ELb0ELb0EEvPKvS2_PKi31ggml_cuda_mm_fusion_args_devicePfj15HIP_vector_typeIjLj3EEjjjS8_jjjS8_jjjj.has_recursion, 0
	.set _ZL13mul_mat_vec_qIL9ggml_type41ELi3ELb0ELb0EEvPKvS2_PKi31ggml_cuda_mm_fusion_args_devicePfj15HIP_vector_typeIjLj3EEjjjS8_jjjS8_jjjj.has_indirect_call, 0
	.section	.AMDGPU.csdata,"",@progbits
; Kernel info:
; codeLenInByte = 2120
; TotalNumSgprs: 30
; NumVgprs: 60
; ScratchSize: 0
; MemoryBound: 0
; FloatMode: 240
; IeeeMode: 1
; LDSByteSize: 0 bytes/workgroup (compile time only)
; SGPRBlocks: 0
; VGPRBlocks: 7
; NumSGPRsForWavesPerEU: 30
; NumVGPRsForWavesPerEU: 60
; Occupancy: 16
; WaveLimiterHint : 0
; COMPUTE_PGM_RSRC2:SCRATCH_EN: 0
; COMPUTE_PGM_RSRC2:USER_SGPR: 6
; COMPUTE_PGM_RSRC2:TRAP_HANDLER: 0
; COMPUTE_PGM_RSRC2:TGID_X_EN: 1
; COMPUTE_PGM_RSRC2:TGID_Y_EN: 1
; COMPUTE_PGM_RSRC2:TGID_Z_EN: 1
; COMPUTE_PGM_RSRC2:TIDIG_COMP_CNT: 1
	.section	.text._ZL13mul_mat_vec_qIL9ggml_type41ELi4ELb0ELb0EEvPKvS2_PKi31ggml_cuda_mm_fusion_args_devicePfj15HIP_vector_typeIjLj3EEjjjS8_jjjS8_jjjj,"axG",@progbits,_ZL13mul_mat_vec_qIL9ggml_type41ELi4ELb0ELb0EEvPKvS2_PKi31ggml_cuda_mm_fusion_args_devicePfj15HIP_vector_typeIjLj3EEjjjS8_jjjS8_jjjj,comdat
	.globl	_ZL13mul_mat_vec_qIL9ggml_type41ELi4ELb0ELb0EEvPKvS2_PKi31ggml_cuda_mm_fusion_args_devicePfj15HIP_vector_typeIjLj3EEjjjS8_jjjS8_jjjj ; -- Begin function _ZL13mul_mat_vec_qIL9ggml_type41ELi4ELb0ELb0EEvPKvS2_PKi31ggml_cuda_mm_fusion_args_devicePfj15HIP_vector_typeIjLj3EEjjjS8_jjjS8_jjjj
	.p2align	8
	.type	_ZL13mul_mat_vec_qIL9ggml_type41ELi4ELb0ELb0EEvPKvS2_PKi31ggml_cuda_mm_fusion_args_devicePfj15HIP_vector_typeIjLj3EEjjjS8_jjjS8_jjjj,@function
_ZL13mul_mat_vec_qIL9ggml_type41ELi4ELb0ELb0EEvPKvS2_PKi31ggml_cuda_mm_fusion_args_devicePfj15HIP_vector_typeIjLj3EEjjjS8_jjjS8_jjjj: ; @_ZL13mul_mat_vec_qIL9ggml_type41ELi4ELb0ELb0EEvPKvS2_PKi31ggml_cuda_mm_fusion_args_devicePfj15HIP_vector_typeIjLj3EEjjjS8_jjjS8_jjjj
; %bb.0:
	s_clause 0x5
	s_load_dword s2, s[4:5], 0x40
	s_load_dwordx4 s[12:15], s[4:5], 0x50
	s_load_dword s0, s[4:5], 0x60
	s_load_dwordx4 s[16:19], s[4:5], 0x68
	;; [unrolled: 2-line block ×3, first 2 shown]
	v_lshl_or_b32 v2, v1, 5, v0
	v_mov_b32_e32 v7, 0
	v_mov_b32_e32 v8, 0
	;; [unrolled: 1-line block ×4, first 2 shown]
	v_lshrrev_b32_e32 v10, 2, v2
	s_mov_b32 s9, exec_lo
	s_waitcnt lgkmcnt(0)
	s_lshr_b32 s10, s2, 7
	v_cmpx_gt_u32_e64 s10, v10
	s_cbranch_execz .LBB7_4
; %bb.1:
	s_mul_hi_u32 s2, s15, s7
	s_mul_hi_u32 s3, s19, s8
	s_mul_i32 s15, s17, s7
	s_load_dwordx4 s[24:27], s[4:5], 0x0
	s_add_i32 s17, s7, s2
	s_add_i32 s19, s8, s3
	s_mul_hi_u32 s3, s15, 36
	s_mul_i32 s2, s15, 36
	s_mul_i32 s11, s12, s6
	v_mad_u64_u32 v[2:3], null, 0x90, v10, s[2:3]
	s_mul_i32 s12, s21, s8
	v_and_b32_e32 v4, 3, v0
	s_mul_i32 s15, s12, 36
	s_lshr_b32 s0, s17, s0
	s_mul_hi_u32 s21, s12, 36
	s_lshr_b32 s1, s19, s1
	v_mad_u64_u32 v[2:3], null, s12, 36, v[2:3]
	s_mul_i32 s16, s0, s16
	v_lshlrev_b32_e32 v6, 2, v10
	v_mov_b32_e32 v7, 0
	s_mul_i32 s17, s1, s20
	s_waitcnt lgkmcnt(0)
	s_add_u32 s0, s26, s15
	s_addc_u32 s1, s27, s21
	v_mad_u64_u32 v[8:9], null, v4, 36, v[2:3]
	s_add_u32 s0, s0, s2
	s_addc_u32 s1, s1, s3
	v_lshlrev_b32_e32 v12, 2, v4
	v_mad_u64_u32 v[2:3], null, v4, 36, s[0:1]
	v_mad_u64_u32 v[4:5], null, s13, 3, v[6:7]
	v_add_co_u32 v5, vcc_lo, s26, v8
	v_add_co_ci_u32_e64 v8, null, s27, v9, vcc_lo
	v_add_nc_u32_e32 v13, s13, v6
	v_add_co_u32 v5, vcc_lo, v5, 16
	v_lshl_add_u32 v14, s13, 1, v6
	v_add_co_ci_u32_e64 v6, null, 0, v8, vcc_lo
	v_mov_b32_e32 v15, 0xff0000
	v_mov_b32_e32 v16, 0xff000000
	;; [unrolled: 1-line block ×5, first 2 shown]
	s_add_i32 s16, s16, s11
	s_mov_b32 s11, 0
	s_add_i32 s12, s17, s16
.LBB7_2:                                ; =>This Inner Loop Header: Depth=1
	v_add_nc_u32_e32 v21, s12, v10
	v_mad_u64_u32 v[37:38], null, v13, 36, v[2:3]
	v_mad_u64_u32 v[49:50], null, v14, 36, v[2:3]
	v_mad_i64_i32 v[29:30], null, v21, 18, s[24:25]
	v_mad_u64_u32 v[51:52], null, v4, 36, v[2:3]
	global_load_dwordx4 v[17:20], v[5:6], off offset:-16
	s_clause 0x1
	global_load_dwordx4 v[21:24], v[37:38], off
	global_load_dwordx4 v[25:28], v[49:50], off
	v_add_nc_u32_e32 v10, 8, v10
	v_add_nc_u32_e32 v13, 32, v13
	v_add_co_u32 v31, vcc_lo, v29, v12
	v_add_co_ci_u32_e64 v32, null, 0, v30, vcc_lo
	v_add_nc_u32_e32 v4, 32, v4
	v_add_nc_u32_e32 v14, 32, v14
	s_clause 0x1
	global_load_ushort v53, v[29:30], off
	global_load_dword v54, v[31:32], off offset:2
	s_clause 0x1
	global_load_dwordx4 v[29:32], v[51:52], off
	global_load_dword v55, v[37:38], off offset:32
	global_load_dwordx4 v[33:36], v[5:6], off
	s_clause 0x3
	global_load_dwordx4 v[37:40], v[37:38], off offset:16
	global_load_dwordx4 v[41:44], v[49:50], off offset:16
	;; [unrolled: 1-line block ×3, first 2 shown]
	global_load_dword v49, v[49:50], off offset:32
	global_load_dword v50, v[5:6], off offset:16
	;; [unrolled: 1-line block ×3, first 2 shown]
	v_mov_b32_e32 v52, 0
	s_waitcnt vmcnt(13)
	v_cvt_f32_f16_e32 v17, v17
	s_waitcnt vmcnt(9)
	v_and_b32_e32 v57, 1, v54
	v_and_b32_e32 v56, 8, v54
	;; [unrolled: 1-line block ×3, first 2 shown]
	v_lshlrev_b32_e32 v59, 8, v54
	v_and_b32_e32 v60, 16, v54
	v_cmp_eq_u32_e64 s0, 0, v57
	v_cmp_eq_u32_e32 vcc_lo, 0, v56
	v_and_b32_e32 v56, 0x80, v54
	v_cndmask_b32_e64 v57, 1, 0xff, s0
	v_cmp_eq_u32_e64 s0, 0, v58
	v_and_or_b32 v57, 0x200, v59, v57
	v_cndmask_b32_e64 v58, 0x10000, v15, s0
	v_cndmask_b32_e32 v59, 0x1000000, v16, vcc_lo
	v_cmp_eq_u32_e64 s0, 0, v60
	v_cmp_eq_u32_e32 vcc_lo, 0, v56
	v_add_nc_u32_e32 v57, 0xff00, v57
	v_and_b32_e32 v56, 0x100, v54
	v_cndmask_b32_e64 v60, 1, 0xff, s0
	v_or3_b32 v57, v59, v58, v57
	v_and_b32_e32 v58, 64, v54
	v_lshlrev_b32_e32 v59, 4, v54
	v_dot4c_i32_i8 v52, v57, v18
	v_cmp_eq_u32_e64 s0, 0, v58
	v_and_or_b32 v59, 0x200, v59, v60
	v_cndmask_b32_e32 v60, 0x1000000, v16, vcc_lo
	v_cmp_eq_u32_e32 vcc_lo, 0, v56
	v_mov_b32_e32 v18, 0
	v_cndmask_b32_e64 v58, 0x10000, v15, s0
	v_add_nc_u32_e32 v59, 0xff00, v59
	v_cndmask_b32_e64 v56, 1, 0xff, vcc_lo
	s_waitcnt vmcnt(8)
	v_dot4c_i32_i8 v18, v57, v30
	v_lshrrev_b32_e32 v30, 8, v54
	v_or3_b32 v58, v60, v58, v59
	v_and_b32_e32 v59, 0x400, v54
	v_and_b32_e32 v60, 0x800, v54
	v_and_or_b32 v56, 0x200, v54, v56
	v_dot4c_i32_i8 v52, v58, v19
	v_cmp_eq_u32_e32 vcc_lo, 0, v59
	v_cvt_f32_f16_e32 v19, v21
	v_add_nc_u32_e32 v56, 0xff00, v56
	v_cvt_f32_f16_e32 v21, v29
	v_and_b32_e32 v29, 0x80000, v54
	v_cndmask_b32_e32 v59, 0x10000, v15, vcc_lo
	v_cmp_eq_u32_e32 vcc_lo, 0, v60
	v_dot4c_i32_i8 v18, v58, v31
	v_and_b32_e32 v31, 0x100000, v54
	v_cndmask_b32_e32 v60, 0x1000000, v16, vcc_lo
	v_add_co_u32 v5, vcc_lo, 0x480, v5
	v_add_co_ci_u32_e64 v6, null, 0, v6, vcc_lo
	v_or3_b32 v56, v60, v59, v56
	v_mov_b32_e32 v59, 0
	v_mov_b32_e32 v60, 0
	v_dot4c_i32_i8 v52, v56, v20
	v_dot4c_i32_i8 v59, v57, v22
	v_cvt_f32_f16_e32 v20, v25
	v_and_b32_e32 v25, 0x8000, v54
	v_dot4c_i32_i8 v60, v57, v26
	v_cvt_f32_f16_e32 v22, v53
	v_dot4c_i32_i8 v59, v58, v23
	v_and_b32_e32 v23, 0x1000, v54
	v_and_b32_e32 v53, 0x400000, v54
	v_dot4c_i32_i8 v60, v58, v27
	v_and_b32_e32 v27, 0x10000, v54
	v_dot4c_i32_i8 v59, v56, v24
	v_and_b32_e32 v24, 0x4000, v54
	v_cmp_eq_u32_e64 s3, 0, v23
	v_dot4c_i32_i8 v60, v56, v28
	v_and_b32_e32 v28, 0x40000, v54
	v_lshrrev_b32_e32 v26, 4, v54
	v_and_b32_e32 v57, 0x800000, v54
	v_cndmask_b32_e64 v23, 1, 0xff, s3
	v_cmp_eq_u32_e64 s3, 0, v24
	v_and_b32_e32 v58, 0x10000000, v54
	v_dot4c_i32_i8 v18, v56, v32
	v_and_b32_e32 v32, 0x4000000, v54
	v_and_b32_e32 v56, 0x8000000, v54
	v_cndmask_b32_e64 v24, 0x10000, v15, s3
	v_cmp_eq_u32_e64 s3, 0, v25
	v_cmp_eq_u32_e64 s1, 0, v58
	v_and_b32_e32 v58, 0x1000000, v54
	v_and_or_b32 v23, 0x200, v26, v23
	v_cmp_eq_u32_e32 vcc_lo, 0, v32
	v_cndmask_b32_e64 v25, 0x1000000, v16, s3
	v_cmp_eq_u32_e64 s3, 0, v27
	v_and_b32_e32 v32, 2.0, v54
	v_cmp_eq_u32_e64 s0, 0, v56
	v_lshrrev_b32_e32 v56, 12, v54
	v_add_nc_u32_e32 v23, 0xff00, v23
	v_cndmask_b32_e64 v27, 1, 0xff, s3
	v_cmp_eq_u32_e64 s3, 0, v28
	v_cmp_eq_u32_e64 s2, 0, v32
	v_lshrrev_b32_e32 v32, 16, v54
	v_ashrrev_i32_e32 v54, 28, v54
	v_and_or_b32 v27, 0x200, v30, v27
	v_cndmask_b32_e64 v28, 0x10000, v15, s3
	v_cmp_eq_u32_e64 s3, 0, v29
	v_or3_b32 v23, v25, v24, v23
	v_cndmask_b32_e64 v26, 1, 0xff, s1
	v_add_nc_u32_e32 v27, 0xff00, v27
	v_lshlrev_b32_e32 v30, 8, v54
	v_cndmask_b32_e64 v29, 0x1000000, v16, s3
	v_cmp_eq_u32_e64 s3, 0, v31
	v_and_b32_e32 v54, 8, v54
	s_waitcnt vmcnt(6)
	v_dot4c_i32_i8 v52, v23, v33
	s_waitcnt vmcnt(5)
	v_dot4c_i32_i8 v59, v23, v37
	v_or3_b32 v24, v29, v28, v27
	v_cndmask_b32_e64 v31, 1, 0xff, s3
	v_cmp_eq_u32_e64 s3, 0, v53
	s_waitcnt vmcnt(4)
	v_dot4c_i32_i8 v60, v23, v41
	s_waitcnt vmcnt(3)
	v_dot4c_i32_i8 v18, v23, v45
	v_and_or_b32 v26, 0x200, v30, v26
	v_and_or_b32 v31, 0x200, v56, v31
	v_cndmask_b32_e64 v53, 0x10000, v15, s3
	v_cmp_eq_u32_e64 s3, 0, v57
	v_cndmask_b32_e32 v56, 0x10000, v15, vcc_lo
	v_cmp_eq_u32_e32 vcc_lo, 0, v54
	v_add_nc_u32_e32 v31, 0xff00, v31
	v_dot4c_i32_i8 v52, v24, v34
	v_cndmask_b32_e64 v57, 0x1000000, v16, s3
	v_cmp_eq_u32_e64 s3, 0, v58
	v_dot4c_i32_i8 v59, v24, v38
	v_dot4c_i32_i8 v60, v24, v42
	;; [unrolled: 1-line block ×3, first 2 shown]
	v_or3_b32 v23, v57, v53, v31
	v_cndmask_b32_e64 v58, 1, 0xff, s3
	v_cndmask_b32_e64 v30, 0x10000, v15, s2
	v_cndmask_b32_e32 v54, 0x1000000, v16, vcc_lo
	v_add_nc_u32_e32 v26, 0xff00, v26
	v_dot4c_i32_i8 v52, v23, v35
	v_and_or_b32 v32, 0x200, v32, v58
	v_cndmask_b32_e64 v58, 0x1000000, v16, s0
	v_dot4c_i32_i8 v59, v23, v39
	v_dot4c_i32_i8 v60, v23, v43
	;; [unrolled: 1-line block ×3, first 2 shown]
	v_add_nc_u32_e32 v32, 0xff00, v32
	v_or3_b32 v23, v54, v30, v26
	v_mul_f32_e32 v17, v22, v17
	v_mul_f32_e32 v19, v22, v19
	;; [unrolled: 1-line block ×3, first 2 shown]
	v_or3_b32 v24, v58, v56, v32
	v_mul_f32_e32 v21, v22, v21
	v_cmp_le_u32_e32 vcc_lo, s10, v10
	v_dot4c_i32_i8 v52, v24, v36
	v_dot4c_i32_i8 v59, v24, v40
	v_dot4c_i32_i8 v60, v24, v44
	v_dot4c_i32_i8 v18, v24, v48
	s_or_b32 s11, vcc_lo, s11
	s_waitcnt vmcnt(1)
	v_dot4c_i32_i8 v52, v23, v50
	v_dot4c_i32_i8 v59, v23, v55
	;; [unrolled: 1-line block ×3, first 2 shown]
	s_waitcnt vmcnt(0)
	v_dot4c_i32_i8 v18, v23, v51
	v_cvt_f32_i32_e32 v22, v52
	v_cvt_f32_i32_e32 v23, v59
	v_cvt_f32_i32_e32 v24, v60
	v_cvt_f32_i32_e32 v18, v18
	v_fmac_f32_e32 v11, v17, v22
	v_fmac_f32_e32 v9, v19, v23
	v_fmac_f32_e32 v8, v20, v24
	v_fmac_f32_e32 v7, v21, v18
	s_andn2_b32 exec_lo, exec_lo, s11
	s_cbranch_execnz .LBB7_2
; %bb.3:
	s_or_b32 exec_lo, exec_lo, s11
.LBB7_4:
	s_or_b32 exec_lo, exec_lo, s9
	s_mov_b32 s1, 0
	; wave barrier
	buffer_gl0_inv
	s_mov_b32 s0, exec_lo
	v_cmpx_eq_u32_e32 0, v1
	s_cbranch_execz .LBB7_13
; %bb.5:
	v_mbcnt_lo_u32_b32 v5, -1, 0
	s_load_dwordx2 s[2:3], s[4:5], 0x38
	s_mul_i32 s0, s18, s7
	s_mul_i32 s4, s22, s8
	s_add_i32 s0, s0, s6
	v_xor_b32_e32 v1, 16, v5
	v_xor_b32_e32 v2, 8, v5
	s_add_i32 s0, s0, s4
	s_lshl_b64 s[0:1], s[0:1], 2
	v_cmp_gt_i32_e32 vcc_lo, 32, v1
	v_cndmask_b32_e32 v1, v5, v1, vcc_lo
	v_cmp_gt_i32_e32 vcc_lo, 32, v2
	v_lshlrev_b32_e32 v1, 2, v1
	v_cndmask_b32_e32 v2, v5, v2, vcc_lo
	s_waitcnt lgkmcnt(0)
	s_add_u32 s0, s2, s0
	s_addc_u32 s1, s3, s1
	ds_bpermute_b32 v3, v1, v11
	v_lshlrev_b32_e32 v2, 2, v2
	s_waitcnt lgkmcnt(0)
	v_add_f32_e32 v4, v11, v3
	v_xor_b32_e32 v3, 4, v5
	v_xor_b32_e32 v11, 1, v5
	ds_bpermute_b32 v6, v2, v4
	v_cmp_gt_i32_e32 vcc_lo, 32, v3
	v_cndmask_b32_e32 v3, v5, v3, vcc_lo
	v_lshlrev_b32_e32 v3, 2, v3
	s_waitcnt lgkmcnt(0)
	v_add_f32_e32 v6, v4, v6
	v_xor_b32_e32 v4, 2, v5
	ds_bpermute_b32 v10, v3, v6
	v_cmp_gt_i32_e32 vcc_lo, 32, v4
	v_cndmask_b32_e32 v4, v5, v4, vcc_lo
	v_cmp_gt_i32_e32 vcc_lo, 32, v11
	v_lshlrev_b32_e32 v4, 2, v4
	v_cndmask_b32_e32 v5, v5, v11, vcc_lo
	v_cmp_eq_u32_e32 vcc_lo, 0, v0
	v_lshlrev_b32_e32 v5, 2, v5
	s_waitcnt lgkmcnt(0)
	v_add_f32_e32 v6, v6, v10
	ds_bpermute_b32 v10, v4, v6
	s_waitcnt lgkmcnt(0)
	v_add_f32_e32 v6, v6, v10
	ds_bpermute_b32 v10, v5, v6
	s_and_saveexec_b32 s2, vcc_lo
	s_cbranch_execz .LBB7_7
; %bb.6:
	s_waitcnt lgkmcnt(0)
	v_add_f32_e32 v0, v6, v10
	v_mov_b32_e32 v6, 0
	global_store_dword v6, v0, s[0:1]
.LBB7_7:
	s_or_b32 exec_lo, exec_lo, s2
	ds_bpermute_b32 v0, v1, v9
	s_waitcnt lgkmcnt(0)
	v_add_f32_e32 v0, v9, v0
	ds_bpermute_b32 v6, v2, v0
	s_waitcnt lgkmcnt(0)
	v_add_f32_e32 v0, v0, v6
	;; [unrolled: 3-line block ×4, first 2 shown]
	ds_bpermute_b32 v6, v5, v0
	s_and_saveexec_b32 s2, vcc_lo
	s_cbranch_execz .LBB7_9
; %bb.8:
	s_mov_b32 s15, 0
	s_waitcnt lgkmcnt(0)
	v_add_f32_e32 v0, v0, v6
	s_lshl_b64 s[4:5], s[14:15], 2
	v_mov_b32_e32 v6, 0
	s_add_u32 s4, s0, s4
	s_addc_u32 s5, s1, s5
	global_store_dword v6, v0, s[4:5]
.LBB7_9:
	s_or_b32 exec_lo, exec_lo, s2
	ds_bpermute_b32 v0, v1, v8
	s_waitcnt lgkmcnt(0)
	v_add_f32_e32 v0, v8, v0
	ds_bpermute_b32 v6, v2, v0
	s_waitcnt lgkmcnt(0)
	v_add_f32_e32 v0, v0, v6
	;; [unrolled: 3-line block ×4, first 2 shown]
	ds_bpermute_b32 v6, v5, v0
	s_and_saveexec_b32 s2, vcc_lo
	s_cbranch_execz .LBB7_11
; %bb.10:
	s_lshl_b32 s4, s14, 1
	s_mov_b32 s5, 0
	s_waitcnt lgkmcnt(0)
	v_add_f32_e32 v0, v0, v6
	s_lshl_b64 s[4:5], s[4:5], 2
	v_mov_b32_e32 v6, 0
	s_add_u32 s4, s0, s4
	s_addc_u32 s5, s1, s5
	global_store_dword v6, v0, s[4:5]
.LBB7_11:
	s_or_b32 exec_lo, exec_lo, s2
	ds_bpermute_b32 v0, v1, v7
	s_waitcnt lgkmcnt(0)
	v_add_f32_e32 v0, v7, v0
	ds_bpermute_b32 v1, v2, v0
	s_waitcnt lgkmcnt(0)
	v_add_f32_e32 v0, v0, v1
	;; [unrolled: 3-line block ×4, first 2 shown]
	ds_bpermute_b32 v1, v5, v0
	s_and_b32 exec_lo, exec_lo, vcc_lo
	s_cbranch_execz .LBB7_13
; %bb.12:
	s_mul_i32 s2, s14, 3
	s_mov_b32 s3, 0
	s_waitcnt lgkmcnt(0)
	v_add_f32_e32 v0, v0, v1
	s_lshl_b64 s[2:3], s[2:3], 2
	v_mov_b32_e32 v1, 0
	s_add_u32 s0, s0, s2
	s_addc_u32 s1, s1, s3
	global_store_dword v1, v0, s[0:1]
.LBB7_13:
	s_endpgm
	.section	.rodata,"a",@progbits
	.p2align	6, 0x0
	.amdhsa_kernel _ZL13mul_mat_vec_qIL9ggml_type41ELi4ELb0ELb0EEvPKvS2_PKi31ggml_cuda_mm_fusion_args_devicePfj15HIP_vector_typeIjLj3EEjjjS8_jjjS8_jjjj
		.amdhsa_group_segment_fixed_size 0
		.amdhsa_private_segment_fixed_size 0
		.amdhsa_kernarg_size 144
		.amdhsa_user_sgpr_count 6
		.amdhsa_user_sgpr_private_segment_buffer 1
		.amdhsa_user_sgpr_dispatch_ptr 0
		.amdhsa_user_sgpr_queue_ptr 0
		.amdhsa_user_sgpr_kernarg_segment_ptr 1
		.amdhsa_user_sgpr_dispatch_id 0
		.amdhsa_user_sgpr_flat_scratch_init 0
		.amdhsa_user_sgpr_private_segment_size 0
		.amdhsa_wavefront_size32 1
		.amdhsa_uses_dynamic_stack 0
		.amdhsa_system_sgpr_private_segment_wavefront_offset 0
		.amdhsa_system_sgpr_workgroup_id_x 1
		.amdhsa_system_sgpr_workgroup_id_y 1
		.amdhsa_system_sgpr_workgroup_id_z 1
		.amdhsa_system_sgpr_workgroup_info 0
		.amdhsa_system_vgpr_workitem_id 1
		.amdhsa_next_free_vgpr 61
		.amdhsa_next_free_sgpr 28
		.amdhsa_reserve_vcc 1
		.amdhsa_reserve_flat_scratch 0
		.amdhsa_float_round_mode_32 0
		.amdhsa_float_round_mode_16_64 0
		.amdhsa_float_denorm_mode_32 3
		.amdhsa_float_denorm_mode_16_64 3
		.amdhsa_dx10_clamp 1
		.amdhsa_ieee_mode 1
		.amdhsa_fp16_overflow 0
		.amdhsa_workgroup_processor_mode 1
		.amdhsa_memory_ordered 1
		.amdhsa_forward_progress 1
		.amdhsa_shared_vgpr_count 0
		.amdhsa_exception_fp_ieee_invalid_op 0
		.amdhsa_exception_fp_denorm_src 0
		.amdhsa_exception_fp_ieee_div_zero 0
		.amdhsa_exception_fp_ieee_overflow 0
		.amdhsa_exception_fp_ieee_underflow 0
		.amdhsa_exception_fp_ieee_inexact 0
		.amdhsa_exception_int_div_zero 0
	.end_amdhsa_kernel
	.section	.text._ZL13mul_mat_vec_qIL9ggml_type41ELi4ELb0ELb0EEvPKvS2_PKi31ggml_cuda_mm_fusion_args_devicePfj15HIP_vector_typeIjLj3EEjjjS8_jjjS8_jjjj,"axG",@progbits,_ZL13mul_mat_vec_qIL9ggml_type41ELi4ELb0ELb0EEvPKvS2_PKi31ggml_cuda_mm_fusion_args_devicePfj15HIP_vector_typeIjLj3EEjjjS8_jjjS8_jjjj,comdat
.Lfunc_end7:
	.size	_ZL13mul_mat_vec_qIL9ggml_type41ELi4ELb0ELb0EEvPKvS2_PKi31ggml_cuda_mm_fusion_args_devicePfj15HIP_vector_typeIjLj3EEjjjS8_jjjS8_jjjj, .Lfunc_end7-_ZL13mul_mat_vec_qIL9ggml_type41ELi4ELb0ELb0EEvPKvS2_PKi31ggml_cuda_mm_fusion_args_devicePfj15HIP_vector_typeIjLj3EEjjjS8_jjjS8_jjjj
                                        ; -- End function
	.set _ZL13mul_mat_vec_qIL9ggml_type41ELi4ELb0ELb0EEvPKvS2_PKi31ggml_cuda_mm_fusion_args_devicePfj15HIP_vector_typeIjLj3EEjjjS8_jjjS8_jjjj.num_vgpr, 61
	.set _ZL13mul_mat_vec_qIL9ggml_type41ELi4ELb0ELb0EEvPKvS2_PKi31ggml_cuda_mm_fusion_args_devicePfj15HIP_vector_typeIjLj3EEjjjS8_jjjS8_jjjj.num_agpr, 0
	.set _ZL13mul_mat_vec_qIL9ggml_type41ELi4ELb0ELb0EEvPKvS2_PKi31ggml_cuda_mm_fusion_args_devicePfj15HIP_vector_typeIjLj3EEjjjS8_jjjS8_jjjj.numbered_sgpr, 28
	.set _ZL13mul_mat_vec_qIL9ggml_type41ELi4ELb0ELb0EEvPKvS2_PKi31ggml_cuda_mm_fusion_args_devicePfj15HIP_vector_typeIjLj3EEjjjS8_jjjS8_jjjj.num_named_barrier, 0
	.set _ZL13mul_mat_vec_qIL9ggml_type41ELi4ELb0ELb0EEvPKvS2_PKi31ggml_cuda_mm_fusion_args_devicePfj15HIP_vector_typeIjLj3EEjjjS8_jjjS8_jjjj.private_seg_size, 0
	.set _ZL13mul_mat_vec_qIL9ggml_type41ELi4ELb0ELb0EEvPKvS2_PKi31ggml_cuda_mm_fusion_args_devicePfj15HIP_vector_typeIjLj3EEjjjS8_jjjS8_jjjj.uses_vcc, 1
	.set _ZL13mul_mat_vec_qIL9ggml_type41ELi4ELb0ELb0EEvPKvS2_PKi31ggml_cuda_mm_fusion_args_devicePfj15HIP_vector_typeIjLj3EEjjjS8_jjjS8_jjjj.uses_flat_scratch, 0
	.set _ZL13mul_mat_vec_qIL9ggml_type41ELi4ELb0ELb0EEvPKvS2_PKi31ggml_cuda_mm_fusion_args_devicePfj15HIP_vector_typeIjLj3EEjjjS8_jjjS8_jjjj.has_dyn_sized_stack, 0
	.set _ZL13mul_mat_vec_qIL9ggml_type41ELi4ELb0ELb0EEvPKvS2_PKi31ggml_cuda_mm_fusion_args_devicePfj15HIP_vector_typeIjLj3EEjjjS8_jjjS8_jjjj.has_recursion, 0
	.set _ZL13mul_mat_vec_qIL9ggml_type41ELi4ELb0ELb0EEvPKvS2_PKi31ggml_cuda_mm_fusion_args_devicePfj15HIP_vector_typeIjLj3EEjjjS8_jjjS8_jjjj.has_indirect_call, 0
	.section	.AMDGPU.csdata,"",@progbits
; Kernel info:
; codeLenInByte = 2300
; TotalNumSgprs: 30
; NumVgprs: 61
; ScratchSize: 0
; MemoryBound: 0
; FloatMode: 240
; IeeeMode: 1
; LDSByteSize: 0 bytes/workgroup (compile time only)
; SGPRBlocks: 0
; VGPRBlocks: 7
; NumSGPRsForWavesPerEU: 30
; NumVGPRsForWavesPerEU: 61
; Occupancy: 16
; WaveLimiterHint : 0
; COMPUTE_PGM_RSRC2:SCRATCH_EN: 0
; COMPUTE_PGM_RSRC2:USER_SGPR: 6
; COMPUTE_PGM_RSRC2:TRAP_HANDLER: 0
; COMPUTE_PGM_RSRC2:TGID_X_EN: 1
; COMPUTE_PGM_RSRC2:TGID_Y_EN: 1
; COMPUTE_PGM_RSRC2:TGID_Z_EN: 1
; COMPUTE_PGM_RSRC2:TIDIG_COMP_CNT: 1
	.section	.text._ZL13mul_mat_vec_qIL9ggml_type41ELi5ELb0ELb0EEvPKvS2_PKi31ggml_cuda_mm_fusion_args_devicePfj15HIP_vector_typeIjLj3EEjjjS8_jjjS8_jjjj,"axG",@progbits,_ZL13mul_mat_vec_qIL9ggml_type41ELi5ELb0ELb0EEvPKvS2_PKi31ggml_cuda_mm_fusion_args_devicePfj15HIP_vector_typeIjLj3EEjjjS8_jjjS8_jjjj,comdat
	.globl	_ZL13mul_mat_vec_qIL9ggml_type41ELi5ELb0ELb0EEvPKvS2_PKi31ggml_cuda_mm_fusion_args_devicePfj15HIP_vector_typeIjLj3EEjjjS8_jjjS8_jjjj ; -- Begin function _ZL13mul_mat_vec_qIL9ggml_type41ELi5ELb0ELb0EEvPKvS2_PKi31ggml_cuda_mm_fusion_args_devicePfj15HIP_vector_typeIjLj3EEjjjS8_jjjS8_jjjj
	.p2align	8
	.type	_ZL13mul_mat_vec_qIL9ggml_type41ELi5ELb0ELb0EEvPKvS2_PKi31ggml_cuda_mm_fusion_args_devicePfj15HIP_vector_typeIjLj3EEjjjS8_jjjS8_jjjj,@function
_ZL13mul_mat_vec_qIL9ggml_type41ELi5ELb0ELb0EEvPKvS2_PKi31ggml_cuda_mm_fusion_args_devicePfj15HIP_vector_typeIjLj3EEjjjS8_jjjS8_jjjj: ; @_ZL13mul_mat_vec_qIL9ggml_type41ELi5ELb0ELb0EEvPKvS2_PKi31ggml_cuda_mm_fusion_args_devicePfj15HIP_vector_typeIjLj3EEjjjS8_jjjS8_jjjj
; %bb.0:
	s_clause 0x5
	s_load_dword s9, s[4:5], 0x40
	s_load_dwordx4 s[0:3], s[4:5], 0x50
	s_load_dword s11, s[4:5], 0x60
	s_load_dwordx4 s[12:15], s[4:5], 0x68
	;; [unrolled: 2-line block ×3, first 2 shown]
	v_lshl_or_b32 v2, v1, 5, v0
	v_mov_b32_e32 v7, 0
	v_mov_b32_e32 v8, 0
	;; [unrolled: 1-line block ×4, first 2 shown]
	v_lshrrev_b32_e32 v11, 2, v2
	v_mov_b32_e32 v12, 0
	s_waitcnt lgkmcnt(0)
	s_lshr_b32 s10, s9, 7
	s_mov_b32 s9, exec_lo
	v_cmpx_gt_u32_e64 s10, v11
	s_cbranch_execz .LBB8_4
; %bb.1:
	s_mul_i32 s13, s13, s7
	s_load_dwordx4 s[20:23], s[4:5], 0x0
	s_mul_hi_u32 s27, s13, 36
	s_mul_i32 s26, s13, 36
	s_mul_i32 s17, s17, s8
	v_mad_u64_u32 v[2:3], null, 0x90, v11, s[26:27]
	v_and_b32_e32 v4, 3, v0
	s_mul_hi_u32 s3, s3, s7
	s_mul_hi_u32 s15, s15, s8
	s_add_i32 s3, s7, s3
	s_add_i32 s15, s8, s15
	s_mul_i32 s25, s17, 36
	v_mad_u64_u32 v[2:3], null, s17, 36, v[2:3]
	s_lshr_b32 s3, s3, s11
	s_mul_hi_u32 s19, s17, 36
	s_lshr_b32 s11, s15, s24
	s_mul_i32 s3, s3, s12
	v_mov_b32_e32 v7, 0
	v_lshlrev_b32_e32 v6, 2, v11
	v_mad_u64_u32 v[8:9], null, v4, 36, v[2:3]
	s_waitcnt lgkmcnt(0)
	s_add_u32 s12, s22, s25
	s_addc_u32 s13, s23, s19
	s_add_u32 s12, s12, s26
	s_addc_u32 s13, s13, s27
	v_lshlrev_b32_e32 v13, 2, v4
	v_mad_u64_u32 v[2:3], null, v4, 36, s[12:13]
	v_mad_u64_u32 v[4:5], null, s1, 3, v[6:7]
	v_add_co_u32 v5, vcc_lo, s22, v8
	v_add_co_ci_u32_e64 v8, null, s23, v9, vcc_lo
	s_mul_i32 s0, s0, s6
	v_add_co_u32 v5, vcc_lo, v5, 16
	v_add_lshl_u32 v14, s1, v11, 2
	v_add_nc_u32_e32 v15, s1, v6
	v_lshl_add_u32 v16, s1, 1, v6
	v_add_co_ci_u32_e64 v6, null, 0, v8, vcc_lo
	v_mov_b32_e32 v17, 0xff0000
	v_mov_b32_e32 v18, 0xff000000
	;; [unrolled: 1-line block ×6, first 2 shown]
	s_mul_i32 s11, s11, s16
	s_add_i32 s3, s3, s0
	s_mov_b32 s1, 0
	s_add_i32 s3, s11, s3
.LBB8_2:                                ; =>This Inner Loop Header: Depth=1
	v_add_nc_u32_e32 v27, s3, v11
	v_mad_u64_u32 v[39:40], null, v15, 36, v[2:3]
	v_mad_u64_u32 v[41:42], null, v16, 36, v[2:3]
	v_mad_i64_i32 v[47:48], null, v27, 18, s[20:21]
	v_mad_u64_u32 v[43:44], null, v4, 36, v[2:3]
	s_clause 0x1
	global_load_dwordx4 v[19:22], v[5:6], off offset:-16
	global_load_dwordx4 v[23:26], v[5:6], off
	s_clause 0x2
	global_load_dwordx4 v[27:30], v[39:40], off
	global_load_dwordx4 v[31:34], v[41:42], off
	;; [unrolled: 1-line block ×3, first 2 shown]
	v_add_co_u32 v49, vcc_lo, v47, v13
	v_add_co_ci_u32_e64 v50, null, 0, v48, vcc_lo
	v_mov_b32_e32 v51, 0
	v_mov_b32_e32 v52, 0
	v_mad_u64_u32 v[45:46], null, v14, 36, v[2:3]
	global_load_dword v49, v[49:50], off offset:2
	v_mov_b32_e32 v53, 0
	v_mov_b32_e32 v54, 0
	;; [unrolled: 1-line block ×3, first 2 shown]
	v_add_nc_u32_e32 v11, 8, v11
	v_add_nc_u32_e32 v14, 32, v14
	v_add_nc_u32_e32 v15, 32, v15
	v_add_nc_u32_e32 v4, 32, v4
	v_add_nc_u32_e32 v16, 32, v16
	s_waitcnt vmcnt(5)
	v_cvt_f32_f16_e32 v50, v19
	s_waitcnt vmcnt(2)
	v_cvt_f32_f16_e32 v63, v31
	s_waitcnt vmcnt(0)
	v_and_b32_e32 v56, 1, v49
	v_and_b32_e32 v19, 8, v49
	;; [unrolled: 1-line block ×3, first 2 shown]
	v_lshlrev_b32_e32 v58, 8, v49
	v_and_b32_e32 v59, 16, v49
	v_cmp_eq_u32_e64 s0, 0, v56
	v_cmp_eq_u32_e32 vcc_lo, 0, v19
	v_and_b32_e32 v19, 0x80, v49
	v_cndmask_b32_e64 v56, 1, 0xff, s0
	v_cmp_eq_u32_e64 s0, 0, v57
	v_and_or_b32 v56, 0x200, v58, v56
	v_cndmask_b32_e64 v57, 0x10000, v17, s0
	v_cndmask_b32_e32 v58, 0x1000000, v18, vcc_lo
	v_cmp_eq_u32_e64 s0, 0, v59
	v_cmp_eq_u32_e32 vcc_lo, 0, v19
	v_add_nc_u32_e32 v56, 0xff00, v56
	v_and_b32_e32 v19, 0x100, v49
	v_cndmask_b32_e64 v59, 1, 0xff, s0
	v_or3_b32 v56, v58, v57, v56
	v_and_b32_e32 v57, 64, v49
	v_lshlrev_b32_e32 v58, 4, v49
	v_dot4c_i32_i8 v51, v56, v20
	v_cmp_eq_u32_e64 s0, 0, v57
	v_and_or_b32 v58, 0x200, v58, v59
	v_cndmask_b32_e32 v59, 0x1000000, v18, vcc_lo
	v_cmp_eq_u32_e32 vcc_lo, 0, v19
	v_dot4c_i32_i8 v52, v56, v28
	v_cndmask_b32_e64 v57, 0x10000, v17, s0
	v_add_nc_u32_e32 v58, 0xff00, v58
	v_dot4c_i32_i8 v53, v56, v32
	v_cndmask_b32_e64 v19, 1, 0xff, vcc_lo
	v_dot4c_i32_i8 v54, v56, v36
	v_or3_b32 v57, v59, v57, v58
	v_and_b32_e32 v58, 0x400, v49
	v_and_b32_e32 v59, 0x800, v49
	v_and_or_b32 v19, 0x200, v49, v19
	v_dot4c_i32_i8 v51, v57, v21
	v_cmp_eq_u32_e32 vcc_lo, 0, v58
	v_dot4c_i32_i8 v52, v57, v29
	v_add_nc_u32_e32 v19, 0xff00, v19
	v_dot4c_i32_i8 v53, v57, v33
	v_dot4c_i32_i8 v54, v57, v37
	v_cndmask_b32_e32 v58, 0x10000, v17, vcc_lo
	v_cmp_eq_u32_e32 vcc_lo, 0, v59
	v_cndmask_b32_e32 v59, 0x1000000, v18, vcc_lo
	v_or3_b32 v58, v59, v58, v19
	v_cvt_f32_f16_e32 v59, v27
	v_dot4c_i32_i8 v51, v58, v22
	global_load_dwordx4 v[19:22], v[39:40], off offset:16
	v_dot4c_i32_i8 v52, v58, v30
	s_clause 0x3
	global_load_dwordx4 v[27:30], v[45:46], off
	global_load_dword v60, v[39:40], off offset:32
	global_load_dword v61, v[43:44], off offset:32
	;; [unrolled: 1-line block ×3, first 2 shown]
	v_dot4c_i32_i8 v53, v58, v34
	global_load_dwordx4 v[31:34], v[43:44], off offset:16
	v_cvt_f32_f16_e32 v43, v35
	v_dot4c_i32_i8 v54, v58, v38
	s_clause 0x1
	global_load_dwordx4 v[35:38], v[41:42], off offset:16
	global_load_dword v44, v[45:46], off offset:32
	global_load_ushort v47, v[47:48], off
	global_load_dwordx4 v[39:42], v[45:46], off offset:16
	v_lshrrev_b32_e32 v45, 4, v49
	v_and_b32_e32 v46, 0x10000, v49
	v_and_b32_e32 v48, 0x40000, v49
	s_waitcnt vmcnt(8)
	v_dot4c_i32_i8 v55, v56, v28
	v_and_b32_e32 v28, 0x1000, v49
	v_cvt_f32_f16_e32 v27, v27
	v_dot4c_i32_i8 v55, v57, v29
	v_cmp_eq_u32_e64 s0, 0, v28
	v_and_b32_e32 v29, 0x8000, v49
	s_waitcnt vmcnt(1)
	v_cvt_f32_f16_e32 v47, v47
	v_dot4c_i32_i8 v55, v58, v30
	v_and_b32_e32 v30, 0x4000, v49
	v_cndmask_b32_e64 v28, 1, 0xff, s0
	v_cmp_eq_u32_e32 vcc_lo, 0, v29
	v_and_b32_e32 v29, 0x80000, v49
	v_mul_f32_e32 v50, v47, v50
	v_cmp_eq_u32_e64 s0, 0, v30
	v_and_or_b32 v28, 0x200, v45, v28
	v_cndmask_b32_e32 v45, 0x1000000, v18, vcc_lo
	v_cmp_eq_u32_e32 vcc_lo, 0, v29
	v_and_b32_e32 v29, 0x800000, v49
	v_cndmask_b32_e64 v30, 0x10000, v17, s0
	v_add_nc_u32_e32 v28, 0xff00, v28
	v_cmp_eq_u32_e64 s0, 0, v46
	v_mul_f32_e32 v56, v47, v59
	v_mul_f32_e32 v57, v47, v63
	;; [unrolled: 1-line block ×3, first 2 shown]
	v_or3_b32 v28, v45, v30, v28
	v_lshrrev_b32_e32 v30, 8, v49
	v_cndmask_b32_e64 v46, 1, 0xff, s0
	v_and_b32_e32 v45, 0x100000, v49
	v_cmp_eq_u32_e64 s0, 0, v48
	v_mul_f32_e32 v27, v47, v27
	v_and_b32_e32 v47, 2.0, v49
	v_and_or_b32 v30, 0x200, v30, v46
	v_cndmask_b32_e32 v46, 0x1000000, v18, vcc_lo
	v_cndmask_b32_e64 v48, 0x10000, v17, s0
	v_cmp_eq_u32_e64 s0, 0, v45
	v_cmp_eq_u32_e32 vcc_lo, 0, v29
	v_add_nc_u32_e32 v30, 0xff00, v30
	v_and_b32_e32 v29, 0x8000000, v49
	v_dot4c_i32_i8 v51, v28, v23
	v_cndmask_b32_e64 v45, 1, 0xff, s0
	v_dot4c_i32_i8 v52, v28, v19
	v_or3_b32 v30, v46, v48, v30
	v_and_b32_e32 v46, 0x400000, v49
	v_lshrrev_b32_e32 v48, 12, v49
	v_dot4c_i32_i8 v53, v28, v35
	v_dot4c_i32_i8 v54, v28, v31
	s_waitcnt vmcnt(0)
	v_dot4c_i32_i8 v55, v28, v39
	v_cmp_eq_u32_e64 s0, 0, v46
	v_and_or_b32 v45, 0x200, v48, v45
	v_cndmask_b32_e32 v48, 0x1000000, v18, vcc_lo
	v_cmp_eq_u32_e32 vcc_lo, 0, v29
	v_lshrrev_b32_e32 v29, 16, v49
	v_cndmask_b32_e64 v46, 0x10000, v17, s0
	v_add_nc_u32_e32 v45, 0xff00, v45
	v_dot4c_i32_i8 v51, v30, v24
	v_dot4c_i32_i8 v52, v30, v20
	;; [unrolled: 1-line block ×4, first 2 shown]
	v_or3_b32 v45, v48, v46, v45
	v_and_b32_e32 v46, 0x1000000, v49
	v_and_b32_e32 v48, 0x4000000, v49
	v_dot4c_i32_i8 v55, v30, v40
	v_dot4c_i32_i8 v51, v45, v25
	v_cmp_eq_u32_e64 s0, 0, v46
	v_dot4c_i32_i8 v52, v45, v21
	v_dot4c_i32_i8 v53, v45, v37
	;; [unrolled: 1-line block ×4, first 2 shown]
	v_cndmask_b32_e64 v46, 1, 0xff, s0
	v_cmp_eq_u32_e64 s0, 0, v48
	v_and_or_b32 v29, 0x200, v29, v46
	v_cndmask_b32_e64 v48, 0x10000, v17, s0
	v_cndmask_b32_e32 v46, 0x1000000, v18, vcc_lo
	v_add_nc_u32_e32 v29, 0xff00, v29
	v_or3_b32 v29, v46, v48, v29
	global_load_dword v46, v[5:6], off offset:16
	v_and_b32_e32 v48, 0x10000000, v49
	v_ashrrev_i32_e32 v49, 28, v49
	v_add_co_u32 v5, vcc_lo, 0x480, v5
	v_dot4c_i32_i8 v51, v29, v26
	v_cmp_eq_u32_e64 s0, 0, v48
	v_dot4c_i32_i8 v52, v29, v22
	v_dot4c_i32_i8 v53, v29, v38
	;; [unrolled: 1-line block ×4, first 2 shown]
	v_cndmask_b32_e64 v48, 1, 0xff, s0
	v_cmp_eq_u32_e64 s0, 0, v47
	v_lshlrev_b32_e32 v47, 8, v49
	v_and_b32_e32 v49, 8, v49
	v_add_co_ci_u32_e64 v6, null, 0, v6, vcc_lo
	v_cmp_le_u32_e32 vcc_lo, s10, v11
	v_and_or_b32 v47, 0x200, v47, v48
	v_cndmask_b32_e64 v48, 0x10000, v17, s0
	v_cmp_eq_u32_e64 s0, 0, v49
	s_or_b32 s1, vcc_lo, s1
	v_add_nc_u32_e32 v47, 0xff00, v47
	v_cndmask_b32_e64 v49, 0x1000000, v18, s0
	v_or3_b32 v47, v49, v48, v47
	v_dot4c_i32_i8 v52, v47, v60
	v_dot4c_i32_i8 v53, v47, v62
	v_dot4c_i32_i8 v54, v47, v61
	v_dot4c_i32_i8 v55, v47, v44
	v_cvt_f32_i32_e32 v20, v52
	v_cvt_f32_i32_e32 v21, v53
	v_cvt_f32_i32_e32 v22, v54
	v_cvt_f32_i32_e32 v23, v55
	v_fmac_f32_e32 v10, v56, v20
	v_fmac_f32_e32 v9, v57, v21
	;; [unrolled: 1-line block ×4, first 2 shown]
	s_waitcnt vmcnt(0)
	v_dot4c_i32_i8 v51, v47, v46
	v_cvt_f32_i32_e32 v19, v51
	v_fmac_f32_e32 v12, v50, v19
	s_andn2_b32 exec_lo, exec_lo, s1
	s_cbranch_execnz .LBB8_2
; %bb.3:
	s_or_b32 exec_lo, exec_lo, s1
.LBB8_4:
	s_or_b32 exec_lo, exec_lo, s9
	s_mov_b32 s1, 0
	; wave barrier
	buffer_gl0_inv
	s_mov_b32 s0, exec_lo
	v_cmpx_eq_u32_e32 0, v1
	s_cbranch_execz .LBB8_15
; %bb.5:
	v_mbcnt_lo_u32_b32 v5, -1, 0
	s_load_dwordx2 s[4:5], s[4:5], 0x38
	s_mul_i32 s0, s14, s7
	s_mul_i32 s3, s18, s8
	s_add_i32 s0, s0, s6
	v_xor_b32_e32 v1, 16, v5
	v_xor_b32_e32 v2, 8, v5
	s_add_i32 s0, s0, s3
	s_lshl_b64 s[0:1], s[0:1], 2
	v_cmp_gt_i32_e32 vcc_lo, 32, v1
	v_cndmask_b32_e32 v1, v5, v1, vcc_lo
	v_cmp_gt_i32_e32 vcc_lo, 32, v2
	v_lshlrev_b32_e32 v1, 2, v1
	v_cndmask_b32_e32 v2, v5, v2, vcc_lo
	s_waitcnt lgkmcnt(0)
	s_add_u32 s0, s4, s0
	s_addc_u32 s1, s5, s1
	ds_bpermute_b32 v3, v1, v12
	v_lshlrev_b32_e32 v2, 2, v2
	s_waitcnt lgkmcnt(0)
	v_add_f32_e32 v4, v12, v3
	v_xor_b32_e32 v3, 4, v5
	v_xor_b32_e32 v12, 1, v5
	ds_bpermute_b32 v6, v2, v4
	v_cmp_gt_i32_e32 vcc_lo, 32, v3
	v_cndmask_b32_e32 v3, v5, v3, vcc_lo
	v_lshlrev_b32_e32 v3, 2, v3
	s_waitcnt lgkmcnt(0)
	v_add_f32_e32 v6, v4, v6
	v_xor_b32_e32 v4, 2, v5
	ds_bpermute_b32 v11, v3, v6
	v_cmp_gt_i32_e32 vcc_lo, 32, v4
	v_cndmask_b32_e32 v4, v5, v4, vcc_lo
	v_cmp_gt_i32_e32 vcc_lo, 32, v12
	v_lshlrev_b32_e32 v4, 2, v4
	v_cndmask_b32_e32 v5, v5, v12, vcc_lo
	v_cmp_eq_u32_e32 vcc_lo, 0, v0
	v_lshlrev_b32_e32 v5, 2, v5
	s_waitcnt lgkmcnt(0)
	v_add_f32_e32 v6, v6, v11
	ds_bpermute_b32 v11, v4, v6
	s_waitcnt lgkmcnt(0)
	v_add_f32_e32 v6, v6, v11
	ds_bpermute_b32 v11, v5, v6
	s_and_saveexec_b32 s3, vcc_lo
	s_cbranch_execz .LBB8_7
; %bb.6:
	s_waitcnt lgkmcnt(0)
	v_add_f32_e32 v0, v6, v11
	v_mov_b32_e32 v6, 0
	global_store_dword v6, v0, s[0:1]
.LBB8_7:
	s_or_b32 exec_lo, exec_lo, s3
	ds_bpermute_b32 v0, v1, v10
	s_waitcnt lgkmcnt(0)
	v_add_f32_e32 v0, v10, v0
	ds_bpermute_b32 v6, v2, v0
	s_waitcnt lgkmcnt(0)
	v_add_f32_e32 v0, v0, v6
	;; [unrolled: 3-line block ×4, first 2 shown]
	ds_bpermute_b32 v6, v5, v0
	s_and_saveexec_b32 s4, vcc_lo
	s_cbranch_execz .LBB8_9
; %bb.8:
	s_mov_b32 s3, 0
	s_waitcnt lgkmcnt(0)
	v_add_f32_e32 v0, v0, v6
	s_lshl_b64 s[6:7], s[2:3], 2
	v_mov_b32_e32 v6, 0
	s_add_u32 s6, s0, s6
	s_addc_u32 s7, s1, s7
	global_store_dword v6, v0, s[6:7]
.LBB8_9:
	s_or_b32 exec_lo, exec_lo, s4
	ds_bpermute_b32 v0, v1, v9
	s_waitcnt lgkmcnt(0)
	v_add_f32_e32 v0, v9, v0
	ds_bpermute_b32 v6, v2, v0
	s_waitcnt lgkmcnt(0)
	v_add_f32_e32 v0, v0, v6
	;; [unrolled: 3-line block ×4, first 2 shown]
	ds_bpermute_b32 v6, v5, v0
	s_and_saveexec_b32 s3, vcc_lo
	s_cbranch_execz .LBB8_11
; %bb.10:
	s_lshl_b32 s4, s2, 1
	s_mov_b32 s5, 0
	s_waitcnt lgkmcnt(0)
	v_add_f32_e32 v0, v0, v6
	s_lshl_b64 s[4:5], s[4:5], 2
	v_mov_b32_e32 v6, 0
	s_add_u32 s4, s0, s4
	s_addc_u32 s5, s1, s5
	global_store_dword v6, v0, s[4:5]
.LBB8_11:
	s_or_b32 exec_lo, exec_lo, s3
	ds_bpermute_b32 v0, v1, v8
	s_waitcnt lgkmcnt(0)
	v_add_f32_e32 v0, v8, v0
	ds_bpermute_b32 v6, v2, v0
	s_waitcnt lgkmcnt(0)
	v_add_f32_e32 v0, v0, v6
	;; [unrolled: 3-line block ×4, first 2 shown]
	ds_bpermute_b32 v6, v5, v0
	s_and_saveexec_b32 s3, vcc_lo
	s_cbranch_execz .LBB8_13
; %bb.12:
	s_mul_i32 s4, s2, 3
	s_mov_b32 s5, 0
	s_waitcnt lgkmcnt(0)
	v_add_f32_e32 v0, v0, v6
	s_lshl_b64 s[4:5], s[4:5], 2
	v_mov_b32_e32 v6, 0
	s_add_u32 s4, s0, s4
	s_addc_u32 s5, s1, s5
	global_store_dword v6, v0, s[4:5]
.LBB8_13:
	s_or_b32 exec_lo, exec_lo, s3
	ds_bpermute_b32 v0, v1, v7
	s_waitcnt lgkmcnt(0)
	v_add_f32_e32 v0, v7, v0
	ds_bpermute_b32 v1, v2, v0
	s_waitcnt lgkmcnt(0)
	v_add_f32_e32 v0, v0, v1
	ds_bpermute_b32 v1, v3, v0
	s_waitcnt lgkmcnt(0)
	v_add_f32_e32 v0, v0, v1
	ds_bpermute_b32 v1, v4, v0
	s_waitcnt lgkmcnt(0)
	v_add_f32_e32 v0, v0, v1
	ds_bpermute_b32 v1, v5, v0
	s_and_b32 exec_lo, exec_lo, vcc_lo
	s_cbranch_execz .LBB8_15
; %bb.14:
	s_lshl_b32 s2, s2, 2
	s_mov_b32 s3, 0
	s_waitcnt lgkmcnt(0)
	v_add_f32_e32 v0, v0, v1
	s_lshl_b64 s[2:3], s[2:3], 2
	v_mov_b32_e32 v1, 0
	s_add_u32 s0, s0, s2
	s_addc_u32 s1, s1, s3
	global_store_dword v1, v0, s[0:1]
.LBB8_15:
	s_endpgm
	.section	.rodata,"a",@progbits
	.p2align	6, 0x0
	.amdhsa_kernel _ZL13mul_mat_vec_qIL9ggml_type41ELi5ELb0ELb0EEvPKvS2_PKi31ggml_cuda_mm_fusion_args_devicePfj15HIP_vector_typeIjLj3EEjjjS8_jjjS8_jjjj
		.amdhsa_group_segment_fixed_size 0
		.amdhsa_private_segment_fixed_size 0
		.amdhsa_kernarg_size 144
		.amdhsa_user_sgpr_count 6
		.amdhsa_user_sgpr_private_segment_buffer 1
		.amdhsa_user_sgpr_dispatch_ptr 0
		.amdhsa_user_sgpr_queue_ptr 0
		.amdhsa_user_sgpr_kernarg_segment_ptr 1
		.amdhsa_user_sgpr_dispatch_id 0
		.amdhsa_user_sgpr_flat_scratch_init 0
		.amdhsa_user_sgpr_private_segment_size 0
		.amdhsa_wavefront_size32 1
		.amdhsa_uses_dynamic_stack 0
		.amdhsa_system_sgpr_private_segment_wavefront_offset 0
		.amdhsa_system_sgpr_workgroup_id_x 1
		.amdhsa_system_sgpr_workgroup_id_y 1
		.amdhsa_system_sgpr_workgroup_id_z 1
		.amdhsa_system_sgpr_workgroup_info 0
		.amdhsa_system_vgpr_workitem_id 1
		.amdhsa_next_free_vgpr 64
		.amdhsa_next_free_sgpr 28
		.amdhsa_reserve_vcc 1
		.amdhsa_reserve_flat_scratch 0
		.amdhsa_float_round_mode_32 0
		.amdhsa_float_round_mode_16_64 0
		.amdhsa_float_denorm_mode_32 3
		.amdhsa_float_denorm_mode_16_64 3
		.amdhsa_dx10_clamp 1
		.amdhsa_ieee_mode 1
		.amdhsa_fp16_overflow 0
		.amdhsa_workgroup_processor_mode 1
		.amdhsa_memory_ordered 1
		.amdhsa_forward_progress 1
		.amdhsa_shared_vgpr_count 0
		.amdhsa_exception_fp_ieee_invalid_op 0
		.amdhsa_exception_fp_denorm_src 0
		.amdhsa_exception_fp_ieee_div_zero 0
		.amdhsa_exception_fp_ieee_overflow 0
		.amdhsa_exception_fp_ieee_underflow 0
		.amdhsa_exception_fp_ieee_inexact 0
		.amdhsa_exception_int_div_zero 0
	.end_amdhsa_kernel
	.section	.text._ZL13mul_mat_vec_qIL9ggml_type41ELi5ELb0ELb0EEvPKvS2_PKi31ggml_cuda_mm_fusion_args_devicePfj15HIP_vector_typeIjLj3EEjjjS8_jjjS8_jjjj,"axG",@progbits,_ZL13mul_mat_vec_qIL9ggml_type41ELi5ELb0ELb0EEvPKvS2_PKi31ggml_cuda_mm_fusion_args_devicePfj15HIP_vector_typeIjLj3EEjjjS8_jjjS8_jjjj,comdat
.Lfunc_end8:
	.size	_ZL13mul_mat_vec_qIL9ggml_type41ELi5ELb0ELb0EEvPKvS2_PKi31ggml_cuda_mm_fusion_args_devicePfj15HIP_vector_typeIjLj3EEjjjS8_jjjS8_jjjj, .Lfunc_end8-_ZL13mul_mat_vec_qIL9ggml_type41ELi5ELb0ELb0EEvPKvS2_PKi31ggml_cuda_mm_fusion_args_devicePfj15HIP_vector_typeIjLj3EEjjjS8_jjjS8_jjjj
                                        ; -- End function
	.set _ZL13mul_mat_vec_qIL9ggml_type41ELi5ELb0ELb0EEvPKvS2_PKi31ggml_cuda_mm_fusion_args_devicePfj15HIP_vector_typeIjLj3EEjjjS8_jjjS8_jjjj.num_vgpr, 64
	.set _ZL13mul_mat_vec_qIL9ggml_type41ELi5ELb0ELb0EEvPKvS2_PKi31ggml_cuda_mm_fusion_args_devicePfj15HIP_vector_typeIjLj3EEjjjS8_jjjS8_jjjj.num_agpr, 0
	.set _ZL13mul_mat_vec_qIL9ggml_type41ELi5ELb0ELb0EEvPKvS2_PKi31ggml_cuda_mm_fusion_args_devicePfj15HIP_vector_typeIjLj3EEjjjS8_jjjS8_jjjj.numbered_sgpr, 28
	.set _ZL13mul_mat_vec_qIL9ggml_type41ELi5ELb0ELb0EEvPKvS2_PKi31ggml_cuda_mm_fusion_args_devicePfj15HIP_vector_typeIjLj3EEjjjS8_jjjS8_jjjj.num_named_barrier, 0
	.set _ZL13mul_mat_vec_qIL9ggml_type41ELi5ELb0ELb0EEvPKvS2_PKi31ggml_cuda_mm_fusion_args_devicePfj15HIP_vector_typeIjLj3EEjjjS8_jjjS8_jjjj.private_seg_size, 0
	.set _ZL13mul_mat_vec_qIL9ggml_type41ELi5ELb0ELb0EEvPKvS2_PKi31ggml_cuda_mm_fusion_args_devicePfj15HIP_vector_typeIjLj3EEjjjS8_jjjS8_jjjj.uses_vcc, 1
	.set _ZL13mul_mat_vec_qIL9ggml_type41ELi5ELb0ELb0EEvPKvS2_PKi31ggml_cuda_mm_fusion_args_devicePfj15HIP_vector_typeIjLj3EEjjjS8_jjjS8_jjjj.uses_flat_scratch, 0
	.set _ZL13mul_mat_vec_qIL9ggml_type41ELi5ELb0ELb0EEvPKvS2_PKi31ggml_cuda_mm_fusion_args_devicePfj15HIP_vector_typeIjLj3EEjjjS8_jjjS8_jjjj.has_dyn_sized_stack, 0
	.set _ZL13mul_mat_vec_qIL9ggml_type41ELi5ELb0ELb0EEvPKvS2_PKi31ggml_cuda_mm_fusion_args_devicePfj15HIP_vector_typeIjLj3EEjjjS8_jjjS8_jjjj.has_recursion, 0
	.set _ZL13mul_mat_vec_qIL9ggml_type41ELi5ELb0ELb0EEvPKvS2_PKi31ggml_cuda_mm_fusion_args_devicePfj15HIP_vector_typeIjLj3EEjjjS8_jjjS8_jjjj.has_indirect_call, 0
	.section	.AMDGPU.csdata,"",@progbits
; Kernel info:
; codeLenInByte = 2504
; TotalNumSgprs: 30
; NumVgprs: 64
; ScratchSize: 0
; MemoryBound: 0
; FloatMode: 240
; IeeeMode: 1
; LDSByteSize: 0 bytes/workgroup (compile time only)
; SGPRBlocks: 0
; VGPRBlocks: 7
; NumSGPRsForWavesPerEU: 30
; NumVGPRsForWavesPerEU: 64
; Occupancy: 16
; WaveLimiterHint : 0
; COMPUTE_PGM_RSRC2:SCRATCH_EN: 0
; COMPUTE_PGM_RSRC2:USER_SGPR: 6
; COMPUTE_PGM_RSRC2:TRAP_HANDLER: 0
; COMPUTE_PGM_RSRC2:TGID_X_EN: 1
; COMPUTE_PGM_RSRC2:TGID_Y_EN: 1
; COMPUTE_PGM_RSRC2:TGID_Z_EN: 1
; COMPUTE_PGM_RSRC2:TIDIG_COMP_CNT: 1
	.section	.text._ZL13mul_mat_vec_qIL9ggml_type41ELi6ELb0ELb0EEvPKvS2_PKi31ggml_cuda_mm_fusion_args_devicePfj15HIP_vector_typeIjLj3EEjjjS8_jjjS8_jjjj,"axG",@progbits,_ZL13mul_mat_vec_qIL9ggml_type41ELi6ELb0ELb0EEvPKvS2_PKi31ggml_cuda_mm_fusion_args_devicePfj15HIP_vector_typeIjLj3EEjjjS8_jjjS8_jjjj,comdat
	.globl	_ZL13mul_mat_vec_qIL9ggml_type41ELi6ELb0ELb0EEvPKvS2_PKi31ggml_cuda_mm_fusion_args_devicePfj15HIP_vector_typeIjLj3EEjjjS8_jjjS8_jjjj ; -- Begin function _ZL13mul_mat_vec_qIL9ggml_type41ELi6ELb0ELb0EEvPKvS2_PKi31ggml_cuda_mm_fusion_args_devicePfj15HIP_vector_typeIjLj3EEjjjS8_jjjS8_jjjj
	.p2align	8
	.type	_ZL13mul_mat_vec_qIL9ggml_type41ELi6ELb0ELb0EEvPKvS2_PKi31ggml_cuda_mm_fusion_args_devicePfj15HIP_vector_typeIjLj3EEjjjS8_jjjS8_jjjj,@function
_ZL13mul_mat_vec_qIL9ggml_type41ELi6ELb0ELb0EEvPKvS2_PKi31ggml_cuda_mm_fusion_args_devicePfj15HIP_vector_typeIjLj3EEjjjS8_jjjS8_jjjj: ; @_ZL13mul_mat_vec_qIL9ggml_type41ELi6ELb0ELb0EEvPKvS2_PKi31ggml_cuda_mm_fusion_args_devicePfj15HIP_vector_typeIjLj3EEjjjS8_jjjS8_jjjj
; %bb.0:
	s_clause 0x5
	s_load_dword s9, s[4:5], 0x40
	s_load_dwordx4 s[0:3], s[4:5], 0x50
	s_load_dword s11, s[4:5], 0x60
	s_load_dwordx4 s[12:15], s[4:5], 0x68
	;; [unrolled: 2-line block ×3, first 2 shown]
	v_lshl_or_b32 v2, v1, 5, v0
	v_mov_b32_e32 v8, 0
	v_mov_b32_e32 v9, 0
	;; [unrolled: 1-line block ×4, first 2 shown]
	v_lshrrev_b32_e32 v13, 2, v2
	v_mov_b32_e32 v12, 0
	v_mov_b32_e32 v14, 0
	s_waitcnt lgkmcnt(0)
	s_lshr_b32 s10, s9, 7
	s_mov_b32 s9, exec_lo
	v_cmpx_gt_u32_e64 s10, v13
	s_cbranch_execz .LBB9_4
; %bb.1:
	s_mul_i32 s13, s13, s7
	s_load_dwordx4 s[20:23], s[4:5], 0x0
	s_mul_hi_u32 s27, s13, 36
	s_mul_i32 s26, s13, 36
	s_mul_i32 s17, s17, s8
	v_mad_u64_u32 v[2:3], null, 0x90, v13, s[26:27]
	v_and_b32_e32 v6, 3, v0
	s_mul_hi_u32 s3, s3, s7
	s_mul_hi_u32 s15, s15, s8
	s_add_i32 s3, s7, s3
	s_add_i32 s15, s8, s15
	s_mul_i32 s25, s17, 36
	v_mad_u64_u32 v[4:5], null, s17, 36, v[2:3]
	s_lshr_b32 s3, s3, s11
	s_mul_hi_u32 s19, s17, 36
	s_lshr_b32 s11, s15, s24
	v_mov_b32_e32 v8, 0
	v_lshlrev_b32_e32 v7, 2, v13
	s_mul_i32 s3, s3, s12
	v_mad_u64_u32 v[9:10], null, v6, 36, v[4:5]
	s_waitcnt lgkmcnt(0)
	s_add_u32 s12, s22, s25
	s_addc_u32 s13, s23, s19
	s_add_u32 s12, s12, s26
	s_addc_u32 s13, s13, s27
	v_mad_u64_u32 v[4:5], null, s1, 5, v[7:8]
	v_lshlrev_b32_e32 v15, 2, v6
	v_mad_u64_u32 v[2:3], null, v6, 36, s[12:13]
	v_mad_u64_u32 v[5:6], null, s1, 3, v[7:8]
	v_add_co_u32 v6, vcc_lo, s22, v9
	v_add_co_ci_u32_e64 v9, null, s23, v10, vcc_lo
	s_mul_i32 s0, s0, s6
	v_add_co_u32 v6, vcc_lo, v6, 16
	v_add_lshl_u32 v16, s1, v13, 2
	v_add_nc_u32_e32 v17, s1, v7
	v_lshl_add_u32 v18, s1, 1, v7
	v_add_co_ci_u32_e64 v7, null, 0, v9, vcc_lo
	v_mov_b32_e32 v19, 0xff0000
	v_mov_b32_e32 v20, 0xff000000
	;; [unrolled: 1-line block ×7, first 2 shown]
	s_mul_i32 s11, s11, s16
	s_add_i32 s3, s3, s0
	s_mov_b32 s0, 0
	s_add_i32 s1, s11, s3
.LBB9_2:                                ; =>This Inner Loop Header: Depth=1
	v_add_nc_u32_e32 v21, s1, v13
	v_mov_b32_e32 v39, 0
	v_add_nc_u32_e32 v13, 8, v13
	v_mad_i64_i32 v[21:22], null, v21, 18, s[20:21]
	global_load_ushort v23, v[21:22], off
	v_add_co_u32 v21, vcc_lo, v21, v15
	v_add_co_ci_u32_e64 v22, null, 0, v22, vcc_lo
	global_load_dword v24, v[21:22], off offset:2
	s_waitcnt vmcnt(1)
	v_cvt_f32_f16_e32 v37, v23
	s_waitcnt vmcnt(0)
	v_and_b32_e32 v21, 1, v24
	v_and_b32_e32 v22, 4, v24
	;; [unrolled: 1-line block ×3, first 2 shown]
	v_lshlrev_b32_e32 v26, 8, v24
	v_lshlrev_b32_e32 v27, 4, v24
	v_cmp_eq_u32_e32 vcc_lo, 0, v21
	v_lshrrev_b32_e32 v28, 4, v24
	v_cndmask_b32_e64 v21, 1, 0xff, vcc_lo
	v_cmp_eq_u32_e32 vcc_lo, 0, v22
	v_and_or_b32 v21, 0x200, v26, v21
	v_cndmask_b32_e32 v22, 0x10000, v19, vcc_lo
	v_cmp_eq_u32_e32 vcc_lo, 0, v25
	v_and_b32_e32 v26, 0x80, v24
	v_add_nc_u32_e32 v21, 0xff00, v21
	v_cndmask_b32_e32 v25, 0x1000000, v20, vcc_lo
	v_or3_b32 v21, v25, v22, v21
	v_and_b32_e32 v22, 16, v24
	v_and_b32_e32 v25, 64, v24
	v_cmp_eq_u32_e32 vcc_lo, 0, v22
	v_cndmask_b32_e64 v22, 1, 0xff, vcc_lo
	v_cmp_eq_u32_e32 vcc_lo, 0, v25
	v_and_or_b32 v22, 0x200, v27, v22
	v_cndmask_b32_e32 v25, 0x10000, v19, vcc_lo
	v_cmp_eq_u32_e32 vcc_lo, 0, v26
	v_and_b32_e32 v27, 0x800, v24
	v_add_nc_u32_e32 v22, 0xff00, v22
	v_cndmask_b32_e32 v26, 0x1000000, v20, vcc_lo
	v_or3_b32 v22, v26, v25, v22
	v_and_b32_e32 v25, 0x100, v24
	v_and_b32_e32 v26, 0x400, v24
	v_cmp_eq_u32_e32 vcc_lo, 0, v25
	v_cndmask_b32_e64 v25, 1, 0xff, vcc_lo
	v_cmp_eq_u32_e32 vcc_lo, 0, v26
	v_and_or_b32 v25, 0x200, v24, v25
	v_cndmask_b32_e32 v26, 0x10000, v19, vcc_lo
	v_cmp_eq_u32_e32 vcc_lo, 0, v27
	v_add_nc_u32_e32 v25, 0xff00, v25
	v_cndmask_b32_e32 v27, 0x1000000, v20, vcc_lo
	v_or3_b32 v31, v27, v26, v25
	v_and_b32_e32 v25, 0x1000, v24
	v_and_b32_e32 v26, 0x4000, v24
	v_and_b32_e32 v27, 0x8000, v24
	v_cmp_eq_u32_e32 vcc_lo, 0, v25
	v_cndmask_b32_e64 v25, 1, 0xff, vcc_lo
	v_cmp_eq_u32_e32 vcc_lo, 0, v26
	v_and_or_b32 v25, 0x200, v28, v25
	v_cndmask_b32_e32 v26, 0x10000, v19, vcc_lo
	v_cmp_eq_u32_e32 vcc_lo, 0, v27
	v_lshrrev_b32_e32 v28, 8, v24
	v_add_nc_u32_e32 v25, 0xff00, v25
	v_cndmask_b32_e32 v27, 0x1000000, v20, vcc_lo
	v_or3_b32 v32, v27, v26, v25
	v_and_b32_e32 v25, 0x10000, v24
	v_and_b32_e32 v26, 0x40000, v24
	v_and_b32_e32 v27, 0x80000, v24
	v_cmp_eq_u32_e32 vcc_lo, 0, v25
	v_cndmask_b32_e64 v25, 1, 0xff, vcc_lo
	v_cmp_eq_u32_e32 vcc_lo, 0, v26
	v_and_or_b32 v25, 0x200, v28, v25
	v_cndmask_b32_e32 v26, 0x10000, v19, vcc_lo
	v_cmp_eq_u32_e32 vcc_lo, 0, v27
	v_lshrrev_b32_e32 v28, 12, v24
	;; [unrolled: 13-line block ×3, first 2 shown]
	v_add_nc_u32_e32 v25, 0xff00, v25
	v_cndmask_b32_e32 v27, 0x1000000, v20, vcc_lo
	v_or3_b32 v34, v27, v26, v25
	v_and_b32_e32 v25, 0x1000000, v24
	v_and_b32_e32 v26, 0x4000000, v24
	;; [unrolled: 1-line block ×3, first 2 shown]
	v_cmp_eq_u32_e32 vcc_lo, 0, v25
	v_cndmask_b32_e64 v25, 1, 0xff, vcc_lo
	v_cmp_eq_u32_e32 vcc_lo, 0, v26
	v_and_or_b32 v25, 0x200, v28, v25
	v_cndmask_b32_e32 v26, 0x10000, v19, vcc_lo
	v_cmp_eq_u32_e32 vcc_lo, 0, v27
	v_add_nc_u32_e32 v25, 0xff00, v25
	v_cndmask_b32_e32 v27, 0x1000000, v20, vcc_lo
	v_or3_b32 v35, v27, v26, v25
	v_and_b32_e32 v26, 0x10000000, v24
	v_ashrrev_i32_e32 v25, 28, v24
	v_and_b32_e32 v24, 2.0, v24
	v_cmp_eq_u32_e32 vcc_lo, 0, v26
	v_and_b32_e32 v27, 8, v25
	v_lshlrev_b32_e32 v25, 8, v25
	v_cndmask_b32_e64 v26, 1, 0xff, vcc_lo
	v_cmp_eq_u32_e32 vcc_lo, 0, v24
	v_and_or_b32 v25, 0x200, v25, v26
	v_cndmask_b32_e32 v24, 0x10000, v19, vcc_lo
	v_cmp_eq_u32_e32 vcc_lo, 0, v27
	v_add_nc_u32_e32 v25, 0xff00, v25
	v_cndmask_b32_e32 v27, 0x1000000, v20, vcc_lo
	v_or3_b32 v36, v27, v24, v25
	s_clause 0x2
	global_load_dwordx4 v[23:26], v[6:7], off offset:-16
	global_load_dword v38, v[6:7], off offset:16
	global_load_dwordx4 v[27:30], v[6:7], off
	v_add_co_u32 v6, vcc_lo, 0x480, v6
	v_add_co_ci_u32_e64 v7, null, 0, v7, vcc_lo
	v_cmp_le_u32_e32 vcc_lo, s10, v13
	s_or_b32 s0, vcc_lo, s0
	s_waitcnt vmcnt(2)
	v_dot4c_i32_i8 v39, v21, v24
	v_cvt_f32_f16_e32 v23, v23
	v_dot4c_i32_i8 v39, v22, v25
	v_mul_f32_e32 v23, v37, v23
	v_dot4c_i32_i8 v39, v31, v26
	s_waitcnt vmcnt(0)
	v_dot4c_i32_i8 v39, v32, v27
	v_dot4c_i32_i8 v39, v33, v28
	v_mad_u64_u32 v[27:28], null, v17, 36, v[2:3]
	v_add_nc_u32_e32 v17, 32, v17
	v_dot4c_i32_i8 v39, v34, v29
	v_dot4c_i32_i8 v39, v35, v30
	v_dot4c_i32_i8 v39, v36, v38
	v_cvt_f32_i32_e32 v24, v39
	v_mov_b32_e32 v39, 0
	v_fmac_f32_e32 v14, v23, v24
	s_clause 0x2
	global_load_dwordx4 v[23:26], v[27:28], off
	global_load_dword v38, v[27:28], off offset:32
	global_load_dwordx4 v[27:30], v[27:28], off offset:16
	s_waitcnt vmcnt(2)
	v_dot4c_i32_i8 v39, v21, v24
	v_cvt_f32_f16_e32 v23, v23
	v_dot4c_i32_i8 v39, v22, v25
	v_mul_f32_e32 v23, v37, v23
	v_dot4c_i32_i8 v39, v31, v26
	s_waitcnt vmcnt(0)
	v_dot4c_i32_i8 v39, v32, v27
	v_dot4c_i32_i8 v39, v33, v28
	v_mad_u64_u32 v[27:28], null, v18, 36, v[2:3]
	v_add_nc_u32_e32 v18, 32, v18
	v_dot4c_i32_i8 v39, v34, v29
	v_dot4c_i32_i8 v39, v35, v30
	v_dot4c_i32_i8 v39, v36, v38
	v_cvt_f32_i32_e32 v24, v39
	v_mov_b32_e32 v39, 0
	v_fmac_f32_e32 v12, v23, v24
	s_clause 0x2
	global_load_dwordx4 v[23:26], v[27:28], off
	global_load_dword v38, v[27:28], off offset:32
	global_load_dwordx4 v[27:30], v[27:28], off offset:16
	;; [unrolled: 21-line block ×5, first 2 shown]
	s_waitcnt vmcnt(2)
	v_dot4c_i32_i8 v39, v21, v24
	v_cvt_f32_f16_e32 v21, v23
	v_dot4c_i32_i8 v39, v22, v25
	v_mul_f32_e32 v21, v37, v21
	v_dot4c_i32_i8 v39, v31, v26
	s_waitcnt vmcnt(0)
	v_dot4c_i32_i8 v39, v32, v27
	v_dot4c_i32_i8 v39, v33, v28
	;; [unrolled: 1-line block ×5, first 2 shown]
	v_cvt_f32_i32_e32 v22, v39
	v_fmac_f32_e32 v8, v21, v22
	s_andn2_b32 exec_lo, exec_lo, s0
	s_cbranch_execnz .LBB9_2
; %bb.3:
	s_or_b32 exec_lo, exec_lo, s0
.LBB9_4:
	s_or_b32 exec_lo, exec_lo, s9
	s_mov_b32 s1, 0
	; wave barrier
	buffer_gl0_inv
	s_mov_b32 s0, exec_lo
	v_cmpx_eq_u32_e32 0, v1
	s_cbranch_execz .LBB9_17
; %bb.5:
	v_mbcnt_lo_u32_b32 v5, -1, 0
	s_load_dwordx2 s[4:5], s[4:5], 0x38
	s_mul_i32 s0, s14, s7
	s_mul_i32 s3, s18, s8
	s_add_i32 s0, s0, s6
	v_xor_b32_e32 v1, 16, v5
	v_xor_b32_e32 v2, 8, v5
	;; [unrolled: 1-line block ×3, first 2 shown]
	s_add_i32 s0, s0, s3
	s_lshl_b64 s[0:1], s[0:1], 2
	v_cmp_gt_i32_e32 vcc_lo, 32, v1
	v_cndmask_b32_e32 v1, v5, v1, vcc_lo
	v_cmp_gt_i32_e32 vcc_lo, 32, v2
	v_lshlrev_b32_e32 v1, 2, v1
	v_cndmask_b32_e32 v2, v5, v2, vcc_lo
	s_waitcnt lgkmcnt(0)
	s_add_u32 s0, s4, s0
	s_addc_u32 s1, s5, s1
	ds_bpermute_b32 v3, v1, v14
	v_lshlrev_b32_e32 v2, 2, v2
	s_waitcnt lgkmcnt(0)
	v_add_f32_e32 v4, v14, v3
	v_xor_b32_e32 v3, 4, v5
	ds_bpermute_b32 v6, v2, v4
	v_cmp_gt_i32_e32 vcc_lo, 32, v3
	v_cndmask_b32_e32 v3, v5, v3, vcc_lo
	v_lshlrev_b32_e32 v3, 2, v3
	s_waitcnt lgkmcnt(0)
	v_add_f32_e32 v6, v4, v6
	v_xor_b32_e32 v4, 2, v5
	ds_bpermute_b32 v7, v3, v6
	v_cmp_gt_i32_e32 vcc_lo, 32, v4
	v_cndmask_b32_e32 v4, v5, v4, vcc_lo
	v_cmp_gt_i32_e32 vcc_lo, 32, v13
	v_lshlrev_b32_e32 v4, 2, v4
	v_cndmask_b32_e32 v5, v5, v13, vcc_lo
	v_cmp_eq_u32_e32 vcc_lo, 0, v0
	v_lshlrev_b32_e32 v5, 2, v5
	s_waitcnt lgkmcnt(0)
	v_add_f32_e32 v6, v6, v7
	ds_bpermute_b32 v7, v4, v6
	s_waitcnt lgkmcnt(0)
	v_add_f32_e32 v6, v6, v7
	ds_bpermute_b32 v7, v5, v6
	s_and_saveexec_b32 s3, vcc_lo
	s_cbranch_execz .LBB9_7
; %bb.6:
	s_waitcnt lgkmcnt(0)
	v_add_f32_e32 v0, v6, v7
	v_mov_b32_e32 v6, 0
	global_store_dword v6, v0, s[0:1]
.LBB9_7:
	s_or_b32 exec_lo, exec_lo, s3
	ds_bpermute_b32 v0, v1, v12
	s_waitcnt lgkmcnt(0)
	v_add_f32_e32 v0, v12, v0
	ds_bpermute_b32 v6, v2, v0
	s_waitcnt lgkmcnt(0)
	v_add_f32_e32 v0, v0, v6
	;; [unrolled: 3-line block ×4, first 2 shown]
	ds_bpermute_b32 v6, v5, v0
	s_and_saveexec_b32 s4, vcc_lo
	s_cbranch_execz .LBB9_9
; %bb.8:
	s_mov_b32 s3, 0
	s_waitcnt lgkmcnt(0)
	v_add_f32_e32 v0, v0, v6
	s_lshl_b64 s[6:7], s[2:3], 2
	v_mov_b32_e32 v6, 0
	s_add_u32 s6, s0, s6
	s_addc_u32 s7, s1, s7
	global_store_dword v6, v0, s[6:7]
.LBB9_9:
	s_or_b32 exec_lo, exec_lo, s4
	ds_bpermute_b32 v0, v1, v11
	s_waitcnt lgkmcnt(0)
	v_add_f32_e32 v0, v11, v0
	ds_bpermute_b32 v6, v2, v0
	s_waitcnt lgkmcnt(0)
	v_add_f32_e32 v0, v0, v6
	;; [unrolled: 3-line block ×4, first 2 shown]
	ds_bpermute_b32 v6, v5, v0
	s_and_saveexec_b32 s3, vcc_lo
	s_cbranch_execz .LBB9_11
; %bb.10:
	s_lshl_b32 s4, s2, 1
	s_mov_b32 s5, 0
	s_waitcnt lgkmcnt(0)
	v_add_f32_e32 v0, v0, v6
	s_lshl_b64 s[4:5], s[4:5], 2
	v_mov_b32_e32 v6, 0
	s_add_u32 s4, s0, s4
	s_addc_u32 s5, s1, s5
	global_store_dword v6, v0, s[4:5]
.LBB9_11:
	s_or_b32 exec_lo, exec_lo, s3
	ds_bpermute_b32 v0, v1, v10
	s_waitcnt lgkmcnt(0)
	v_add_f32_e32 v0, v10, v0
	ds_bpermute_b32 v6, v2, v0
	s_waitcnt lgkmcnt(0)
	v_add_f32_e32 v0, v0, v6
	;; [unrolled: 3-line block ×4, first 2 shown]
	ds_bpermute_b32 v6, v5, v0
	s_and_saveexec_b32 s3, vcc_lo
	s_cbranch_execz .LBB9_13
; %bb.12:
	s_mul_i32 s4, s2, 3
	s_mov_b32 s5, 0
	s_waitcnt lgkmcnt(0)
	v_add_f32_e32 v0, v0, v6
	s_lshl_b64 s[4:5], s[4:5], 2
	v_mov_b32_e32 v6, 0
	s_add_u32 s4, s0, s4
	s_addc_u32 s5, s1, s5
	global_store_dword v6, v0, s[4:5]
.LBB9_13:
	s_or_b32 exec_lo, exec_lo, s3
	ds_bpermute_b32 v0, v1, v9
	s_waitcnt lgkmcnt(0)
	v_add_f32_e32 v0, v9, v0
	ds_bpermute_b32 v6, v2, v0
	s_waitcnt lgkmcnt(0)
	v_add_f32_e32 v0, v0, v6
	;; [unrolled: 3-line block ×4, first 2 shown]
	ds_bpermute_b32 v6, v5, v0
	s_and_saveexec_b32 s3, vcc_lo
	s_cbranch_execz .LBB9_15
; %bb.14:
	s_lshl_b32 s4, s2, 2
	s_mov_b32 s5, 0
	s_waitcnt lgkmcnt(0)
	v_add_f32_e32 v0, v0, v6
	s_lshl_b64 s[4:5], s[4:5], 2
	v_mov_b32_e32 v6, 0
	s_add_u32 s4, s0, s4
	s_addc_u32 s5, s1, s5
	global_store_dword v6, v0, s[4:5]
.LBB9_15:
	s_or_b32 exec_lo, exec_lo, s3
	ds_bpermute_b32 v0, v1, v8
	s_waitcnt lgkmcnt(0)
	v_add_f32_e32 v0, v8, v0
	ds_bpermute_b32 v1, v2, v0
	s_waitcnt lgkmcnt(0)
	v_add_f32_e32 v0, v0, v1
	;; [unrolled: 3-line block ×4, first 2 shown]
	ds_bpermute_b32 v1, v5, v0
	s_and_b32 exec_lo, exec_lo, vcc_lo
	s_cbranch_execz .LBB9_17
; %bb.16:
	s_mul_i32 s2, s2, 5
	s_mov_b32 s3, 0
	s_waitcnt lgkmcnt(0)
	v_add_f32_e32 v0, v0, v1
	s_lshl_b64 s[2:3], s[2:3], 2
	v_mov_b32_e32 v1, 0
	s_add_u32 s0, s0, s2
	s_addc_u32 s1, s1, s3
	global_store_dword v1, v0, s[0:1]
.LBB9_17:
	s_endpgm
	.section	.rodata,"a",@progbits
	.p2align	6, 0x0
	.amdhsa_kernel _ZL13mul_mat_vec_qIL9ggml_type41ELi6ELb0ELb0EEvPKvS2_PKi31ggml_cuda_mm_fusion_args_devicePfj15HIP_vector_typeIjLj3EEjjjS8_jjjS8_jjjj
		.amdhsa_group_segment_fixed_size 0
		.amdhsa_private_segment_fixed_size 0
		.amdhsa_kernarg_size 144
		.amdhsa_user_sgpr_count 6
		.amdhsa_user_sgpr_private_segment_buffer 1
		.amdhsa_user_sgpr_dispatch_ptr 0
		.amdhsa_user_sgpr_queue_ptr 0
		.amdhsa_user_sgpr_kernarg_segment_ptr 1
		.amdhsa_user_sgpr_dispatch_id 0
		.amdhsa_user_sgpr_flat_scratch_init 0
		.amdhsa_user_sgpr_private_segment_size 0
		.amdhsa_wavefront_size32 1
		.amdhsa_uses_dynamic_stack 0
		.amdhsa_system_sgpr_private_segment_wavefront_offset 0
		.amdhsa_system_sgpr_workgroup_id_x 1
		.amdhsa_system_sgpr_workgroup_id_y 1
		.amdhsa_system_sgpr_workgroup_id_z 1
		.amdhsa_system_sgpr_workgroup_info 0
		.amdhsa_system_vgpr_workitem_id 1
		.amdhsa_next_free_vgpr 40
		.amdhsa_next_free_sgpr 28
		.amdhsa_reserve_vcc 1
		.amdhsa_reserve_flat_scratch 0
		.amdhsa_float_round_mode_32 0
		.amdhsa_float_round_mode_16_64 0
		.amdhsa_float_denorm_mode_32 3
		.amdhsa_float_denorm_mode_16_64 3
		.amdhsa_dx10_clamp 1
		.amdhsa_ieee_mode 1
		.amdhsa_fp16_overflow 0
		.amdhsa_workgroup_processor_mode 1
		.amdhsa_memory_ordered 1
		.amdhsa_forward_progress 1
		.amdhsa_shared_vgpr_count 0
		.amdhsa_exception_fp_ieee_invalid_op 0
		.amdhsa_exception_fp_denorm_src 0
		.amdhsa_exception_fp_ieee_div_zero 0
		.amdhsa_exception_fp_ieee_overflow 0
		.amdhsa_exception_fp_ieee_underflow 0
		.amdhsa_exception_fp_ieee_inexact 0
		.amdhsa_exception_int_div_zero 0
	.end_amdhsa_kernel
	.section	.text._ZL13mul_mat_vec_qIL9ggml_type41ELi6ELb0ELb0EEvPKvS2_PKi31ggml_cuda_mm_fusion_args_devicePfj15HIP_vector_typeIjLj3EEjjjS8_jjjS8_jjjj,"axG",@progbits,_ZL13mul_mat_vec_qIL9ggml_type41ELi6ELb0ELb0EEvPKvS2_PKi31ggml_cuda_mm_fusion_args_devicePfj15HIP_vector_typeIjLj3EEjjjS8_jjjS8_jjjj,comdat
.Lfunc_end9:
	.size	_ZL13mul_mat_vec_qIL9ggml_type41ELi6ELb0ELb0EEvPKvS2_PKi31ggml_cuda_mm_fusion_args_devicePfj15HIP_vector_typeIjLj3EEjjjS8_jjjS8_jjjj, .Lfunc_end9-_ZL13mul_mat_vec_qIL9ggml_type41ELi6ELb0ELb0EEvPKvS2_PKi31ggml_cuda_mm_fusion_args_devicePfj15HIP_vector_typeIjLj3EEjjjS8_jjjS8_jjjj
                                        ; -- End function
	.set _ZL13mul_mat_vec_qIL9ggml_type41ELi6ELb0ELb0EEvPKvS2_PKi31ggml_cuda_mm_fusion_args_devicePfj15HIP_vector_typeIjLj3EEjjjS8_jjjS8_jjjj.num_vgpr, 40
	.set _ZL13mul_mat_vec_qIL9ggml_type41ELi6ELb0ELb0EEvPKvS2_PKi31ggml_cuda_mm_fusion_args_devicePfj15HIP_vector_typeIjLj3EEjjjS8_jjjS8_jjjj.num_agpr, 0
	.set _ZL13mul_mat_vec_qIL9ggml_type41ELi6ELb0ELb0EEvPKvS2_PKi31ggml_cuda_mm_fusion_args_devicePfj15HIP_vector_typeIjLj3EEjjjS8_jjjS8_jjjj.numbered_sgpr, 28
	.set _ZL13mul_mat_vec_qIL9ggml_type41ELi6ELb0ELb0EEvPKvS2_PKi31ggml_cuda_mm_fusion_args_devicePfj15HIP_vector_typeIjLj3EEjjjS8_jjjS8_jjjj.num_named_barrier, 0
	.set _ZL13mul_mat_vec_qIL9ggml_type41ELi6ELb0ELb0EEvPKvS2_PKi31ggml_cuda_mm_fusion_args_devicePfj15HIP_vector_typeIjLj3EEjjjS8_jjjS8_jjjj.private_seg_size, 0
	.set _ZL13mul_mat_vec_qIL9ggml_type41ELi6ELb0ELb0EEvPKvS2_PKi31ggml_cuda_mm_fusion_args_devicePfj15HIP_vector_typeIjLj3EEjjjS8_jjjS8_jjjj.uses_vcc, 1
	.set _ZL13mul_mat_vec_qIL9ggml_type41ELi6ELb0ELb0EEvPKvS2_PKi31ggml_cuda_mm_fusion_args_devicePfj15HIP_vector_typeIjLj3EEjjjS8_jjjS8_jjjj.uses_flat_scratch, 0
	.set _ZL13mul_mat_vec_qIL9ggml_type41ELi6ELb0ELb0EEvPKvS2_PKi31ggml_cuda_mm_fusion_args_devicePfj15HIP_vector_typeIjLj3EEjjjS8_jjjS8_jjjj.has_dyn_sized_stack, 0
	.set _ZL13mul_mat_vec_qIL9ggml_type41ELi6ELb0ELb0EEvPKvS2_PKi31ggml_cuda_mm_fusion_args_devicePfj15HIP_vector_typeIjLj3EEjjjS8_jjjS8_jjjj.has_recursion, 0
	.set _ZL13mul_mat_vec_qIL9ggml_type41ELi6ELb0ELb0EEvPKvS2_PKi31ggml_cuda_mm_fusion_args_devicePfj15HIP_vector_typeIjLj3EEjjjS8_jjjS8_jjjj.has_indirect_call, 0
	.section	.AMDGPU.csdata,"",@progbits
; Kernel info:
; codeLenInByte = 2676
; TotalNumSgprs: 30
; NumVgprs: 40
; ScratchSize: 0
; MemoryBound: 0
; FloatMode: 240
; IeeeMode: 1
; LDSByteSize: 0 bytes/workgroup (compile time only)
; SGPRBlocks: 0
; VGPRBlocks: 4
; NumSGPRsForWavesPerEU: 30
; NumVGPRsForWavesPerEU: 40
; Occupancy: 16
; WaveLimiterHint : 0
; COMPUTE_PGM_RSRC2:SCRATCH_EN: 0
; COMPUTE_PGM_RSRC2:USER_SGPR: 6
; COMPUTE_PGM_RSRC2:TRAP_HANDLER: 0
; COMPUTE_PGM_RSRC2:TGID_X_EN: 1
; COMPUTE_PGM_RSRC2:TGID_Y_EN: 1
; COMPUTE_PGM_RSRC2:TGID_Z_EN: 1
; COMPUTE_PGM_RSRC2:TIDIG_COMP_CNT: 1
	.section	.text._ZL13mul_mat_vec_qIL9ggml_type41ELi7ELb0ELb0EEvPKvS2_PKi31ggml_cuda_mm_fusion_args_devicePfj15HIP_vector_typeIjLj3EEjjjS8_jjjS8_jjjj,"axG",@progbits,_ZL13mul_mat_vec_qIL9ggml_type41ELi7ELb0ELb0EEvPKvS2_PKi31ggml_cuda_mm_fusion_args_devicePfj15HIP_vector_typeIjLj3EEjjjS8_jjjS8_jjjj,comdat
	.globl	_ZL13mul_mat_vec_qIL9ggml_type41ELi7ELb0ELb0EEvPKvS2_PKi31ggml_cuda_mm_fusion_args_devicePfj15HIP_vector_typeIjLj3EEjjjS8_jjjS8_jjjj ; -- Begin function _ZL13mul_mat_vec_qIL9ggml_type41ELi7ELb0ELb0EEvPKvS2_PKi31ggml_cuda_mm_fusion_args_devicePfj15HIP_vector_typeIjLj3EEjjjS8_jjjS8_jjjj
	.p2align	8
	.type	_ZL13mul_mat_vec_qIL9ggml_type41ELi7ELb0ELb0EEvPKvS2_PKi31ggml_cuda_mm_fusion_args_devicePfj15HIP_vector_typeIjLj3EEjjjS8_jjjS8_jjjj,@function
_ZL13mul_mat_vec_qIL9ggml_type41ELi7ELb0ELb0EEvPKvS2_PKi31ggml_cuda_mm_fusion_args_devicePfj15HIP_vector_typeIjLj3EEjjjS8_jjjS8_jjjj: ; @_ZL13mul_mat_vec_qIL9ggml_type41ELi7ELb0ELb0EEvPKvS2_PKi31ggml_cuda_mm_fusion_args_devicePfj15HIP_vector_typeIjLj3EEjjjS8_jjjS8_jjjj
; %bb.0:
	s_clause 0x5
	s_load_dword s9, s[4:5], 0x40
	s_load_dwordx4 s[0:3], s[4:5], 0x50
	s_load_dword s11, s[4:5], 0x60
	s_load_dwordx4 s[12:15], s[4:5], 0x68
	;; [unrolled: 2-line block ×3, first 2 shown]
	v_lshl_or_b32 v2, v1, 5, v0
	v_mov_b32_e32 v9, 0
	v_mov_b32_e32 v10, 0
	;; [unrolled: 1-line block ×4, first 2 shown]
	v_lshrrev_b32_e32 v15, 2, v2
	v_mov_b32_e32 v13, 0
	v_mov_b32_e32 v14, 0
	v_mov_b32_e32 v16, 0
	s_waitcnt lgkmcnt(0)
	s_lshr_b32 s10, s9, 7
	s_mov_b32 s9, exec_lo
	v_cmpx_gt_u32_e64 s10, v15
	s_cbranch_execz .LBB10_4
; %bb.1:
	s_mul_i32 s13, s13, s7
	s_load_dwordx4 s[20:23], s[4:5], 0x0
	s_mul_hi_u32 s27, s13, 36
	s_mul_i32 s26, s13, 36
	s_mul_i32 s17, s17, s8
	v_mad_u64_u32 v[2:3], null, 0x90, v15, s[26:27]
	s_mul_hi_u32 s3, s3, s7
	v_and_b32_e32 v6, 3, v0
	s_mul_hi_u32 s15, s15, s8
	s_add_i32 s3, s7, s3
	s_add_i32 s15, s8, s15
	s_mul_i32 s25, s17, 36
	v_mad_u64_u32 v[4:5], null, s17, 36, v[2:3]
	s_lshr_b32 s3, s3, s11
	s_mul_hi_u32 s19, s17, 36
	s_lshr_b32 s11, s15, s24
	v_lshlrev_b32_e32 v8, 2, v15
	v_mov_b32_e32 v9, 0
	s_mul_i32 s3, s3, s12
	v_mad_u64_u32 v[10:11], null, v6, 36, v[4:5]
	s_waitcnt lgkmcnt(0)
	s_add_u32 s12, s22, s25
	s_addc_u32 s13, s23, s19
	s_add_u32 s12, s12, s26
	s_addc_u32 s13, s13, s27
	v_mad_u64_u32 v[4:5], null, s1, 6, v[8:9]
	v_lshlrev_b32_e32 v17, 2, v6
	v_mad_u64_u32 v[2:3], null, v6, 36, s[12:13]
	v_mad_u64_u32 v[5:6], null, s1, 5, v[8:9]
	;; [unrolled: 1-line block ×3, first 2 shown]
	v_add_co_u32 v7, vcc_lo, s22, v10
	v_add_co_ci_u32_e64 v10, null, s23, v11, vcc_lo
	s_mul_i32 s0, s0, s6
	v_add_co_u32 v7, vcc_lo, v7, 16
	v_add_lshl_u32 v18, s1, v15, 2
	v_add_nc_u32_e32 v19, s1, v8
	v_lshl_add_u32 v20, s1, 1, v8
	v_add_co_ci_u32_e64 v8, null, 0, v10, vcc_lo
	v_mov_b32_e32 v21, 0xff0000
	v_mov_b32_e32 v22, 0xff000000
	v_mov_b32_e32 v10, 0
	v_mov_b32_e32 v11, 0
	v_mov_b32_e32 v12, 0
	v_mov_b32_e32 v13, 0
	v_mov_b32_e32 v14, 0
	v_mov_b32_e32 v16, 0
	s_mul_i32 s11, s11, s16
	s_add_i32 s3, s3, s0
	s_add_i32 s11, s11, s3
	s_mov_b32 s3, 0
.LBB10_2:                               ; =>This Inner Loop Header: Depth=1
	v_add_nc_u32_e32 v31, s11, v15
	v_mad_u64_u32 v[43:44], null, v19, 36, v[2:3]
	s_clause 0x1
	global_load_dwordx4 v[23:26], v[7:8], off offset:-16
	global_load_dwordx4 v[27:30], v[7:8], off
	v_mov_b32_e32 v51, 0
	v_mad_i64_i32 v[49:50], null, v31, 18, s[20:21]
	v_mad_u64_u32 v[45:46], null, v20, 36, v[2:3]
	s_clause 0x1
	global_load_dwordx4 v[31:34], v[43:44], off
	global_load_dwordx4 v[35:38], v[43:44], off offset:16
	v_mad_u64_u32 v[47:48], null, v6, 36, v[2:3]
	v_mov_b32_e32 v54, 0
	v_add_co_u32 v39, vcc_lo, v49, v17
	v_add_co_ci_u32_e64 v40, null, 0, v50, vcc_lo
	v_mov_b32_e32 v53, 0
	v_mov_b32_e32 v52, 0
	;; [unrolled: 1-line block ×3, first 2 shown]
	global_load_dword v55, v[39:40], off offset:2
	v_add_nc_u32_e32 v15, 8, v15
	v_add_nc_u32_e32 v19, 32, v19
	;; [unrolled: 1-line block ×4, first 2 shown]
	s_waitcnt vmcnt(2)
	v_cvt_f32_f16_e32 v60, v31
	s_waitcnt vmcnt(0)
	v_and_b32_e32 v39, 1, v55
	v_and_b32_e32 v40, 4, v55
	;; [unrolled: 1-line block ×3, first 2 shown]
	v_lshlrev_b32_e32 v42, 8, v55
	v_and_b32_e32 v56, 16, v55
	v_cmp_eq_u32_e64 s0, 0, v39
	v_and_b32_e32 v57, 64, v55
	v_cmp_eq_u32_e32 vcc_lo, 0, v41
	v_and_b32_e32 v58, 0x80, v55
	v_and_b32_e32 v41, 0x800, v55
	v_cndmask_b32_e64 v39, 1, 0xff, s0
	v_cmp_eq_u32_e64 s0, 0, v40
	v_and_or_b32 v39, 0x200, v42, v39
	v_cndmask_b32_e64 v40, 0x10000, v21, s0
	v_cndmask_b32_e32 v42, 0x1000000, v22, vcc_lo
	v_cmp_eq_u32_e64 s0, 0, v56
	v_cmp_eq_u32_e32 vcc_lo, 0, v41
	v_add_nc_u32_e32 v39, 0xff00, v39
	v_and_b32_e32 v41, 0x400, v55
	v_or3_b32 v59, v42, v40, v39
	v_cndmask_b32_e64 v42, 1, 0xff, s0
	v_cmp_eq_u32_e64 s0, 0, v57
	v_and_b32_e32 v40, 0x100, v55
	v_lshlrev_b32_e32 v39, 4, v55
	v_dot4c_i32_i8 v51, v59, v24
	v_dot4c_i32_i8 v52, v59, v32
	v_cndmask_b32_e64 v56, 0x10000, v21, s0
	v_cmp_eq_u32_e64 s0, 0, v58
	v_and_or_b32 v39, 0x200, v39, v42
	v_cndmask_b32_e32 v42, 0x1000000, v22, vcc_lo
	v_cvt_f32_f16_e32 v58, v23
	v_cndmask_b32_e64 v57, 0x1000000, v22, s0
	v_cmp_eq_u32_e64 s0, 0, v40
	v_add_nc_u32_e32 v39, 0xff00, v39
	v_cndmask_b32_e64 v40, 1, 0xff, s0
	v_cmp_eq_u32_e64 s0, 0, v41
	v_or3_b32 v56, v57, v56, v39
	v_and_or_b32 v40, 0x200, v55, v40
	v_cndmask_b32_e64 v41, 0x10000, v21, s0
	v_dot4c_i32_i8 v51, v56, v25
	v_dot4c_i32_i8 v52, v56, v33
	v_add_nc_u32_e32 v40, 0xff00, v40
	v_or3_b32 v57, v42, v41, v40
	global_load_dwordx4 v[39:42], v[45:46], off
	v_dot4c_i32_i8 v51, v57, v26
	global_load_dwordx4 v[23:26], v[47:48], off
	v_dot4c_i32_i8 v52, v57, v34
	global_load_dwordx4 v[31:34], v[47:48], off offset:16
	s_waitcnt vmcnt(2)
	v_dot4c_i32_i8 v53, v59, v40
	v_cvt_f32_f16_e32 v61, v39
	v_mad_u64_u32 v[39:40], null, v18, 36, v[2:3]
	v_add_nc_u32_e32 v18, 32, v18
	s_waitcnt vmcnt(1)
	v_dot4c_i32_i8 v54, v59, v24
	v_and_b32_e32 v24, 0x1000, v55
	v_dot4c_i32_i8 v53, v56, v41
	v_cvt_f32_f16_e32 v41, v23
	v_and_b32_e32 v23, 0x8000, v55
	v_dot4c_i32_i8 v54, v56, v25
	v_cmp_eq_u32_e64 s0, 0, v24
	v_and_b32_e32 v25, 0x4000, v55
	v_dot4c_i32_i8 v53, v57, v42
	v_cmp_eq_u32_e32 vcc_lo, 0, v23
	v_dot4c_i32_i8 v54, v57, v26
	v_lshrrev_b32_e32 v26, 4, v55
	v_cndmask_b32_e64 v24, 1, 0xff, s0
	v_cmp_eq_u32_e64 s0, 0, v25
	v_and_b32_e32 v23, 0x80000, v55
	v_and_or_b32 v24, 0x200, v26, v24
	v_cndmask_b32_e64 v25, 0x10000, v21, s0
	v_cndmask_b32_e32 v26, 0x1000000, v22, vcc_lo
	v_cmp_eq_u32_e32 vcc_lo, 0, v23
	v_lshrrev_b32_e32 v23, 8, v55
	v_add_nc_u32_e32 v24, 0xff00, v24
	v_or3_b32 v42, v26, v25, v24
	v_and_b32_e32 v24, 0x10000, v55
	v_and_b32_e32 v25, 0x40000, v55
	v_dot4c_i32_i8 v51, v42, v27
	v_cmp_eq_u32_e64 s0, 0, v24
	v_dot4c_i32_i8 v52, v42, v35
	v_cndmask_b32_e64 v24, 1, 0xff, s0
	v_cmp_eq_u32_e64 s0, 0, v25
	v_and_or_b32 v23, 0x200, v23, v24
	v_cndmask_b32_e64 v25, 0x10000, v21, s0
	v_cndmask_b32_e32 v24, 0x1000000, v22, vcc_lo
	v_add_nc_u32_e32 v23, 0xff00, v23
	v_or3_b32 v62, v24, v25, v23
	v_and_b32_e32 v23, 0x400000, v55
	v_and_b32_e32 v24, 0x800000, v55
	v_dot4c_i32_i8 v51, v62, v28
	v_cmp_eq_u32_e32 vcc_lo, 0, v23
	v_and_b32_e32 v23, 0x100000, v55
	v_cmp_eq_u32_e64 s0, 0, v24
	v_lshrrev_b32_e32 v24, 12, v55
	v_dot4c_i32_i8 v52, v62, v36
	v_mad_u64_u32 v[35:36], null, v5, 36, v[2:3]
	v_cmp_eq_u32_e64 s1, 0, v23
	v_cndmask_b32_e64 v25, 0x1000000, v22, s0
	v_add_nc_u32_e32 v5, 32, v5
	v_cndmask_b32_e64 v23, 1, 0xff, s1
	v_and_or_b32 v23, 0x200, v24, v23
	v_cndmask_b32_e32 v24, 0x10000, v21, vcc_lo
	v_add_nc_u32_e32 v23, 0xff00, v23
	v_or3_b32 v63, v25, v24, v23
	v_and_b32_e32 v23, 0x1000000, v55
	v_dot4c_i32_i8 v51, v63, v29
	v_cmp_eq_u32_e32 vcc_lo, 0, v23
	v_and_b32_e32 v23, 0x4000000, v55
	v_dot4c_i32_i8 v52, v63, v37
	v_mov_b32_e32 v37, 0
	v_cndmask_b32_e64 v24, 1, 0xff, vcc_lo
	v_cmp_eq_u32_e64 s0, 0, v23
	v_and_b32_e32 v23, 0x8000000, v55
	v_cmp_eq_u32_e64 s1, 0, v23
	v_lshrrev_b32_e32 v23, 16, v55
	v_cndmask_b32_e64 v25, 0x1000000, v22, s1
	v_and_or_b32 v23, 0x200, v23, v24
	v_cndmask_b32_e64 v24, 0x10000, v21, s0
	v_add_nc_u32_e32 v23, 0xff00, v23
	v_or3_b32 v64, v25, v24, v23
	global_load_dwordx4 v[23:26], v[39:40], off
	s_waitcnt vmcnt(1)
	v_dot4c_i32_i8 v54, v42, v31
	v_dot4c_i32_i8 v51, v64, v30
	;; [unrolled: 1-line block ×4, first 2 shown]
	v_mad_u64_u32 v[31:32], null, v4, 36, v[2:3]
	v_add_nc_u32_e32 v4, 32, v4
	v_dot4c_i32_i8 v54, v63, v33
	v_dot4c_i32_i8 v54, v64, v34
	s_waitcnt vmcnt(0)
	v_dot4c_i32_i8 v65, v59, v24
	v_cvt_f32_f16_e32 v66, v23
	v_dot4c_i32_i8 v65, v56, v25
	v_dot4c_i32_i8 v65, v57, v26
	global_load_dwordx4 v[23:26], v[45:46], off offset:16
	s_waitcnt vmcnt(0)
	v_dot4c_i32_i8 v53, v42, v23
	v_dot4c_i32_i8 v53, v62, v24
	;; [unrolled: 1-line block ×4, first 2 shown]
	s_clause 0x4
	global_load_dwordx4 v[23:26], v[35:36], off
	global_load_dwordx4 v[27:30], v[35:36], off offset:16
	global_load_dword v38, v[43:44], off offset:32
	global_load_dword v43, v[45:46], off offset:32
	;; [unrolled: 1-line block ×3, first 2 shown]
	v_mov_b32_e32 v45, 0
	s_waitcnt vmcnt(4)
	v_dot4c_i32_i8 v37, v59, v24
	v_cvt_f32_f16_e32 v33, v23
	v_dot4c_i32_i8 v37, v56, v25
	v_dot4c_i32_i8 v37, v57, v26
	s_clause 0x2
	global_load_dword v35, v[35:36], off offset:32
	global_load_dwordx4 v[23:26], v[31:32], off
	global_load_dword v36, v[39:40], off offset:32
	s_waitcnt vmcnt(6)
	v_dot4c_i32_i8 v37, v42, v27
	v_dot4c_i32_i8 v37, v62, v28
	;; [unrolled: 1-line block ×4, first 2 shown]
	s_waitcnt vmcnt(1)
	v_dot4c_i32_i8 v45, v59, v24
	v_cvt_f32_f16_e32 v34, v23
	v_and_b32_e32 v23, 0x10000000, v55
	v_and_b32_e32 v24, 2.0, v55
	v_dot4c_i32_i8 v45, v56, v25
	v_ashrrev_i32_e32 v25, 28, v55
	v_cmp_eq_u32_e32 vcc_lo, 0, v23
	v_dot4c_i32_i8 v45, v57, v26
	v_cndmask_b32_e64 v23, 1, 0xff, vcc_lo
	v_cmp_eq_u32_e32 vcc_lo, 0, v24
	v_lshlrev_b32_e32 v24, 8, v25
	v_and_b32_e32 v25, 8, v25
	v_and_or_b32 v23, 0x200, v24, v23
	v_cndmask_b32_e32 v24, 0x10000, v21, vcc_lo
	v_cmp_eq_u32_e32 vcc_lo, 0, v25
	v_add_nc_u32_e32 v23, 0xff00, v23
	v_cndmask_b32_e32 v25, 0x1000000, v22, vcc_lo
	v_or3_b32 v46, v25, v24, v23
	global_load_dwordx4 v[23:26], v[39:40], off offset:16
	global_load_ushort v39, v[49:50], off
	global_load_dword v40, v[31:32], off offset:32
	v_dot4c_i32_i8 v52, v46, v38
	v_dot4c_i32_i8 v53, v46, v43
	;; [unrolled: 1-line block ×4, first 2 shown]
	v_cvt_f32_i32_e32 v28, v37
	s_waitcnt vmcnt(2)
	v_dot4c_i32_i8 v65, v42, v23
	s_waitcnt vmcnt(1)
	v_cvt_f32_f16_e32 v39, v39
	global_load_dword v23, v[7:8], off offset:16
	v_add_co_u32 v7, vcc_lo, 0x480, v7
	v_dot4c_i32_i8 v65, v62, v24
	v_mul_f32_e32 v47, v39, v58
	v_mul_f32_e32 v48, v39, v60
	;; [unrolled: 1-line block ×7, first 2 shown]
	global_load_dwordx4 v[31:34], v[31:32], off offset:16
	v_dot4c_i32_i8 v65, v63, v25
	v_cvt_f32_i32_e32 v24, v52
	v_cvt_f32_i32_e32 v25, v53
	v_add_co_ci_u32_e64 v8, null, 0, v8, vcc_lo
	v_dot4c_i32_i8 v65, v64, v26
	v_cvt_f32_i32_e32 v26, v54
	v_cmp_le_u32_e32 vcc_lo, s10, v15
	v_fmac_f32_e32 v14, v48, v24
	v_fmac_f32_e32 v13, v49, v25
	v_dot4c_i32_i8 v65, v46, v36
	v_fmac_f32_e32 v12, v41, v26
	v_fmac_f32_e32 v10, v55, v28
	s_or_b32 s3, vcc_lo, s3
	v_cvt_f32_i32_e32 v27, v65
	v_fmac_f32_e32 v11, v50, v27
	s_waitcnt vmcnt(1)
	v_dot4c_i32_i8 v51, v46, v23
	v_cvt_f32_i32_e32 v23, v51
	v_fmac_f32_e32 v16, v47, v23
	s_waitcnt vmcnt(0)
	v_dot4c_i32_i8 v45, v42, v31
	v_dot4c_i32_i8 v45, v62, v32
	;; [unrolled: 1-line block ×5, first 2 shown]
	v_cvt_f32_i32_e32 v29, v45
	v_fmac_f32_e32 v9, v39, v29
	s_andn2_b32 exec_lo, exec_lo, s3
	s_cbranch_execnz .LBB10_2
; %bb.3:
	s_or_b32 exec_lo, exec_lo, s3
.LBB10_4:
	s_or_b32 exec_lo, exec_lo, s9
	s_mov_b32 s1, 0
	; wave barrier
	buffer_gl0_inv
	s_mov_b32 s0, exec_lo
	v_cmpx_eq_u32_e32 0, v1
	s_cbranch_execz .LBB10_19
; %bb.5:
	v_mbcnt_lo_u32_b32 v5, -1, 0
	s_load_dwordx2 s[4:5], s[4:5], 0x38
	s_mul_i32 s0, s14, s7
	s_mul_i32 s3, s18, s8
	s_add_i32 s0, s0, s6
	v_xor_b32_e32 v1, 16, v5
	v_xor_b32_e32 v2, 8, v5
	;; [unrolled: 1-line block ×3, first 2 shown]
	s_add_i32 s0, s0, s3
	s_lshl_b64 s[0:1], s[0:1], 2
	v_cmp_gt_i32_e32 vcc_lo, 32, v1
	v_cndmask_b32_e32 v1, v5, v1, vcc_lo
	v_cmp_gt_i32_e32 vcc_lo, 32, v2
	v_lshlrev_b32_e32 v1, 2, v1
	v_cndmask_b32_e32 v2, v5, v2, vcc_lo
	s_waitcnt lgkmcnt(0)
	s_add_u32 s0, s4, s0
	s_addc_u32 s1, s5, s1
	ds_bpermute_b32 v3, v1, v16
	v_lshlrev_b32_e32 v2, 2, v2
	s_waitcnt lgkmcnt(0)
	v_add_f32_e32 v4, v16, v3
	v_xor_b32_e32 v3, 4, v5
	ds_bpermute_b32 v6, v2, v4
	v_cmp_gt_i32_e32 vcc_lo, 32, v3
	v_cndmask_b32_e32 v3, v5, v3, vcc_lo
	v_lshlrev_b32_e32 v3, 2, v3
	s_waitcnt lgkmcnt(0)
	v_add_f32_e32 v6, v4, v6
	v_xor_b32_e32 v4, 2, v5
	ds_bpermute_b32 v7, v3, v6
	v_cmp_gt_i32_e32 vcc_lo, 32, v4
	v_cndmask_b32_e32 v4, v5, v4, vcc_lo
	v_cmp_gt_i32_e32 vcc_lo, 32, v8
	v_lshlrev_b32_e32 v4, 2, v4
	v_cndmask_b32_e32 v5, v5, v8, vcc_lo
	v_cmp_eq_u32_e32 vcc_lo, 0, v0
	v_lshlrev_b32_e32 v5, 2, v5
	s_waitcnt lgkmcnt(0)
	v_add_f32_e32 v6, v6, v7
	ds_bpermute_b32 v7, v4, v6
	s_waitcnt lgkmcnt(0)
	v_add_f32_e32 v6, v6, v7
	ds_bpermute_b32 v7, v5, v6
	s_and_saveexec_b32 s3, vcc_lo
	s_cbranch_execz .LBB10_7
; %bb.6:
	s_waitcnt lgkmcnt(0)
	v_add_f32_e32 v0, v6, v7
	v_mov_b32_e32 v6, 0
	global_store_dword v6, v0, s[0:1]
.LBB10_7:
	s_or_b32 exec_lo, exec_lo, s3
	ds_bpermute_b32 v0, v1, v14
	s_waitcnt lgkmcnt(0)
	v_add_f32_e32 v0, v14, v0
	ds_bpermute_b32 v6, v2, v0
	s_waitcnt lgkmcnt(0)
	v_add_f32_e32 v0, v0, v6
	;; [unrolled: 3-line block ×4, first 2 shown]
	ds_bpermute_b32 v6, v5, v0
	s_and_saveexec_b32 s4, vcc_lo
	s_cbranch_execz .LBB10_9
; %bb.8:
	s_mov_b32 s3, 0
	s_waitcnt lgkmcnt(0)
	v_add_f32_e32 v0, v0, v6
	s_lshl_b64 s[6:7], s[2:3], 2
	v_mov_b32_e32 v6, 0
	s_add_u32 s6, s0, s6
	s_addc_u32 s7, s1, s7
	global_store_dword v6, v0, s[6:7]
.LBB10_9:
	s_or_b32 exec_lo, exec_lo, s4
	ds_bpermute_b32 v0, v1, v13
	s_waitcnt lgkmcnt(0)
	v_add_f32_e32 v0, v13, v0
	ds_bpermute_b32 v6, v2, v0
	s_waitcnt lgkmcnt(0)
	v_add_f32_e32 v0, v0, v6
	ds_bpermute_b32 v6, v3, v0
	s_waitcnt lgkmcnt(0)
	v_add_f32_e32 v0, v0, v6
	ds_bpermute_b32 v6, v4, v0
	s_waitcnt lgkmcnt(0)
	v_add_f32_e32 v0, v0, v6
	ds_bpermute_b32 v6, v5, v0
	s_and_saveexec_b32 s3, vcc_lo
	s_cbranch_execz .LBB10_11
; %bb.10:
	s_lshl_b32 s4, s2, 1
	s_mov_b32 s5, 0
	s_waitcnt lgkmcnt(0)
	v_add_f32_e32 v0, v0, v6
	s_lshl_b64 s[4:5], s[4:5], 2
	v_mov_b32_e32 v6, 0
	s_add_u32 s4, s0, s4
	s_addc_u32 s5, s1, s5
	global_store_dword v6, v0, s[4:5]
.LBB10_11:
	s_or_b32 exec_lo, exec_lo, s3
	ds_bpermute_b32 v0, v1, v12
	s_waitcnt lgkmcnt(0)
	v_add_f32_e32 v0, v12, v0
	ds_bpermute_b32 v6, v2, v0
	s_waitcnt lgkmcnt(0)
	v_add_f32_e32 v0, v0, v6
	;; [unrolled: 3-line block ×4, first 2 shown]
	ds_bpermute_b32 v6, v5, v0
	s_and_saveexec_b32 s3, vcc_lo
	s_cbranch_execz .LBB10_13
; %bb.12:
	s_mul_i32 s4, s2, 3
	s_mov_b32 s5, 0
	s_waitcnt lgkmcnt(0)
	v_add_f32_e32 v0, v0, v6
	s_lshl_b64 s[4:5], s[4:5], 2
	v_mov_b32_e32 v6, 0
	s_add_u32 s4, s0, s4
	s_addc_u32 s5, s1, s5
	global_store_dword v6, v0, s[4:5]
.LBB10_13:
	s_or_b32 exec_lo, exec_lo, s3
	ds_bpermute_b32 v0, v1, v11
	s_waitcnt lgkmcnt(0)
	v_add_f32_e32 v0, v11, v0
	ds_bpermute_b32 v6, v2, v0
	s_waitcnt lgkmcnt(0)
	v_add_f32_e32 v0, v0, v6
	;; [unrolled: 3-line block ×4, first 2 shown]
	ds_bpermute_b32 v6, v5, v0
	s_and_saveexec_b32 s3, vcc_lo
	s_cbranch_execz .LBB10_15
; %bb.14:
	s_lshl_b32 s4, s2, 2
	s_mov_b32 s5, 0
	s_waitcnt lgkmcnt(0)
	v_add_f32_e32 v0, v0, v6
	s_lshl_b64 s[4:5], s[4:5], 2
	v_mov_b32_e32 v6, 0
	s_add_u32 s4, s0, s4
	s_addc_u32 s5, s1, s5
	global_store_dword v6, v0, s[4:5]
.LBB10_15:
	s_or_b32 exec_lo, exec_lo, s3
	ds_bpermute_b32 v0, v1, v10
	s_waitcnt lgkmcnt(0)
	v_add_f32_e32 v0, v10, v0
	ds_bpermute_b32 v6, v2, v0
	s_waitcnt lgkmcnt(0)
	v_add_f32_e32 v0, v0, v6
	;; [unrolled: 3-line block ×4, first 2 shown]
	ds_bpermute_b32 v6, v5, v0
	s_and_saveexec_b32 s3, vcc_lo
	s_cbranch_execz .LBB10_17
; %bb.16:
	s_mul_i32 s4, s2, 5
	s_mov_b32 s5, 0
	s_waitcnt lgkmcnt(0)
	v_add_f32_e32 v0, v0, v6
	s_lshl_b64 s[4:5], s[4:5], 2
	v_mov_b32_e32 v6, 0
	s_add_u32 s4, s0, s4
	s_addc_u32 s5, s1, s5
	global_store_dword v6, v0, s[4:5]
.LBB10_17:
	s_or_b32 exec_lo, exec_lo, s3
	ds_bpermute_b32 v0, v1, v9
	s_waitcnt lgkmcnt(0)
	v_add_f32_e32 v0, v9, v0
	ds_bpermute_b32 v1, v2, v0
	s_waitcnt lgkmcnt(0)
	v_add_f32_e32 v0, v0, v1
	;; [unrolled: 3-line block ×4, first 2 shown]
	ds_bpermute_b32 v1, v5, v0
	s_and_b32 exec_lo, exec_lo, vcc_lo
	s_cbranch_execz .LBB10_19
; %bb.18:
	s_mul_i32 s2, s2, 6
	s_mov_b32 s3, 0
	s_waitcnt lgkmcnt(0)
	v_add_f32_e32 v0, v0, v1
	s_lshl_b64 s[2:3], s[2:3], 2
	v_mov_b32_e32 v1, 0
	s_add_u32 s0, s0, s2
	s_addc_u32 s1, s1, s3
	global_store_dword v1, v0, s[0:1]
.LBB10_19:
	s_endpgm
	.section	.rodata,"a",@progbits
	.p2align	6, 0x0
	.amdhsa_kernel _ZL13mul_mat_vec_qIL9ggml_type41ELi7ELb0ELb0EEvPKvS2_PKi31ggml_cuda_mm_fusion_args_devicePfj15HIP_vector_typeIjLj3EEjjjS8_jjjS8_jjjj
		.amdhsa_group_segment_fixed_size 0
		.amdhsa_private_segment_fixed_size 0
		.amdhsa_kernarg_size 144
		.amdhsa_user_sgpr_count 6
		.amdhsa_user_sgpr_private_segment_buffer 1
		.amdhsa_user_sgpr_dispatch_ptr 0
		.amdhsa_user_sgpr_queue_ptr 0
		.amdhsa_user_sgpr_kernarg_segment_ptr 1
		.amdhsa_user_sgpr_dispatch_id 0
		.amdhsa_user_sgpr_flat_scratch_init 0
		.amdhsa_user_sgpr_private_segment_size 0
		.amdhsa_wavefront_size32 1
		.amdhsa_uses_dynamic_stack 0
		.amdhsa_system_sgpr_private_segment_wavefront_offset 0
		.amdhsa_system_sgpr_workgroup_id_x 1
		.amdhsa_system_sgpr_workgroup_id_y 1
		.amdhsa_system_sgpr_workgroup_id_z 1
		.amdhsa_system_sgpr_workgroup_info 0
		.amdhsa_system_vgpr_workitem_id 1
		.amdhsa_next_free_vgpr 67
		.amdhsa_next_free_sgpr 28
		.amdhsa_reserve_vcc 1
		.amdhsa_reserve_flat_scratch 0
		.amdhsa_float_round_mode_32 0
		.amdhsa_float_round_mode_16_64 0
		.amdhsa_float_denorm_mode_32 3
		.amdhsa_float_denorm_mode_16_64 3
		.amdhsa_dx10_clamp 1
		.amdhsa_ieee_mode 1
		.amdhsa_fp16_overflow 0
		.amdhsa_workgroup_processor_mode 1
		.amdhsa_memory_ordered 1
		.amdhsa_forward_progress 1
		.amdhsa_shared_vgpr_count 0
		.amdhsa_exception_fp_ieee_invalid_op 0
		.amdhsa_exception_fp_denorm_src 0
		.amdhsa_exception_fp_ieee_div_zero 0
		.amdhsa_exception_fp_ieee_overflow 0
		.amdhsa_exception_fp_ieee_underflow 0
		.amdhsa_exception_fp_ieee_inexact 0
		.amdhsa_exception_int_div_zero 0
	.end_amdhsa_kernel
	.section	.text._ZL13mul_mat_vec_qIL9ggml_type41ELi7ELb0ELb0EEvPKvS2_PKi31ggml_cuda_mm_fusion_args_devicePfj15HIP_vector_typeIjLj3EEjjjS8_jjjS8_jjjj,"axG",@progbits,_ZL13mul_mat_vec_qIL9ggml_type41ELi7ELb0ELb0EEvPKvS2_PKi31ggml_cuda_mm_fusion_args_devicePfj15HIP_vector_typeIjLj3EEjjjS8_jjjS8_jjjj,comdat
.Lfunc_end10:
	.size	_ZL13mul_mat_vec_qIL9ggml_type41ELi7ELb0ELb0EEvPKvS2_PKi31ggml_cuda_mm_fusion_args_devicePfj15HIP_vector_typeIjLj3EEjjjS8_jjjS8_jjjj, .Lfunc_end10-_ZL13mul_mat_vec_qIL9ggml_type41ELi7ELb0ELb0EEvPKvS2_PKi31ggml_cuda_mm_fusion_args_devicePfj15HIP_vector_typeIjLj3EEjjjS8_jjjS8_jjjj
                                        ; -- End function
	.set _ZL13mul_mat_vec_qIL9ggml_type41ELi7ELb0ELb0EEvPKvS2_PKi31ggml_cuda_mm_fusion_args_devicePfj15HIP_vector_typeIjLj3EEjjjS8_jjjS8_jjjj.num_vgpr, 67
	.set _ZL13mul_mat_vec_qIL9ggml_type41ELi7ELb0ELb0EEvPKvS2_PKi31ggml_cuda_mm_fusion_args_devicePfj15HIP_vector_typeIjLj3EEjjjS8_jjjS8_jjjj.num_agpr, 0
	.set _ZL13mul_mat_vec_qIL9ggml_type41ELi7ELb0ELb0EEvPKvS2_PKi31ggml_cuda_mm_fusion_args_devicePfj15HIP_vector_typeIjLj3EEjjjS8_jjjS8_jjjj.numbered_sgpr, 28
	.set _ZL13mul_mat_vec_qIL9ggml_type41ELi7ELb0ELb0EEvPKvS2_PKi31ggml_cuda_mm_fusion_args_devicePfj15HIP_vector_typeIjLj3EEjjjS8_jjjS8_jjjj.num_named_barrier, 0
	.set _ZL13mul_mat_vec_qIL9ggml_type41ELi7ELb0ELb0EEvPKvS2_PKi31ggml_cuda_mm_fusion_args_devicePfj15HIP_vector_typeIjLj3EEjjjS8_jjjS8_jjjj.private_seg_size, 0
	.set _ZL13mul_mat_vec_qIL9ggml_type41ELi7ELb0ELb0EEvPKvS2_PKi31ggml_cuda_mm_fusion_args_devicePfj15HIP_vector_typeIjLj3EEjjjS8_jjjS8_jjjj.uses_vcc, 1
	.set _ZL13mul_mat_vec_qIL9ggml_type41ELi7ELb0ELb0EEvPKvS2_PKi31ggml_cuda_mm_fusion_args_devicePfj15HIP_vector_typeIjLj3EEjjjS8_jjjS8_jjjj.uses_flat_scratch, 0
	.set _ZL13mul_mat_vec_qIL9ggml_type41ELi7ELb0ELb0EEvPKvS2_PKi31ggml_cuda_mm_fusion_args_devicePfj15HIP_vector_typeIjLj3EEjjjS8_jjjS8_jjjj.has_dyn_sized_stack, 0
	.set _ZL13mul_mat_vec_qIL9ggml_type41ELi7ELb0ELb0EEvPKvS2_PKi31ggml_cuda_mm_fusion_args_devicePfj15HIP_vector_typeIjLj3EEjjjS8_jjjS8_jjjj.has_recursion, 0
	.set _ZL13mul_mat_vec_qIL9ggml_type41ELi7ELb0ELb0EEvPKvS2_PKi31ggml_cuda_mm_fusion_args_devicePfj15HIP_vector_typeIjLj3EEjjjS8_jjjS8_jjjj.has_indirect_call, 0
	.section	.AMDGPU.csdata,"",@progbits
; Kernel info:
; codeLenInByte = 2992
; TotalNumSgprs: 30
; NumVgprs: 67
; ScratchSize: 0
; MemoryBound: 0
; FloatMode: 240
; IeeeMode: 1
; LDSByteSize: 0 bytes/workgroup (compile time only)
; SGPRBlocks: 0
; VGPRBlocks: 8
; NumSGPRsForWavesPerEU: 30
; NumVGPRsForWavesPerEU: 67
; Occupancy: 12
; WaveLimiterHint : 0
; COMPUTE_PGM_RSRC2:SCRATCH_EN: 0
; COMPUTE_PGM_RSRC2:USER_SGPR: 6
; COMPUTE_PGM_RSRC2:TRAP_HANDLER: 0
; COMPUTE_PGM_RSRC2:TGID_X_EN: 1
; COMPUTE_PGM_RSRC2:TGID_Y_EN: 1
; COMPUTE_PGM_RSRC2:TGID_Z_EN: 1
; COMPUTE_PGM_RSRC2:TIDIG_COMP_CNT: 1
	.section	.text._ZL13mul_mat_vec_qIL9ggml_type41ELi8ELb0ELb0EEvPKvS2_PKi31ggml_cuda_mm_fusion_args_devicePfj15HIP_vector_typeIjLj3EEjjjS8_jjjS8_jjjj,"axG",@progbits,_ZL13mul_mat_vec_qIL9ggml_type41ELi8ELb0ELb0EEvPKvS2_PKi31ggml_cuda_mm_fusion_args_devicePfj15HIP_vector_typeIjLj3EEjjjS8_jjjS8_jjjj,comdat
	.globl	_ZL13mul_mat_vec_qIL9ggml_type41ELi8ELb0ELb0EEvPKvS2_PKi31ggml_cuda_mm_fusion_args_devicePfj15HIP_vector_typeIjLj3EEjjjS8_jjjS8_jjjj ; -- Begin function _ZL13mul_mat_vec_qIL9ggml_type41ELi8ELb0ELb0EEvPKvS2_PKi31ggml_cuda_mm_fusion_args_devicePfj15HIP_vector_typeIjLj3EEjjjS8_jjjS8_jjjj
	.p2align	8
	.type	_ZL13mul_mat_vec_qIL9ggml_type41ELi8ELb0ELb0EEvPKvS2_PKi31ggml_cuda_mm_fusion_args_devicePfj15HIP_vector_typeIjLj3EEjjjS8_jjjS8_jjjj,@function
_ZL13mul_mat_vec_qIL9ggml_type41ELi8ELb0ELb0EEvPKvS2_PKi31ggml_cuda_mm_fusion_args_devicePfj15HIP_vector_typeIjLj3EEjjjS8_jjjS8_jjjj: ; @_ZL13mul_mat_vec_qIL9ggml_type41ELi8ELb0ELb0EEvPKvS2_PKi31ggml_cuda_mm_fusion_args_devicePfj15HIP_vector_typeIjLj3EEjjjS8_jjjS8_jjjj
; %bb.0:
	s_clause 0x5
	s_load_dword s9, s[4:5], 0x40
	s_load_dwordx4 s[0:3], s[4:5], 0x50
	s_load_dword s24, s[4:5], 0x60
	s_load_dwordx4 s[12:15], s[4:5], 0x68
	;; [unrolled: 2-line block ×3, first 2 shown]
	v_lshl_or_b32 v2, v1, 5, v0
	v_mov_b32_e32 v6, 0
	v_mov_b32_e32 v7, 0
	;; [unrolled: 1-line block ×4, first 2 shown]
	v_lshrrev_b32_e32 v13, 2, v2
	v_mov_b32_e32 v10, 0
	v_mov_b32_e32 v11, 0
	v_mov_b32_e32 v12, 0
	v_mov_b32_e32 v14, 0
	s_waitcnt lgkmcnt(0)
	s_lshr_b32 s10, s9, 7
	s_mov_b32 s9, exec_lo
	v_cmpx_gt_u32_e64 s10, v13
	s_cbranch_execz .LBB11_4
; %bb.1:
	s_mul_i32 s13, s13, s7
	s_load_dwordx4 s[20:23], s[4:5], 0x0
	s_mul_hi_u32 s27, s13, 36
	s_mul_i32 s26, s13, 36
	s_mul_i32 s17, s17, s8
	v_mad_u64_u32 v[2:3], null, 0x90, v13, s[26:27]
	v_and_b32_e32 v7, 3, v0
	s_mul_hi_u32 s3, s3, s7
	s_mul_hi_u32 s15, s15, s8
	s_add_i32 s3, s7, s3
	s_add_i32 s15, s8, s15
	s_mul_i32 s25, s17, 36
	v_mad_u64_u32 v[2:3], null, s17, 36, v[2:3]
	s_lshr_b32 s3, s3, s24
	s_mul_hi_u32 s19, s17, 36
	s_lshr_b32 s11, s15, s11
	s_mul_i32 s3, s3, s12
	s_mul_i32 s0, s0, s6
	v_lshlrev_b32_e32 v15, 2, v7
	v_mad_u64_u32 v[4:5], null, v7, 36, v[2:3]
	s_waitcnt lgkmcnt(0)
	s_add_u32 s12, s22, s25
	s_addc_u32 s13, s23, s19
	s_add_u32 s12, s12, s26
	s_addc_u32 s13, s13, s27
	v_mov_b32_e32 v6, 0
	v_mad_u64_u32 v[2:3], null, v7, 36, s[12:13]
	v_add_co_u32 v4, vcc_lo, s22, v4
	v_add_co_ci_u32_e64 v5, null, s23, v5, vcc_lo
	v_lshlrev_b32_e32 v16, 2, v13
	v_add_co_u32 v4, vcc_lo, v4, 16
	v_add_co_ci_u32_e64 v5, null, 0, v5, vcc_lo
	v_mov_b32_e32 v17, 0xff0000
	v_mov_b32_e32 v18, 0xff000000
	;; [unrolled: 1-line block ×9, first 2 shown]
	s_mul_i32 s11, s11, s16
	s_add_i32 s3, s3, s0
	s_mul_i32 s12, s1, 7
	s_add_i32 s0, s11, s3
	s_lshl_b32 s3, s1, 1
	s_lshl_b32 s11, s1, 2
	s_mul_i32 s13, s1, 6
	s_mul_i32 s15, s1, 5
	s_mul_i32 s17, s1, 3
	s_mov_b32 s16, 0
.LBB11_2:                               ; =>This Inner Loop Header: Depth=1
	v_add_nc_u32_e32 v19, s0, v13
	v_mov_b32_e32 v37, 0
	v_add_nc_u32_e32 v13, 8, v13
	v_mad_i64_i32 v[19:20], null, v19, 18, s[20:21]
	global_load_ushort v24, v[19:20], off
	v_add_co_u32 v19, vcc_lo, v19, v15
	v_add_co_ci_u32_e64 v20, null, 0, v20, vcc_lo
	global_load_dword v27, v[19:20], off offset:2
	s_waitcnt vmcnt(1)
	v_cvt_f32_f16_e32 v24, v24
	s_waitcnt vmcnt(0)
	v_and_b32_e32 v19, 1, v27
	v_and_b32_e32 v20, 4, v27
	;; [unrolled: 1-line block ×3, first 2 shown]
	v_lshlrev_b32_e32 v22, 8, v27
	v_lshlrev_b32_e32 v23, 4, v27
	v_cmp_eq_u32_e32 vcc_lo, 0, v19
	v_and_b32_e32 v25, 0x8000, v27
	v_lshrrev_b32_e32 v26, 4, v27
	v_lshrrev_b32_e32 v28, 8, v27
	;; [unrolled: 1-line block ×3, first 2 shown]
	v_cndmask_b32_e64 v19, 1, 0xff, vcc_lo
	v_cmp_eq_u32_e32 vcc_lo, 0, v20
	v_lshrrev_b32_e32 v30, 16, v27
	v_and_or_b32 v19, 0x200, v22, v19
	v_cndmask_b32_e32 v20, 0x10000, v17, vcc_lo
	v_cmp_eq_u32_e32 vcc_lo, 0, v21
	v_and_b32_e32 v22, 0x80, v27
	v_add_nc_u32_e32 v19, 0xff00, v19
	v_cndmask_b32_e32 v21, 0x1000000, v18, vcc_lo
	v_or3_b32 v19, v21, v20, v19
	v_and_b32_e32 v20, 16, v27
	v_and_b32_e32 v21, 64, v27
	v_cmp_eq_u32_e32 vcc_lo, 0, v20
	v_cndmask_b32_e64 v20, 1, 0xff, vcc_lo
	v_cmp_eq_u32_e32 vcc_lo, 0, v21
	v_and_or_b32 v20, 0x200, v23, v20
	v_cndmask_b32_e32 v21, 0x10000, v17, vcc_lo
	v_cmp_eq_u32_e32 vcc_lo, 0, v22
	v_and_b32_e32 v23, 0x800, v27
	v_add_nc_u32_e32 v20, 0xff00, v20
	v_cndmask_b32_e32 v22, 0x1000000, v18, vcc_lo
	v_or3_b32 v20, v22, v21, v20
	v_and_b32_e32 v21, 0x100, v27
	v_and_b32_e32 v22, 0x400, v27
	v_cmp_eq_u32_e32 vcc_lo, 0, v21
	v_cndmask_b32_e64 v21, 1, 0xff, vcc_lo
	v_cmp_eq_u32_e32 vcc_lo, 0, v22
	v_and_or_b32 v21, 0x200, v27, v21
	v_cndmask_b32_e32 v22, 0x10000, v17, vcc_lo
	v_cmp_eq_u32_e32 vcc_lo, 0, v23
	v_add_nc_u32_e32 v21, 0xff00, v21
	v_cndmask_b32_e32 v23, 0x1000000, v18, vcc_lo
	v_or3_b32 v21, v23, v22, v21
	v_and_b32_e32 v22, 0x1000, v27
	v_and_b32_e32 v23, 0x4000, v27
	v_cmp_eq_u32_e32 vcc_lo, 0, v22
	v_cndmask_b32_e64 v22, 1, 0xff, vcc_lo
	v_cmp_eq_u32_e32 vcc_lo, 0, v23
	v_and_or_b32 v22, 0x200, v26, v22
	v_cndmask_b32_e32 v23, 0x10000, v17, vcc_lo
	v_cmp_eq_u32_e32 vcc_lo, 0, v25
	v_and_b32_e32 v26, 0x80000, v27
	v_add_nc_u32_e32 v22, 0xff00, v22
	v_cndmask_b32_e32 v25, 0x1000000, v18, vcc_lo
	v_or3_b32 v22, v25, v23, v22
	v_and_b32_e32 v23, 0x10000, v27
	v_and_b32_e32 v25, 0x40000, v27
	v_cmp_eq_u32_e32 vcc_lo, 0, v23
	v_cndmask_b32_e64 v23, 1, 0xff, vcc_lo
	v_cmp_eq_u32_e32 vcc_lo, 0, v25
	v_and_or_b32 v23, 0x200, v28, v23
	v_cndmask_b32_e32 v25, 0x10000, v17, vcc_lo
	v_cmp_eq_u32_e32 vcc_lo, 0, v26
	v_and_b32_e32 v28, 0x800000, v27
	;; [unrolled: 12-line block ×3, first 2 shown]
	v_add_nc_u32_e32 v25, 0xff00, v25
	v_cndmask_b32_e32 v28, 0x1000000, v18, vcc_lo
	v_or3_b32 v25, v28, v26, v25
	v_and_b32_e32 v26, 0x1000000, v27
	v_and_b32_e32 v28, 0x4000000, v27
	v_cmp_eq_u32_e32 vcc_lo, 0, v26
	v_cndmask_b32_e64 v26, 1, 0xff, vcc_lo
	v_cmp_eq_u32_e32 vcc_lo, 0, v28
	v_and_or_b32 v26, 0x200, v30, v26
	v_cndmask_b32_e32 v28, 0x10000, v17, vcc_lo
	v_cmp_eq_u32_e32 vcc_lo, 0, v29
	v_add_nc_u32_e32 v26, 0xff00, v26
	v_cndmask_b32_e32 v29, 0x1000000, v18, vcc_lo
	v_or3_b32 v26, v29, v28, v26
	v_and_b32_e32 v29, 0x10000000, v27
	v_ashrrev_i32_e32 v28, 28, v27
	v_and_b32_e32 v27, 2.0, v27
	v_cmp_eq_u32_e32 vcc_lo, 0, v29
	v_and_b32_e32 v30, 8, v28
	v_lshlrev_b32_e32 v28, 8, v28
	v_cndmask_b32_e64 v29, 1, 0xff, vcc_lo
	v_cmp_eq_u32_e32 vcc_lo, 0, v27
	v_and_or_b32 v28, 0x200, v28, v29
	v_cndmask_b32_e32 v27, 0x10000, v17, vcc_lo
	v_cmp_eq_u32_e32 vcc_lo, 0, v30
	v_add_nc_u32_e32 v28, 0xff00, v28
	v_cndmask_b32_e32 v30, 0x1000000, v18, vcc_lo
	v_or3_b32 v27, v30, v27, v28
	s_clause 0x2
	global_load_dwordx4 v[28:31], v[4:5], off offset:-16
	global_load_dword v36, v[4:5], off offset:16
	global_load_dwordx4 v[32:35], v[4:5], off
	v_add_co_u32 v4, vcc_lo, 0x480, v4
	v_add_co_ci_u32_e64 v5, null, 0, v5, vcc_lo
	v_cmp_le_u32_e32 vcc_lo, s10, v13
	s_waitcnt vmcnt(2)
	v_dot4c_i32_i8 v37, v19, v29
	v_cvt_f32_f16_e32 v28, v28
	v_dot4c_i32_i8 v37, v20, v30
	v_mul_f32_e32 v28, v24, v28
	v_dot4c_i32_i8 v37, v21, v31
	s_waitcnt vmcnt(0)
	v_dot4c_i32_i8 v37, v22, v32
	v_dot4c_i32_i8 v37, v23, v33
	v_dot4c_i32_i8 v37, v25, v34
	v_dot4c_i32_i8 v37, v26, v35
	v_dot4c_i32_i8 v37, v27, v36
	v_cvt_f32_i32_e32 v29, v37
	v_mov_b32_e32 v37, 0
	v_fmac_f32_e32 v14, v28, v29
	v_add_nc_u32_e32 v28, s1, v16
	s_add_i32 s1, s1, 32
	v_mad_u64_u32 v[32:33], null, v28, 36, v[2:3]
	s_clause 0x2
	global_load_dwordx4 v[28:31], v[32:33], off
	global_load_dword v36, v[32:33], off offset:32
	global_load_dwordx4 v[32:35], v[32:33], off offset:16
	s_waitcnt vmcnt(2)
	v_dot4c_i32_i8 v37, v19, v29
	v_cvt_f32_f16_e32 v28, v28
	v_dot4c_i32_i8 v37, v20, v30
	v_mul_f32_e32 v28, v24, v28
	v_dot4c_i32_i8 v37, v21, v31
	s_waitcnt vmcnt(0)
	v_dot4c_i32_i8 v37, v22, v32
	v_dot4c_i32_i8 v37, v23, v33
	v_dot4c_i32_i8 v37, v25, v34
	v_dot4c_i32_i8 v37, v26, v35
	v_dot4c_i32_i8 v37, v27, v36
	v_cvt_f32_i32_e32 v29, v37
	v_mov_b32_e32 v37, 0
	v_fmac_f32_e32 v12, v28, v29
	v_add_nc_u32_e32 v28, s3, v16
	s_add_i32 s3, s3, 32
	v_mad_u64_u32 v[32:33], null, v28, 36, v[2:3]
	s_clause 0x2
	global_load_dwordx4 v[28:31], v[32:33], off
	global_load_dword v36, v[32:33], off offset:32
	global_load_dwordx4 v[32:35], v[32:33], off offset:16
	s_waitcnt vmcnt(2)
	v_dot4c_i32_i8 v37, v19, v29
	v_cvt_f32_f16_e32 v28, v28
	v_dot4c_i32_i8 v37, v20, v30
	v_mul_f32_e32 v28, v24, v28
	v_dot4c_i32_i8 v37, v21, v31
	s_waitcnt vmcnt(0)
	v_dot4c_i32_i8 v37, v22, v32
	v_dot4c_i32_i8 v37, v23, v33
	v_dot4c_i32_i8 v37, v25, v34
	v_dot4c_i32_i8 v37, v26, v35
	v_dot4c_i32_i8 v37, v27, v36
	v_cvt_f32_i32_e32 v29, v37
	v_mov_b32_e32 v37, 0
	v_fmac_f32_e32 v11, v28, v29
	v_add_nc_u32_e32 v28, s17, v16
	s_add_i32 s17, s17, 32
	v_mad_u64_u32 v[32:33], null, v28, 36, v[2:3]
	s_clause 0x2
	global_load_dwordx4 v[28:31], v[32:33], off
	global_load_dword v36, v[32:33], off offset:32
	global_load_dwordx4 v[32:35], v[32:33], off offset:16
	s_waitcnt vmcnt(2)
	v_dot4c_i32_i8 v37, v19, v29
	v_cvt_f32_f16_e32 v28, v28
	v_dot4c_i32_i8 v37, v20, v30
	v_mul_f32_e32 v28, v24, v28
	v_dot4c_i32_i8 v37, v21, v31
	s_waitcnt vmcnt(0)
	v_dot4c_i32_i8 v37, v22, v32
	v_dot4c_i32_i8 v37, v23, v33
	v_dot4c_i32_i8 v37, v25, v34
	v_dot4c_i32_i8 v37, v26, v35
	v_dot4c_i32_i8 v37, v27, v36
	v_cvt_f32_i32_e32 v29, v37
	v_mov_b32_e32 v37, 0
	v_fmac_f32_e32 v10, v28, v29
	v_add_nc_u32_e32 v28, s11, v16
	s_add_i32 s11, s11, 32
	v_mad_u64_u32 v[32:33], null, v28, 36, v[2:3]
	s_clause 0x2
	global_load_dwordx4 v[28:31], v[32:33], off
	global_load_dword v36, v[32:33], off offset:32
	global_load_dwordx4 v[32:35], v[32:33], off offset:16
	s_waitcnt vmcnt(2)
	v_dot4c_i32_i8 v37, v19, v29
	v_cvt_f32_f16_e32 v28, v28
	v_dot4c_i32_i8 v37, v20, v30
	v_mul_f32_e32 v28, v24, v28
	v_dot4c_i32_i8 v37, v21, v31
	s_waitcnt vmcnt(0)
	v_dot4c_i32_i8 v37, v22, v32
	v_dot4c_i32_i8 v37, v23, v33
	v_dot4c_i32_i8 v37, v25, v34
	v_dot4c_i32_i8 v37, v26, v35
	v_dot4c_i32_i8 v37, v27, v36
	v_cvt_f32_i32_e32 v29, v37
	v_mov_b32_e32 v37, 0
	v_fmac_f32_e32 v9, v28, v29
	v_add_nc_u32_e32 v28, s15, v16
	s_add_i32 s15, s15, 32
	v_mad_u64_u32 v[32:33], null, v28, 36, v[2:3]
	s_clause 0x2
	global_load_dwordx4 v[28:31], v[32:33], off
	global_load_dword v36, v[32:33], off offset:32
	global_load_dwordx4 v[32:35], v[32:33], off offset:16
	s_waitcnt vmcnt(2)
	v_dot4c_i32_i8 v37, v19, v29
	v_cvt_f32_f16_e32 v28, v28
	v_dot4c_i32_i8 v37, v20, v30
	v_mul_f32_e32 v28, v24, v28
	v_dot4c_i32_i8 v37, v21, v31
	s_waitcnt vmcnt(0)
	v_dot4c_i32_i8 v37, v22, v32
	v_dot4c_i32_i8 v37, v23, v33
	v_dot4c_i32_i8 v37, v25, v34
	v_dot4c_i32_i8 v37, v26, v35
	v_dot4c_i32_i8 v37, v27, v36
	v_cvt_f32_i32_e32 v29, v37
	v_mov_b32_e32 v37, 0
	v_fmac_f32_e32 v8, v28, v29
	v_add_nc_u32_e32 v28, s13, v16
	s_add_i32 s13, s13, 32
	v_mad_u64_u32 v[32:33], null, v28, 36, v[2:3]
	s_clause 0x2
	global_load_dwordx4 v[28:31], v[32:33], off
	global_load_dword v36, v[32:33], off offset:32
	global_load_dwordx4 v[32:35], v[32:33], off offset:16
	s_waitcnt vmcnt(2)
	v_dot4c_i32_i8 v37, v19, v29
	v_cvt_f32_f16_e32 v28, v28
	v_dot4c_i32_i8 v37, v20, v30
	v_mul_f32_e32 v28, v24, v28
	v_dot4c_i32_i8 v37, v21, v31
	s_waitcnt vmcnt(0)
	v_dot4c_i32_i8 v37, v22, v32
	v_dot4c_i32_i8 v37, v23, v33
	;; [unrolled: 1-line block ×5, first 2 shown]
	v_cvt_f32_i32_e32 v29, v37
	v_mov_b32_e32 v37, 0
	v_fmac_f32_e32 v7, v28, v29
	v_add_nc_u32_e32 v28, s12, v16
	s_add_i32 s12, s12, 32
	s_or_b32 s16, vcc_lo, s16
	v_mad_u64_u32 v[32:33], null, v28, 36, v[2:3]
	s_clause 0x2
	global_load_dwordx4 v[28:31], v[32:33], off
	global_load_dword v36, v[32:33], off offset:32
	global_load_dwordx4 v[32:35], v[32:33], off offset:16
	s_waitcnt vmcnt(2)
	v_dot4c_i32_i8 v37, v19, v29
	v_cvt_f32_f16_e32 v19, v28
	v_dot4c_i32_i8 v37, v20, v30
	v_mul_f32_e32 v19, v24, v19
	v_dot4c_i32_i8 v37, v21, v31
	s_waitcnt vmcnt(0)
	v_dot4c_i32_i8 v37, v22, v32
	v_dot4c_i32_i8 v37, v23, v33
	;; [unrolled: 1-line block ×5, first 2 shown]
	v_cvt_f32_i32_e32 v20, v37
	v_fmac_f32_e32 v6, v19, v20
	s_andn2_b32 exec_lo, exec_lo, s16
	s_cbranch_execnz .LBB11_2
; %bb.3:
	s_or_b32 exec_lo, exec_lo, s16
.LBB11_4:
	s_or_b32 exec_lo, exec_lo, s9
	s_mov_b32 s1, 0
	; wave barrier
	buffer_gl0_inv
	s_mov_b32 s0, exec_lo
	v_cmpx_eq_u32_e32 0, v1
	s_cbranch_execz .LBB11_21
; %bb.5:
	v_mbcnt_lo_u32_b32 v5, -1, 0
	s_load_dwordx2 s[4:5], s[4:5], 0x38
	s_mul_i32 s0, s14, s7
	s_mul_i32 s3, s18, s8
	s_add_i32 s0, s0, s6
	v_xor_b32_e32 v1, 16, v5
	v_xor_b32_e32 v2, 8, v5
	;; [unrolled: 1-line block ×3, first 2 shown]
	s_add_i32 s0, s0, s3
	s_lshl_b64 s[0:1], s[0:1], 2
	v_cmp_gt_i32_e32 vcc_lo, 32, v1
	v_cndmask_b32_e32 v1, v5, v1, vcc_lo
	v_cmp_gt_i32_e32 vcc_lo, 32, v2
	v_lshlrev_b32_e32 v1, 2, v1
	v_cndmask_b32_e32 v2, v5, v2, vcc_lo
	s_waitcnt lgkmcnt(0)
	s_add_u32 s0, s4, s0
	s_addc_u32 s1, s5, s1
	ds_bpermute_b32 v3, v1, v14
	v_lshlrev_b32_e32 v2, 2, v2
	s_waitcnt lgkmcnt(0)
	v_add_f32_e32 v4, v14, v3
	v_xor_b32_e32 v3, 4, v5
	ds_bpermute_b32 v13, v2, v4
	v_cmp_gt_i32_e32 vcc_lo, 32, v3
	v_cndmask_b32_e32 v3, v5, v3, vcc_lo
	v_lshlrev_b32_e32 v3, 2, v3
	s_waitcnt lgkmcnt(0)
	v_add_f32_e32 v13, v4, v13
	v_xor_b32_e32 v4, 2, v5
	ds_bpermute_b32 v14, v3, v13
	v_cmp_gt_i32_e32 vcc_lo, 32, v4
	v_cndmask_b32_e32 v4, v5, v4, vcc_lo
	v_cmp_gt_i32_e32 vcc_lo, 32, v15
	v_lshlrev_b32_e32 v4, 2, v4
	v_cndmask_b32_e32 v5, v5, v15, vcc_lo
	v_cmp_eq_u32_e32 vcc_lo, 0, v0
	v_lshlrev_b32_e32 v5, 2, v5
	s_waitcnt lgkmcnt(0)
	v_add_f32_e32 v13, v13, v14
	ds_bpermute_b32 v14, v4, v13
	s_waitcnt lgkmcnt(0)
	v_add_f32_e32 v13, v13, v14
	ds_bpermute_b32 v14, v5, v13
	s_and_saveexec_b32 s3, vcc_lo
	s_cbranch_execz .LBB11_7
; %bb.6:
	s_waitcnt lgkmcnt(0)
	v_add_f32_e32 v0, v13, v14
	v_mov_b32_e32 v13, 0
	global_store_dword v13, v0, s[0:1]
.LBB11_7:
	s_or_b32 exec_lo, exec_lo, s3
	ds_bpermute_b32 v0, v1, v12
	s_waitcnt lgkmcnt(0)
	v_add_f32_e32 v0, v12, v0
	ds_bpermute_b32 v12, v2, v0
	s_waitcnt lgkmcnt(0)
	v_add_f32_e32 v0, v0, v12
	;; [unrolled: 3-line block ×4, first 2 shown]
	ds_bpermute_b32 v12, v5, v0
	s_and_saveexec_b32 s4, vcc_lo
	s_cbranch_execz .LBB11_9
; %bb.8:
	s_mov_b32 s3, 0
	s_waitcnt lgkmcnt(0)
	v_add_f32_e32 v0, v0, v12
	s_lshl_b64 s[6:7], s[2:3], 2
	v_mov_b32_e32 v12, 0
	s_add_u32 s6, s0, s6
	s_addc_u32 s7, s1, s7
	global_store_dword v12, v0, s[6:7]
.LBB11_9:
	s_or_b32 exec_lo, exec_lo, s4
	ds_bpermute_b32 v0, v1, v11
	s_waitcnt lgkmcnt(0)
	v_add_f32_e32 v0, v11, v0
	ds_bpermute_b32 v11, v2, v0
	s_waitcnt lgkmcnt(0)
	v_add_f32_e32 v0, v0, v11
	;; [unrolled: 3-line block ×4, first 2 shown]
	ds_bpermute_b32 v11, v5, v0
	s_and_saveexec_b32 s3, vcc_lo
	s_cbranch_execz .LBB11_11
; %bb.10:
	s_lshl_b32 s4, s2, 1
	s_mov_b32 s5, 0
	s_waitcnt lgkmcnt(0)
	v_add_f32_e32 v0, v0, v11
	s_lshl_b64 s[4:5], s[4:5], 2
	v_mov_b32_e32 v11, 0
	s_add_u32 s4, s0, s4
	s_addc_u32 s5, s1, s5
	global_store_dword v11, v0, s[4:5]
.LBB11_11:
	s_or_b32 exec_lo, exec_lo, s3
	ds_bpermute_b32 v0, v1, v10
	s_waitcnt lgkmcnt(0)
	v_add_f32_e32 v0, v10, v0
	ds_bpermute_b32 v10, v2, v0
	s_waitcnt lgkmcnt(0)
	v_add_f32_e32 v0, v0, v10
	;; [unrolled: 3-line block ×4, first 2 shown]
	ds_bpermute_b32 v10, v5, v0
	s_and_saveexec_b32 s3, vcc_lo
	s_cbranch_execz .LBB11_13
; %bb.12:
	s_mul_i32 s4, s2, 3
	s_mov_b32 s5, 0
	s_waitcnt lgkmcnt(0)
	v_add_f32_e32 v0, v0, v10
	s_lshl_b64 s[4:5], s[4:5], 2
	v_mov_b32_e32 v10, 0
	s_add_u32 s4, s0, s4
	s_addc_u32 s5, s1, s5
	global_store_dword v10, v0, s[4:5]
.LBB11_13:
	s_or_b32 exec_lo, exec_lo, s3
	ds_bpermute_b32 v0, v1, v9
	s_waitcnt lgkmcnt(0)
	v_add_f32_e32 v0, v9, v0
	ds_bpermute_b32 v9, v2, v0
	s_waitcnt lgkmcnt(0)
	v_add_f32_e32 v0, v0, v9
	;; [unrolled: 3-line block ×4, first 2 shown]
	ds_bpermute_b32 v9, v5, v0
	s_and_saveexec_b32 s3, vcc_lo
	s_cbranch_execz .LBB11_15
; %bb.14:
	s_lshl_b32 s4, s2, 2
	s_mov_b32 s5, 0
	s_waitcnt lgkmcnt(0)
	v_add_f32_e32 v0, v0, v9
	s_lshl_b64 s[4:5], s[4:5], 2
	v_mov_b32_e32 v9, 0
	s_add_u32 s4, s0, s4
	s_addc_u32 s5, s1, s5
	global_store_dword v9, v0, s[4:5]
.LBB11_15:
	s_or_b32 exec_lo, exec_lo, s3
	ds_bpermute_b32 v0, v1, v8
	s_waitcnt lgkmcnt(0)
	v_add_f32_e32 v0, v8, v0
	ds_bpermute_b32 v8, v2, v0
	s_waitcnt lgkmcnt(0)
	v_add_f32_e32 v0, v0, v8
	;; [unrolled: 3-line block ×4, first 2 shown]
	ds_bpermute_b32 v8, v5, v0
	s_and_saveexec_b32 s3, vcc_lo
	s_cbranch_execz .LBB11_17
; %bb.16:
	s_mul_i32 s4, s2, 5
	s_mov_b32 s5, 0
	s_waitcnt lgkmcnt(0)
	v_add_f32_e32 v0, v0, v8
	s_lshl_b64 s[4:5], s[4:5], 2
	v_mov_b32_e32 v8, 0
	s_add_u32 s4, s0, s4
	s_addc_u32 s5, s1, s5
	global_store_dword v8, v0, s[4:5]
.LBB11_17:
	s_or_b32 exec_lo, exec_lo, s3
	ds_bpermute_b32 v0, v1, v7
	s_waitcnt lgkmcnt(0)
	v_add_f32_e32 v0, v7, v0
	ds_bpermute_b32 v7, v2, v0
	s_waitcnt lgkmcnt(0)
	v_add_f32_e32 v0, v0, v7
	;; [unrolled: 3-line block ×4, first 2 shown]
	ds_bpermute_b32 v7, v5, v0
	s_and_saveexec_b32 s3, vcc_lo
	s_cbranch_execz .LBB11_19
; %bb.18:
	s_mul_i32 s4, s2, 6
	s_mov_b32 s5, 0
	s_waitcnt lgkmcnt(0)
	v_add_f32_e32 v0, v0, v7
	s_lshl_b64 s[4:5], s[4:5], 2
	v_mov_b32_e32 v7, 0
	s_add_u32 s4, s0, s4
	s_addc_u32 s5, s1, s5
	global_store_dword v7, v0, s[4:5]
.LBB11_19:
	s_or_b32 exec_lo, exec_lo, s3
	ds_bpermute_b32 v0, v1, v6
	s_waitcnt lgkmcnt(0)
	v_add_f32_e32 v0, v6, v0
	ds_bpermute_b32 v1, v2, v0
	s_waitcnt lgkmcnt(0)
	v_add_f32_e32 v0, v0, v1
	;; [unrolled: 3-line block ×4, first 2 shown]
	ds_bpermute_b32 v1, v5, v0
	s_and_b32 exec_lo, exec_lo, vcc_lo
	s_cbranch_execz .LBB11_21
; %bb.20:
	s_mul_i32 s2, s2, 7
	s_mov_b32 s3, 0
	s_waitcnt lgkmcnt(0)
	v_add_f32_e32 v0, v0, v1
	s_lshl_b64 s[2:3], s[2:3], 2
	v_mov_b32_e32 v1, 0
	s_add_u32 s0, s0, s2
	s_addc_u32 s1, s1, s3
	global_store_dword v1, v0, s[0:1]
.LBB11_21:
	s_endpgm
	.section	.rodata,"a",@progbits
	.p2align	6, 0x0
	.amdhsa_kernel _ZL13mul_mat_vec_qIL9ggml_type41ELi8ELb0ELb0EEvPKvS2_PKi31ggml_cuda_mm_fusion_args_devicePfj15HIP_vector_typeIjLj3EEjjjS8_jjjS8_jjjj
		.amdhsa_group_segment_fixed_size 0
		.amdhsa_private_segment_fixed_size 0
		.amdhsa_kernarg_size 144
		.amdhsa_user_sgpr_count 6
		.amdhsa_user_sgpr_private_segment_buffer 1
		.amdhsa_user_sgpr_dispatch_ptr 0
		.amdhsa_user_sgpr_queue_ptr 0
		.amdhsa_user_sgpr_kernarg_segment_ptr 1
		.amdhsa_user_sgpr_dispatch_id 0
		.amdhsa_user_sgpr_flat_scratch_init 0
		.amdhsa_user_sgpr_private_segment_size 0
		.amdhsa_wavefront_size32 1
		.amdhsa_uses_dynamic_stack 0
		.amdhsa_system_sgpr_private_segment_wavefront_offset 0
		.amdhsa_system_sgpr_workgroup_id_x 1
		.amdhsa_system_sgpr_workgroup_id_y 1
		.amdhsa_system_sgpr_workgroup_id_z 1
		.amdhsa_system_sgpr_workgroup_info 0
		.amdhsa_system_vgpr_workitem_id 1
		.amdhsa_next_free_vgpr 38
		.amdhsa_next_free_sgpr 28
		.amdhsa_reserve_vcc 1
		.amdhsa_reserve_flat_scratch 0
		.amdhsa_float_round_mode_32 0
		.amdhsa_float_round_mode_16_64 0
		.amdhsa_float_denorm_mode_32 3
		.amdhsa_float_denorm_mode_16_64 3
		.amdhsa_dx10_clamp 1
		.amdhsa_ieee_mode 1
		.amdhsa_fp16_overflow 0
		.amdhsa_workgroup_processor_mode 1
		.amdhsa_memory_ordered 1
		.amdhsa_forward_progress 1
		.amdhsa_shared_vgpr_count 0
		.amdhsa_exception_fp_ieee_invalid_op 0
		.amdhsa_exception_fp_denorm_src 0
		.amdhsa_exception_fp_ieee_div_zero 0
		.amdhsa_exception_fp_ieee_overflow 0
		.amdhsa_exception_fp_ieee_underflow 0
		.amdhsa_exception_fp_ieee_inexact 0
		.amdhsa_exception_int_div_zero 0
	.end_amdhsa_kernel
	.section	.text._ZL13mul_mat_vec_qIL9ggml_type41ELi8ELb0ELb0EEvPKvS2_PKi31ggml_cuda_mm_fusion_args_devicePfj15HIP_vector_typeIjLj3EEjjjS8_jjjS8_jjjj,"axG",@progbits,_ZL13mul_mat_vec_qIL9ggml_type41ELi8ELb0ELb0EEvPKvS2_PKi31ggml_cuda_mm_fusion_args_devicePfj15HIP_vector_typeIjLj3EEjjjS8_jjjS8_jjjj,comdat
.Lfunc_end11:
	.size	_ZL13mul_mat_vec_qIL9ggml_type41ELi8ELb0ELb0EEvPKvS2_PKi31ggml_cuda_mm_fusion_args_devicePfj15HIP_vector_typeIjLj3EEjjjS8_jjjS8_jjjj, .Lfunc_end11-_ZL13mul_mat_vec_qIL9ggml_type41ELi8ELb0ELb0EEvPKvS2_PKi31ggml_cuda_mm_fusion_args_devicePfj15HIP_vector_typeIjLj3EEjjjS8_jjjS8_jjjj
                                        ; -- End function
	.set _ZL13mul_mat_vec_qIL9ggml_type41ELi8ELb0ELb0EEvPKvS2_PKi31ggml_cuda_mm_fusion_args_devicePfj15HIP_vector_typeIjLj3EEjjjS8_jjjS8_jjjj.num_vgpr, 38
	.set _ZL13mul_mat_vec_qIL9ggml_type41ELi8ELb0ELb0EEvPKvS2_PKi31ggml_cuda_mm_fusion_args_devicePfj15HIP_vector_typeIjLj3EEjjjS8_jjjS8_jjjj.num_agpr, 0
	.set _ZL13mul_mat_vec_qIL9ggml_type41ELi8ELb0ELb0EEvPKvS2_PKi31ggml_cuda_mm_fusion_args_devicePfj15HIP_vector_typeIjLj3EEjjjS8_jjjS8_jjjj.numbered_sgpr, 28
	.set _ZL13mul_mat_vec_qIL9ggml_type41ELi8ELb0ELb0EEvPKvS2_PKi31ggml_cuda_mm_fusion_args_devicePfj15HIP_vector_typeIjLj3EEjjjS8_jjjS8_jjjj.num_named_barrier, 0
	.set _ZL13mul_mat_vec_qIL9ggml_type41ELi8ELb0ELb0EEvPKvS2_PKi31ggml_cuda_mm_fusion_args_devicePfj15HIP_vector_typeIjLj3EEjjjS8_jjjS8_jjjj.private_seg_size, 0
	.set _ZL13mul_mat_vec_qIL9ggml_type41ELi8ELb0ELb0EEvPKvS2_PKi31ggml_cuda_mm_fusion_args_devicePfj15HIP_vector_typeIjLj3EEjjjS8_jjjS8_jjjj.uses_vcc, 1
	.set _ZL13mul_mat_vec_qIL9ggml_type41ELi8ELb0ELb0EEvPKvS2_PKi31ggml_cuda_mm_fusion_args_devicePfj15HIP_vector_typeIjLj3EEjjjS8_jjjS8_jjjj.uses_flat_scratch, 0
	.set _ZL13mul_mat_vec_qIL9ggml_type41ELi8ELb0ELb0EEvPKvS2_PKi31ggml_cuda_mm_fusion_args_devicePfj15HIP_vector_typeIjLj3EEjjjS8_jjjS8_jjjj.has_dyn_sized_stack, 0
	.set _ZL13mul_mat_vec_qIL9ggml_type41ELi8ELb0ELb0EEvPKvS2_PKi31ggml_cuda_mm_fusion_args_devicePfj15HIP_vector_typeIjLj3EEjjjS8_jjjS8_jjjj.has_recursion, 0
	.set _ZL13mul_mat_vec_qIL9ggml_type41ELi8ELb0ELb0EEvPKvS2_PKi31ggml_cuda_mm_fusion_args_devicePfj15HIP_vector_typeIjLj3EEjjjS8_jjjS8_jjjj.has_indirect_call, 0
	.section	.AMDGPU.csdata,"",@progbits
; Kernel info:
; codeLenInByte = 3156
; TotalNumSgprs: 30
; NumVgprs: 38
; ScratchSize: 0
; MemoryBound: 0
; FloatMode: 240
; IeeeMode: 1
; LDSByteSize: 0 bytes/workgroup (compile time only)
; SGPRBlocks: 0
; VGPRBlocks: 4
; NumSGPRsForWavesPerEU: 30
; NumVGPRsForWavesPerEU: 38
; Occupancy: 16
; WaveLimiterHint : 0
; COMPUTE_PGM_RSRC2:SCRATCH_EN: 0
; COMPUTE_PGM_RSRC2:USER_SGPR: 6
; COMPUTE_PGM_RSRC2:TRAP_HANDLER: 0
; COMPUTE_PGM_RSRC2:TGID_X_EN: 1
; COMPUTE_PGM_RSRC2:TGID_Y_EN: 1
; COMPUTE_PGM_RSRC2:TGID_Z_EN: 1
; COMPUTE_PGM_RSRC2:TIDIG_COMP_CNT: 1
	.section	.text._ZL17mul_mat_vec_q_moeIL9ggml_type2ELi2EEvPKvS2_PKiPfj15HIP_vector_typeIjLj3EEjjjjjjjjj,"axG",@progbits,_ZL17mul_mat_vec_q_moeIL9ggml_type2ELi2EEvPKvS2_PKiPfj15HIP_vector_typeIjLj3EEjjjjjjjjj,comdat
	.globl	_ZL17mul_mat_vec_q_moeIL9ggml_type2ELi2EEvPKvS2_PKiPfj15HIP_vector_typeIjLj3EEjjjjjjjjj ; -- Begin function _ZL17mul_mat_vec_q_moeIL9ggml_type2ELi2EEvPKvS2_PKiPfj15HIP_vector_typeIjLj3EEjjjjjjjjj
	.p2align	8
	.type	_ZL17mul_mat_vec_q_moeIL9ggml_type2ELi2EEvPKvS2_PKiPfj15HIP_vector_typeIjLj3EEjjjjjjjjj,@function
_ZL17mul_mat_vec_q_moeIL9ggml_type2ELi2EEvPKvS2_PKiPfj15HIP_vector_typeIjLj3EEjjjjjjjjj: ; @_ZL17mul_mat_vec_q_moeIL9ggml_type2ELi2EEvPKvS2_PKiPfj15HIP_vector_typeIjLj3EEjjjjjjjjj
; %bb.0:
	s_load_dwordx8 s[16:23], s[4:5], 0x30
	s_mov_b32 s0, exec_lo
	s_waitcnt lgkmcnt(0)
	v_cmpx_gt_u32_e64 s23, v1
	s_cbranch_execz .LBB12_7
; %bb.1:
	s_clause 0x2
	s_load_dword s1, s[4:5], 0x20
	s_load_dword s0, s[4:5], 0x50
	s_load_dwordx8 s[8:15], s[4:5], 0x0
	v_lshrrev_b32_e32 v8, 1, v0
	v_mov_b32_e32 v2, 0
	v_mov_b32_e32 v3, 0
	s_mov_b32 s2, s7
	s_waitcnt lgkmcnt(0)
	s_lshr_b32 s3, s1, 5
	s_lshl_b32 s1, s6, 1
	s_mov_b32 s6, exec_lo
	v_cmpx_gt_u32_e64 s3, v8
	s_cbranch_execz .LBB12_5
; %bb.2:
	v_mad_u64_u32 v[2:3], null, s0, v1, s[2:3]
	v_mov_b32_e32 v3, 0
	s_load_dwordx4 s[24:27], s[4:5], 0x24
	v_lshrrev_b32_e32 v10, 1, v0
	v_lshlrev_b32_e32 v6, 2, v0
	s_add_i32 s0, s1, 1
	v_and_b32_e32 v7, 1, v0
	v_lshlrev_b64 v[4:5], 2, v[2:3]
	v_and_b32_e32 v12, 4, v6
	v_lshlrev_b32_e32 v9, 3, v7
	v_add_co_u32 v4, vcc_lo, s12, v4
	v_add_co_ci_u32_e64 v5, null, s13, v5, vcc_lo
	global_load_dword v2, v[4:5], off
	v_mul_lo_u32 v4, s18, v1
	s_waitcnt lgkmcnt(0)
	s_mul_hi_u32 s4, s24, s2
	s_add_i32 s4, s2, s4
	s_lshr_b32 s4, s4, s25
	s_mul_i32 s4, s4, s26
	v_mad_u64_u32 v[4:5], null, v4, 36, 0
	s_sub_i32 s4, s2, s4
	s_mul_i32 s4, s4, s21
	s_mul_i32 s5, s4, 36
	s_mul_hi_u32 s4, s4, 36
	v_mad_u64_u32 v[10:11], null, v10, 36, v[4:5]
	s_add_u32 s5, s10, s5
	s_addc_u32 s4, s11, s4
	s_waitcnt vmcnt(0)
	v_mul_lo_u32 v2, v2, s20
	v_mad_u64_u32 v[4:5], null, s1, s17, v[2:3]
	v_mad_u64_u32 v[5:6], null, s17, s0, v[2:3]
	v_add_co_u32 v6, vcc_lo, s5, v10
	v_add_co_ci_u32_e64 v7, null, s4, v11, vcc_lo
	v_lshlrev_b32_e32 v10, 1, v12
	v_mov_b32_e32 v2, v3
	s_mov_b32 s4, 0
.LBB12_3:                               ; =>This Inner Loop Header: Depth=1
	v_add_nc_u32_e32 v12, v4, v8
	v_add_nc_u32_e32 v15, v5, v8
	v_add_co_u32 v11, vcc_lo, v6, v9
	v_add_nc_u32_e32 v8, 16, v8
	v_mad_i64_i32 v[13:14], null, v12, 18, s[8:9]
	v_mad_i64_i32 v[15:16], null, v15, 18, s[8:9]
	v_add_co_ci_u32_e64 v12, null, 0, v7, vcc_lo
	v_add_co_u32 v17, s0, v13, v10
	v_add_co_ci_u32_e64 v18, null, 0, v14, s0
	v_add_co_u32 v19, s0, v15, v10
	v_add_co_ci_u32_e64 v20, null, 0, v16, s0
	s_clause 0x1
	global_load_dwordx2 v[17:18], v[17:18], off offset:2
	global_load_dwordx2 v[19:20], v[19:20], off offset:2
	s_clause 0x2
	global_load_dwordx2 v[21:22], v[11:12], off offset:4
	global_load_dwordx2 v[11:12], v[11:12], off offset:20
	global_load_dword v23, v[6:7], off
	s_clause 0x1
	global_load_ushort v15, v[15:16], off
	global_load_ushort v13, v[13:14], off
	v_mov_b32_e32 v14, 0
	v_mov_b32_e32 v16, 0
	v_add_co_u32 v6, vcc_lo, 0x240, v6
	v_cmp_le_u32_e64 s0, s3, v8
	v_add_co_ci_u32_e64 v7, null, 0, v7, vcc_lo
	s_or_b32 s4, s0, s4
	s_waitcnt vmcnt(6)
	v_lshrrev_b32_e32 v24, 4, v17
	v_and_b32_e32 v17, 0xf0f0f0f, v17
	s_waitcnt vmcnt(5)
	v_lshrrev_b32_e32 v25, 4, v19
	v_and_b32_e32 v19, 0xf0f0f0f, v19
	v_and_b32_e32 v26, 0xf0f0f0f, v18
	v_and_b32_e32 v24, 0xf0f0f0f, v24
	s_waitcnt vmcnt(4)
	v_dot4c_i32_i8 v14, v17, v21
	v_and_b32_e32 v17, 0xf0f0f0f, v25
	v_dot4c_i32_i8 v16, v19, v21
	v_lshrrev_b32_e32 v18, 4, v18
	v_and_b32_e32 v19, 0xf0f0f0f, v20
	v_lshrrev_b32_e32 v20, 4, v20
	s_waitcnt vmcnt(3)
	v_dot4c_i32_i8 v14, v24, v11
	v_dot4c_i32_i8 v16, v17, v11
	v_and_b32_e32 v11, 0xf0f0f0f, v18
	s_waitcnt vmcnt(2)
	v_cvt_f32_f16_sdwa v18, v23 dst_sel:DWORD dst_unused:UNUSED_PAD src0_sel:WORD_1
	v_and_b32_e32 v17, 0xf0f0f0f, v20
	v_dot4c_i32_i8 v14, v26, v22
	v_dot4c_i32_i8 v16, v19, v22
	;; [unrolled: 1-line block ×4, first 2 shown]
	v_mul_f32_e32 v11, -4.0, v18
	v_cvt_f32_i32_e32 v12, v14
	v_cvt_f32_i32_e32 v14, v16
	v_fma_mix_f32 v12, v12, v23, v11 op_sel_hi:[0,1,0]
	v_fma_mix_f32 v11, v14, v23, v11 op_sel_hi:[0,1,0]
	s_waitcnt vmcnt(0)
	v_fma_mix_f32 v3, v12, v13, v3 op_sel_hi:[0,1,0]
	v_fma_mix_f32 v2, v11, v15, v2 op_sel_hi:[0,1,0]
	s_andn2_b32 exec_lo, exec_lo, s4
	s_cbranch_execnz .LBB12_3
; %bb.4:
	s_or_b32 exec_lo, exec_lo, s4
.LBB12_5:
	s_or_b32 exec_lo, exec_lo, s6
	v_mbcnt_lo_u32_b32 v4, -1, 0
	v_xor_b32_e32 v5, 16, v4
	v_xor_b32_e32 v7, 8, v4
	v_cmp_gt_i32_e32 vcc_lo, 32, v5
	v_cndmask_b32_e32 v5, v4, v5, vcc_lo
	v_cmp_gt_i32_e32 vcc_lo, 32, v7
	v_lshlrev_b32_e32 v5, 2, v5
	v_cndmask_b32_e32 v7, v4, v7, vcc_lo
	ds_bpermute_b32 v6, v5, v3
	ds_bpermute_b32 v5, v5, v2
	v_lshlrev_b32_e32 v7, 2, v7
	s_waitcnt lgkmcnt(1)
	v_add_f32_e32 v3, v3, v6
	s_waitcnt lgkmcnt(0)
	v_add_f32_e32 v2, v2, v5
	ds_bpermute_b32 v5, v7, v3
	ds_bpermute_b32 v6, v7, v2
	v_xor_b32_e32 v7, 4, v4
	v_cmp_gt_i32_e32 vcc_lo, 32, v7
	v_cndmask_b32_e32 v7, v4, v7, vcc_lo
	v_lshlrev_b32_e32 v7, 2, v7
	s_waitcnt lgkmcnt(1)
	v_add_f32_e32 v3, v3, v5
	s_waitcnt lgkmcnt(0)
	v_add_f32_e32 v2, v2, v6
	ds_bpermute_b32 v5, v7, v3
	ds_bpermute_b32 v6, v7, v2
	v_xor_b32_e32 v7, 2, v4
	v_cmp_gt_i32_e32 vcc_lo, 32, v7
	v_cndmask_b32_e32 v7, v4, v7, vcc_lo
	;; [unrolled: 10-line block ×3, first 2 shown]
	v_cmp_gt_u32_e32 vcc_lo, 2, v0
	v_lshlrev_b32_e32 v7, 2, v4
	s_waitcnt lgkmcnt(1)
	v_add_f32_e32 v2, v3, v2
	s_waitcnt lgkmcnt(0)
	v_add_f32_e32 v3, v5, v6
	v_add_nc_u32_e32 v6, s1, v0
	ds_bpermute_b32 v4, v7, v2
	ds_bpermute_b32 v5, v7, v3
	v_cmp_gt_u32_e64 s0, s16, v6
	s_and_b32 s0, vcc_lo, s0
	s_and_b32 exec_lo, exec_lo, s0
	s_cbranch_execz .LBB12_7
; %bb.6:
	v_mul_lo_u32 v1, s19, v1
	v_or_b32_e32 v6, s1, v0
	s_mul_i32 s0, s22, s2
	v_mov_b32_e32 v7, 0
	s_waitcnt lgkmcnt(1)
	v_add_f32_e32 v4, v2, v4
	s_waitcnt lgkmcnt(0)
	v_add_f32_e32 v3, v3, v5
	v_cmp_eq_u32_e32 vcc_lo, 1, v0
	v_add3_u32 v6, v6, v1, s0
	v_cndmask_b32_e32 v3, v4, v3, vcc_lo
	v_lshlrev_b64 v[1:2], 2, v[6:7]
	v_add_co_u32 v0, vcc_lo, s14, v1
	v_add_co_ci_u32_e64 v1, null, s15, v2, vcc_lo
	global_store_dword v[0:1], v3, off
.LBB12_7:
	s_endpgm
	.section	.rodata,"a",@progbits
	.p2align	6, 0x0
	.amdhsa_kernel _ZL17mul_mat_vec_q_moeIL9ggml_type2ELi2EEvPKvS2_PKiPfj15HIP_vector_typeIjLj3EEjjjjjjjjj
		.amdhsa_group_segment_fixed_size 0
		.amdhsa_private_segment_fixed_size 0
		.amdhsa_kernarg_size 84
		.amdhsa_user_sgpr_count 6
		.amdhsa_user_sgpr_private_segment_buffer 1
		.amdhsa_user_sgpr_dispatch_ptr 0
		.amdhsa_user_sgpr_queue_ptr 0
		.amdhsa_user_sgpr_kernarg_segment_ptr 1
		.amdhsa_user_sgpr_dispatch_id 0
		.amdhsa_user_sgpr_flat_scratch_init 0
		.amdhsa_user_sgpr_private_segment_size 0
		.amdhsa_wavefront_size32 1
		.amdhsa_uses_dynamic_stack 0
		.amdhsa_system_sgpr_private_segment_wavefront_offset 0
		.amdhsa_system_sgpr_workgroup_id_x 1
		.amdhsa_system_sgpr_workgroup_id_y 1
		.amdhsa_system_sgpr_workgroup_id_z 0
		.amdhsa_system_sgpr_workgroup_info 0
		.amdhsa_system_vgpr_workitem_id 1
		.amdhsa_next_free_vgpr 27
		.amdhsa_next_free_sgpr 28
		.amdhsa_reserve_vcc 1
		.amdhsa_reserve_flat_scratch 0
		.amdhsa_float_round_mode_32 0
		.amdhsa_float_round_mode_16_64 0
		.amdhsa_float_denorm_mode_32 3
		.amdhsa_float_denorm_mode_16_64 3
		.amdhsa_dx10_clamp 1
		.amdhsa_ieee_mode 1
		.amdhsa_fp16_overflow 0
		.amdhsa_workgroup_processor_mode 1
		.amdhsa_memory_ordered 1
		.amdhsa_forward_progress 1
		.amdhsa_shared_vgpr_count 0
		.amdhsa_exception_fp_ieee_invalid_op 0
		.amdhsa_exception_fp_denorm_src 0
		.amdhsa_exception_fp_ieee_div_zero 0
		.amdhsa_exception_fp_ieee_overflow 0
		.amdhsa_exception_fp_ieee_underflow 0
		.amdhsa_exception_fp_ieee_inexact 0
		.amdhsa_exception_int_div_zero 0
	.end_amdhsa_kernel
	.section	.text._ZL17mul_mat_vec_q_moeIL9ggml_type2ELi2EEvPKvS2_PKiPfj15HIP_vector_typeIjLj3EEjjjjjjjjj,"axG",@progbits,_ZL17mul_mat_vec_q_moeIL9ggml_type2ELi2EEvPKvS2_PKiPfj15HIP_vector_typeIjLj3EEjjjjjjjjj,comdat
.Lfunc_end12:
	.size	_ZL17mul_mat_vec_q_moeIL9ggml_type2ELi2EEvPKvS2_PKiPfj15HIP_vector_typeIjLj3EEjjjjjjjjj, .Lfunc_end12-_ZL17mul_mat_vec_q_moeIL9ggml_type2ELi2EEvPKvS2_PKiPfj15HIP_vector_typeIjLj3EEjjjjjjjjj
                                        ; -- End function
	.set _ZL17mul_mat_vec_q_moeIL9ggml_type2ELi2EEvPKvS2_PKiPfj15HIP_vector_typeIjLj3EEjjjjjjjjj.num_vgpr, 27
	.set _ZL17mul_mat_vec_q_moeIL9ggml_type2ELi2EEvPKvS2_PKiPfj15HIP_vector_typeIjLj3EEjjjjjjjjj.num_agpr, 0
	.set _ZL17mul_mat_vec_q_moeIL9ggml_type2ELi2EEvPKvS2_PKiPfj15HIP_vector_typeIjLj3EEjjjjjjjjj.numbered_sgpr, 28
	.set _ZL17mul_mat_vec_q_moeIL9ggml_type2ELi2EEvPKvS2_PKiPfj15HIP_vector_typeIjLj3EEjjjjjjjjj.num_named_barrier, 0
	.set _ZL17mul_mat_vec_q_moeIL9ggml_type2ELi2EEvPKvS2_PKiPfj15HIP_vector_typeIjLj3EEjjjjjjjjj.private_seg_size, 0
	.set _ZL17mul_mat_vec_q_moeIL9ggml_type2ELi2EEvPKvS2_PKiPfj15HIP_vector_typeIjLj3EEjjjjjjjjj.uses_vcc, 1
	.set _ZL17mul_mat_vec_q_moeIL9ggml_type2ELi2EEvPKvS2_PKiPfj15HIP_vector_typeIjLj3EEjjjjjjjjj.uses_flat_scratch, 0
	.set _ZL17mul_mat_vec_q_moeIL9ggml_type2ELi2EEvPKvS2_PKiPfj15HIP_vector_typeIjLj3EEjjjjjjjjj.has_dyn_sized_stack, 0
	.set _ZL17mul_mat_vec_q_moeIL9ggml_type2ELi2EEvPKvS2_PKiPfj15HIP_vector_typeIjLj3EEjjjjjjjjj.has_recursion, 0
	.set _ZL17mul_mat_vec_q_moeIL9ggml_type2ELi2EEvPKvS2_PKiPfj15HIP_vector_typeIjLj3EEjjjjjjjjj.has_indirect_call, 0
	.section	.AMDGPU.csdata,"",@progbits
; Kernel info:
; codeLenInByte = 1036
; TotalNumSgprs: 30
; NumVgprs: 27
; ScratchSize: 0
; MemoryBound: 0
; FloatMode: 240
; IeeeMode: 1
; LDSByteSize: 0 bytes/workgroup (compile time only)
; SGPRBlocks: 0
; VGPRBlocks: 3
; NumSGPRsForWavesPerEU: 30
; NumVGPRsForWavesPerEU: 27
; Occupancy: 16
; WaveLimiterHint : 1
; COMPUTE_PGM_RSRC2:SCRATCH_EN: 0
; COMPUTE_PGM_RSRC2:USER_SGPR: 6
; COMPUTE_PGM_RSRC2:TRAP_HANDLER: 0
; COMPUTE_PGM_RSRC2:TGID_X_EN: 1
; COMPUTE_PGM_RSRC2:TGID_Y_EN: 1
; COMPUTE_PGM_RSRC2:TGID_Z_EN: 0
; COMPUTE_PGM_RSRC2:TIDIG_COMP_CNT: 1
	.section	.text._ZL13mul_mat_vec_qIL9ggml_type2ELi1ELb1ELb1EEvPKvS2_PKi31ggml_cuda_mm_fusion_args_devicePfj15HIP_vector_typeIjLj3EEjjjS8_jjjS8_jjjj,"axG",@progbits,_ZL13mul_mat_vec_qIL9ggml_type2ELi1ELb1ELb1EEvPKvS2_PKi31ggml_cuda_mm_fusion_args_devicePfj15HIP_vector_typeIjLj3EEjjjS8_jjjS8_jjjj,comdat
	.globl	_ZL13mul_mat_vec_qIL9ggml_type2ELi1ELb1ELb1EEvPKvS2_PKi31ggml_cuda_mm_fusion_args_devicePfj15HIP_vector_typeIjLj3EEjjjS8_jjjS8_jjjj ; -- Begin function _ZL13mul_mat_vec_qIL9ggml_type2ELi1ELb1ELb1EEvPKvS2_PKi31ggml_cuda_mm_fusion_args_devicePfj15HIP_vector_typeIjLj3EEjjjS8_jjjS8_jjjj
	.p2align	8
	.type	_ZL13mul_mat_vec_qIL9ggml_type2ELi1ELb1ELb1EEvPKvS2_PKi31ggml_cuda_mm_fusion_args_devicePfj15HIP_vector_typeIjLj3EEjjjS8_jjjS8_jjjj,@function
_ZL13mul_mat_vec_qIL9ggml_type2ELi1ELb1ELb1EEvPKvS2_PKi31ggml_cuda_mm_fusion_args_devicePfj15HIP_vector_typeIjLj3EEjjjS8_jjjS8_jjjj: ; @_ZL13mul_mat_vec_qIL9ggml_type2ELi1ELb1ELb1EEvPKvS2_PKi31ggml_cuda_mm_fusion_args_devicePfj15HIP_vector_typeIjLj3EEjjjS8_jjjS8_jjjj
; %bb.0:
	s_clause 0x3
	s_load_dwordx8 s[12:19], s[4:5], 0x0
	s_load_dwordx4 s[28:31], s[4:5], 0x20
	s_load_dwordx4 s[36:39], s[4:5], 0x40
	;; [unrolled: 1-line block ×3, first 2 shown]
	s_mov_b32 s10, s7
	s_waitcnt lgkmcnt(0)
	s_cmp_lg_u64 s[16:17], 0
	s_cselect_b32 s0, -1, 0
	s_cmp_eq_u64 s[16:17], 0
	s_cbranch_scc1 .LBB13_5
; %bb.1:
	s_mov_b32 s11, 0
	s_lshl_b64 s[2:3], s[10:11], 2
	s_add_u32 s2, s16, s2
	s_addc_u32 s3, s17, s3
	s_load_dword s33, s[2:3], 0x0
	s_clause 0x1
	s_load_dword s34, s[4:5], 0x50
	s_load_dword s35, s[4:5], 0x78
	s_cbranch_execnz .LBB13_3
.LBB13_2:
	s_load_dwordx2 s[2:3], s[4:5], 0x5c
	s_waitcnt lgkmcnt(0)
	s_mul_hi_u32 s1, s2, s10
	s_add_i32 s1, s10, s1
	s_lshr_b32 s33, s1, s3
.LBB13_3:
	s_andn2_b32 vcc_lo, exec_lo, s0
	s_cbranch_vccnz .LBB13_6
; %bb.4:
	s_mul_hi_u32 s0, s37, s10
	s_waitcnt lgkmcnt(0)
	s_mov_b32 s1, s33
	s_add_i32 s0, s10, s0
	s_lshr_b32 s0, s0, s38
	s_mul_i32 s0, s0, s39
	s_sub_i32 s11, s10, s0
	s_branch .LBB13_7
.LBB13_5:
                                        ; implicit-def: $sgpr33
	s_clause 0x1
	s_load_dword s34, s[4:5], 0x50
	s_load_dword s35, s[4:5], 0x78
	s_branch .LBB13_2
.LBB13_6:
	s_mov_b32 s1, s10
	s_mov_b32 s11, s10
.LBB13_7:
	s_load_dwordx4 s[24:27], s[4:5], 0x80
	v_or_b32_e32 v2, v0, v1
	s_cmp_lg_u64 s[18:19], 0
	v_mov_b32_e32 v10, 0
	v_mov_b32_e32 v11, 0
	s_cselect_b32 s0, -1, 0
	v_cmp_eq_u32_e32 vcc_lo, 0, v2
	s_mov_b32 s17, 0
	s_mul_i32 s2, s1, s22
	s_and_b32 s3, s0, vcc_lo
	s_and_saveexec_b32 s1, s3
	s_cbranch_execz .LBB13_9
; %bb.8:
	s_waitcnt lgkmcnt(0)
	s_mul_i32 s16, s26, s8
	s_mov_b32 s3, s17
	s_lshl_b64 s[38:39], s[16:17], 2
	v_lshlrev_b32_e32 v2, 2, v0
	s_add_u32 s7, s18, s38
	s_addc_u32 s9, s19, s39
	s_lshl_b64 s[16:17], s[2:3], 2
	s_add_u32 s3, s7, s16
	s_addc_u32 s9, s9, s17
	s_ashr_i32 s7, s6, 31
	s_lshl_b64 s[16:17], s[6:7], 2
	s_add_u32 s16, s3, s16
	s_addc_u32 s17, s9, s17
	global_load_dword v11, v2, s[16:17]
.LBB13_9:
	s_or_b32 exec_lo, exec_lo, s1
	s_cmp_lg_u64 s[28:29], 0
	s_cselect_b32 s9, -1, 0
	s_cmp_lg_u64 s[30:31], 0
	s_cselect_b32 s1, -1, 0
	s_and_b32 s3, s1, s9
	s_and_b32 s3, s3, vcc_lo
	s_and_saveexec_b32 s16, s3
	s_cbranch_execz .LBB13_11
; %bb.10:
	s_waitcnt lgkmcnt(0)
	s_mul_i32 s18, s26, s8
	s_mov_b32 s19, 0
	v_lshlrev_b32_e32 v2, 2, v0
	s_lshl_b64 s[38:39], s[18:19], 2
	s_mov_b32 s3, s19
	s_add_u32 s7, s30, s38
	s_addc_u32 s17, s31, s39
	s_lshl_b64 s[2:3], s[2:3], 2
	s_add_u32 s18, s7, s2
	s_addc_u32 s17, s17, s3
	s_ashr_i32 s7, s6, 31
	s_lshl_b64 s[2:3], s[6:7], 2
	s_add_u32 s2, s18, s2
	s_addc_u32 s3, s17, s3
	global_load_dword v10, v2, s[2:3]
.LBB13_11:
	s_or_b32 exec_lo, exec_lo, s16
	v_lshl_or_b32 v2, v1, 5, v0
	v_mov_b32_e32 v14, 0
	v_cndmask_b32_e64 v12, 0, 1, s9
	v_mov_b32_e32 v13, 0
	s_lshr_b32 s3, s36, 5
	v_lshrrev_b16 v3, 1, v2
	s_mov_b32 s7, exec_lo
	v_and_b32_e32 v15, 0xffff, v3
	v_cmpx_gt_u32_e64 s3, v15
	s_cbranch_execz .LBB13_17
; %bb.12:
	s_mul_hi_u32 s2, s23, s8
	s_waitcnt lgkmcnt(0)
	s_mul_i32 s34, s34, s6
	s_add_i32 s2, s8, s2
	s_mul_i32 s16, s25, s8
	s_lshr_b32 s2, s2, s35
	s_mul_i32 s17, s33, s20
	s_mul_i32 s2, s2, s24
	v_lshlrev_b32_e32 v3, 2, v0
	s_add_i32 s2, s2, s34
	s_mul_i32 s18, s11, s21
	s_add_i32 s11, s17, s2
	s_mul_i32 s17, s16, 36
	s_mul_hi_u32 s16, s16, 36
	v_lshrrev_b32_e32 v2, 1, v2
	s_mul_hi_u32 s2, s18, 36
	s_mul_i32 s18, s18, 36
	s_add_u32 s14, s14, s17
	s_addc_u32 s15, s15, s16
	s_add_u32 s14, s14, s18
	v_and_b32_e32 v4, 4, v3
	v_and_b32_e32 v5, 1, v0
	s_addc_u32 s15, s15, s2
	v_mov_b32_e32 v14, 0
	v_mad_u64_u32 v[2:3], null, v2, 36, s[14:15]
	v_lshlrev_b32_e32 v16, 3, v5
	v_lshlrev_b32_e32 v17, 1, v4
	v_mov_b32_e32 v13, 0
	s_mov_b32 s14, 0
	s_branch .LBB13_14
.LBB13_13:                              ;   in Loop: Header=BB13_14 Depth=1
	s_waitcnt vmcnt(1)
	v_and_b32_e32 v21, 0xf0f0f0f, v8
	v_lshrrev_b32_e32 v8, 4, v8
	v_mov_b32_e32 v22, 0
	v_add_nc_u32_e32 v15, 16, v15
	v_add_co_u32 v2, s2, 0x240, v2
	v_and_b32_e32 v8, 0xf0f0f0f, v8
	v_dot4c_i32_i8 v22, v21, v6
	v_and_b32_e32 v6, 0xf0f0f0f, v9
	v_lshrrev_b32_e32 v9, 4, v9
	v_cmp_le_u32_e32 vcc_lo, s3, v15
	v_add_co_ci_u32_e64 v3, null, 0, v3, s2
	v_dot4c_i32_i8 v22, v8, v4
	v_and_b32_e32 v4, 0xf0f0f0f, v9
	s_or_b32 s14, vcc_lo, s14
	v_dot4c_i32_i8 v22, v6, v7
	v_dot4c_i32_i8 v22, v4, v5
	v_cvt_f32_i32_e32 v4, v22
	v_fma_f32 v4, v4, v19, -v20
	s_waitcnt vmcnt(0)
	v_fma_mix_f32 v14, v4, v18, v14 op_sel_hi:[0,1,0]
	s_andn2_b32 exec_lo, exec_lo, s14
	s_cbranch_execz .LBB13_16
.LBB13_14:                              ; =>This Inner Loop Header: Depth=1
	v_add_nc_u32_e32 v21, s11, v15
	global_load_dword v20, v[2:3], off
	v_add_co_u32 v4, vcc_lo, v2, v16
	v_add_co_ci_u32_e64 v5, null, 0, v3, vcc_lo
	v_mad_i64_i32 v[18:19], null, v21, 18, s[12:13]
	v_add_co_u32 v8, vcc_lo, v18, v17
	v_add_co_ci_u32_e64 v9, null, 0, v19, vcc_lo
	s_clause 0x1
	global_load_dwordx2 v[6:7], v[4:5], off offset:4
	global_load_dwordx2 v[4:5], v[4:5], off offset:20
	s_clause 0x1
	global_load_dwordx2 v[8:9], v[8:9], off offset:2
	global_load_ushort v18, v[18:19], off
	s_andn2_b32 vcc_lo, exec_lo, s9
	s_waitcnt vmcnt(4)
	v_cvt_f32_f16_sdwa v22, v20 dst_sel:DWORD dst_unused:UNUSED_PAD src0_sel:WORD_1
	v_cvt_f32_f16_e32 v19, v20
	v_mul_f32_e32 v20, 4.0, v22
	s_cbranch_vccnz .LBB13_13
; %bb.15:                               ;   in Loop: Header=BB13_14 Depth=1
	v_mad_i64_i32 v[21:22], null, v21, 18, s[28:29]
	v_add_co_u32 v23, vcc_lo, v21, v17
	v_add_co_ci_u32_e64 v24, null, 0, v22, vcc_lo
	s_clause 0x1
	global_load_dwordx2 v[23:24], v[23:24], off offset:2
	global_load_ushort v21, v[21:22], off
	v_mov_b32_e32 v22, 0
	s_waitcnt vmcnt(1)
	v_lshrrev_b32_e32 v25, 4, v23
	v_and_b32_e32 v23, 0xf0f0f0f, v23
	v_and_b32_e32 v25, 0xf0f0f0f, v25
	v_dot4c_i32_i8 v22, v23, v6
	v_lshrrev_b32_e32 v23, 4, v24
	v_and_b32_e32 v24, 0xf0f0f0f, v24
	v_dot4c_i32_i8 v22, v25, v4
	v_and_b32_e32 v23, 0xf0f0f0f, v23
	v_dot4c_i32_i8 v22, v24, v7
	v_dot4c_i32_i8 v22, v23, v5
	v_cvt_f32_i32_e32 v22, v22
	v_fma_f32 v22, v19, v22, -v20
	s_waitcnt vmcnt(0)
	v_fma_mix_f32 v13, v22, v21, v13 op_sel_hi:[0,1,0]
	s_branch .LBB13_13
.LBB13_16:
	s_or_b32 exec_lo, exec_lo, s14
.LBB13_17:
	s_or_b32 exec_lo, exec_lo, s7
	s_load_dword s2, s[4:5], 0x30
	s_waitcnt vmcnt(0) lgkmcnt(0)
	; wave barrier
	buffer_gl0_inv
	s_mov_b32 s3, exec_lo
	v_cmpx_eq_u32_e32 0, v1
	s_cbranch_execz .LBB13_44
; %bb.18:
	v_mbcnt_lo_u32_b32 v2, -1, 0
	v_xor_b32_e32 v1, 16, v2
	v_xor_b32_e32 v4, 8, v2
	;; [unrolled: 1-line block ×3, first 2 shown]
	v_cmp_gt_i32_e32 vcc_lo, 32, v1
	v_cndmask_b32_e32 v1, v2, v1, vcc_lo
	v_cmp_gt_i32_e32 vcc_lo, 32, v4
	v_lshlrev_b32_e32 v1, 2, v1
	v_cndmask_b32_e32 v4, v2, v4, vcc_lo
	v_cmp_gt_i32_e32 vcc_lo, 32, v5
	ds_bpermute_b32 v3, v1, v14
	v_lshlrev_b32_e32 v4, 2, v4
	v_cndmask_b32_e32 v5, v2, v5, vcc_lo
	v_lshlrev_b32_e32 v5, 2, v5
	s_waitcnt lgkmcnt(0)
	v_add_f32_e32 v3, v14, v3
	ds_bpermute_b32 v6, v4, v3
	s_waitcnt lgkmcnt(0)
	v_add_f32_e32 v3, v3, v6
	v_xor_b32_e32 v6, 2, v2
	ds_bpermute_b32 v7, v5, v3
	v_cmp_gt_i32_e32 vcc_lo, 32, v6
	v_cndmask_b32_e32 v6, v2, v6, vcc_lo
	v_lshlrev_b32_e32 v6, 2, v6
	s_waitcnt lgkmcnt(0)
	v_add_f32_e32 v3, v3, v7
	v_xor_b32_e32 v7, 1, v2
	ds_bpermute_b32 v8, v6, v3
	v_cmp_gt_i32_e32 vcc_lo, 32, v7
	v_cndmask_b32_e32 v2, v2, v7, vcc_lo
	v_cmp_ne_u32_e32 vcc_lo, 1, v12
	v_lshlrev_b32_e32 v7, 2, v2
	s_waitcnt lgkmcnt(0)
	v_add_f32_e32 v2, v3, v8
	ds_bpermute_b32 v3, v7, v2
	s_cbranch_vccnz .LBB13_20
; %bb.19:
	ds_bpermute_b32 v1, v1, v13
	s_waitcnt lgkmcnt(0)
	v_add_f32_e32 v1, v13, v1
	ds_bpermute_b32 v4, v4, v1
	s_waitcnt lgkmcnt(0)
	v_add_f32_e32 v1, v1, v4
	;; [unrolled: 3-line block ×5, first 2 shown]
.LBB13_20:
	v_cmp_eq_u32_e32 vcc_lo, 0, v0
	s_and_b32 exec_lo, exec_lo, vcc_lo
	s_cbranch_execz .LBB13_44
; %bb.21:
	s_waitcnt lgkmcnt(0)
	v_add_f32_e32 v1, v2, v3
	v_cmp_ne_u32_e32 vcc_lo, 1, v12
	v_add_f32_e32 v2, v11, v1
	v_cndmask_b32_e64 v1, v1, v2, s0
	s_cbranch_vccnz .LBB13_43
; %bb.22:
	v_add_f32_e32 v2, v10, v13
	s_cmp_lt_i32 s2, 2
	s_mov_b32 s0, 0
	v_cndmask_b32_e64 v2, v13, v2, s1
	s_cbranch_scc1 .LBB13_26
; %bb.23:
	s_cmp_gt_i32 s2, 2
	s_cbranch_scc0 .LBB13_27
; %bb.24:
	s_cmp_eq_u32 s2, 3
	s_cbranch_scc0 .LBB13_28
; %bb.25:
	v_max_f32_e32 v3, v2, v2
	s_mov_b32 s1, 0
	v_min_f32_e32 v3, 0x40e00000, v3
	v_mul_f32_e32 v4, 0xbfd9db23, v3
	v_mul_f32_e32 v5, 0x3fb8aa3b, v4
	v_cmp_ngt_f32_e32 vcc_lo, 0xc2ce8ed0, v4
	v_fma_f32 v6, 0x3fb8aa3b, v4, -v5
	v_rndne_f32_e32 v7, v5
	v_fmamk_f32 v6, v4, 0x32a5705f, v6
	v_sub_f32_e32 v5, v5, v7
	v_add_f32_e32 v5, v5, v6
	v_cvt_i32_f32_e32 v6, v7
	v_exp_f32_e32 v5, v5
	v_ldexp_f32 v5, v5, v6
	v_cndmask_b32_e32 v5, 0, v5, vcc_lo
	v_cmp_nlt_f32_e32 vcc_lo, 0x42b17218, v4
	v_cndmask_b32_e32 v4, 0x7f800000, v5, vcc_lo
	v_add_f32_e32 v4, 1.0, v4
	v_div_scale_f32 v5, null, v4, v4, v3
	v_div_scale_f32 v8, vcc_lo, v3, v4, v3
	v_rcp_f32_e32 v6, v5
	v_fma_f32 v7, -v5, v6, 1.0
	v_fmac_f32_e32 v6, v7, v6
	v_mul_f32_e32 v7, v8, v6
	v_fma_f32 v9, -v5, v7, v8
	v_fmac_f32_e32 v7, v9, v6
	v_max_f32_e32 v9, v1, v1
	v_fma_f32 v5, -v5, v7, v8
	v_min_f32_e32 v8, 0x40e00000, v9
	v_div_fmas_f32 v5, v5, v6, v7
	v_max_f32_e32 v6, 0xc0e00000, v8
	v_div_fixup_f32 v3, v5, v4, v3
	v_add_f32_e32 v4, 1.0, v6
	v_mul_f32_e32 v3, v4, v3
	s_branch .LBB13_29
.LBB13_26:
	s_mov_b32 s1, 0
                                        ; implicit-def: $vgpr3
	s_cbranch_execnz .LBB13_33
	s_branch .LBB13_34
.LBB13_27:
	s_mov_b32 s3, -1
	s_mov_b32 s1, 0
                                        ; implicit-def: $vgpr3
	s_branch .LBB13_30
.LBB13_28:
	s_mov_b32 s1, -1
                                        ; implicit-def: $vgpr3
.LBB13_29:
	s_mov_b32 s3, 0
.LBB13_30:
	s_and_b32 vcc_lo, exec_lo, s3
	s_cbranch_vccz .LBB13_32
; %bb.31:
	v_mul_f32_e32 v3, 0xbfb8aa3b, v2
	v_cmp_nlt_f32_e32 vcc_lo, 0x42ce8ed0, v2
	v_rndne_f32_e32 v4, v3
	v_fma_f32 v5, 0xbfb8aa3b, v2, -v3
	v_sub_f32_e32 v3, v3, v4
	v_fmamk_f32 v5, v2, 0xb2a5705f, v5
	v_cvt_i32_f32_e32 v4, v4
	v_add_f32_e32 v3, v3, v5
	v_exp_f32_e32 v3, v3
	v_ldexp_f32 v3, v3, v4
	v_cndmask_b32_e32 v3, 0, v3, vcc_lo
	v_cmp_ngt_f32_e32 vcc_lo, 0xc2b17218, v2
	v_cndmask_b32_e32 v3, 0x7f800000, v3, vcc_lo
	v_add_f32_e32 v3, 1.0, v3
	v_div_scale_f32 v4, null, v3, v3, v2
	v_rcp_f32_e32 v5, v4
	v_fma_f32 v6, -v4, v5, 1.0
	v_fmac_f32_e32 v5, v6, v5
	v_div_scale_f32 v6, vcc_lo, v2, v3, v2
	v_mul_f32_e32 v7, v6, v5
	v_fma_f32 v8, -v4, v7, v6
	v_fmac_f32_e32 v7, v8, v5
	v_fma_f32 v4, -v4, v7, v6
	v_div_fmas_f32 v4, v4, v5, v7
	v_div_fixup_f32 v3, v4, v3, v2
	v_mul_f32_e32 v3, v1, v3
.LBB13_32:
	s_branch .LBB13_34
.LBB13_33:
	s_cmp_lg_u32 s2, 1
	s_mov_b32 s0, -1
	s_cselect_b32 s1, -1, 0
.LBB13_34:
	s_andn2_b32 vcc_lo, exec_lo, s1
	s_cbranch_vccz .LBB13_36
; %bb.35:
	s_andn2_b32 vcc_lo, exec_lo, s0
	s_cbranch_vccz .LBB13_37
	s_branch .LBB13_42
.LBB13_36:
	v_mul_f32_e32 v3, v2, v1
	s_cbranch_execnz .LBB13_42
.LBB13_37:
	v_mul_f32_e32 v3, 0x3d372713, v2
	v_mul_f32_e32 v4, 0x3f4c422a, v2
	v_fma_f32 v3, v2, v3, 1.0
	v_mul_f32_e32 v3, v4, v3
                                        ; implicit-def: $vgpr4
	v_cmp_ngt_f32_e64 s0, 0x3f200000, |v3|
	s_and_saveexec_b32 s1, s0
	s_xor_b32 s0, exec_lo, s1
	s_cbranch_execz .LBB13_39
; %bb.38:
	v_add_f32_e64 v4, |v3|, |v3|
	v_mul_f32_e32 v5, 0x3fb8aa3b, v4
	v_cmp_ngt_f32_e32 vcc_lo, 0xc2ce8ed0, v4
	v_rndne_f32_e32 v6, v5
	v_fma_f32 v7, 0x3fb8aa3b, v4, -v5
	v_sub_f32_e32 v5, v5, v6
	v_fmamk_f32 v7, v4, 0x32a5705f, v7
	v_cvt_i32_f32_e32 v6, v6
	v_add_f32_e32 v5, v5, v7
	v_exp_f32_e32 v5, v5
	v_ldexp_f32 v5, v5, v6
	v_cndmask_b32_e32 v5, 0, v5, vcc_lo
	v_cmp_nlt_f32_e32 vcc_lo, 0x42b17218, v4
	v_cndmask_b32_e32 v4, 0x7f800000, v5, vcc_lo
	v_add_f32_e32 v4, 1.0, v4
	v_rcp_f32_e32 v4, v4
	v_fma_f32 v4, v4, -2.0, 1.0
.LBB13_39:
	s_andn2_saveexec_b32 s0, s0
	s_cbranch_execz .LBB13_41
; %bb.40:
	v_mul_f32_e32 v4, v3, v3
	s_mov_b32 s1, 0xbbbac73d
	v_fmaak_f32 v5, s1, v4, 0x3ca908c9
	v_fmaak_f32 v5, v4, v5, 0xbd5c1c4e
	;; [unrolled: 1-line block ×4, first 2 shown]
	v_mul_f32_e64 v5, |v3|, v5
	v_fma_f32 v4, v4, v5, |v3|
.LBB13_41:
	s_or_b32 exec_lo, exec_lo, s0
	v_bfi_b32 v3, 0x7fffffff, v4, v3
	v_mul_f32_e32 v2, 0.5, v2
	v_add_f32_e32 v3, 1.0, v3
	v_mul_f32_e32 v2, v2, v3
	v_mul_f32_e32 v3, v1, v2
.LBB13_42:
	v_mov_b32_e32 v1, v3
.LBB13_43:
	s_load_dwordx2 s[0:1], s[4:5], 0x38
	s_mul_i32 s2, s22, s10
	s_mul_i32 s3, s26, s8
	s_add_i32 s2, s2, s6
	v_lshlrev_b32_e32 v0, 2, v0
	s_add_i32 s2, s2, s3
	s_mov_b32 s3, 0
	s_lshl_b64 s[2:3], s[2:3], 2
	s_waitcnt lgkmcnt(0)
	s_add_u32 s0, s0, s2
	s_addc_u32 s1, s1, s3
	global_store_dword v0, v1, s[0:1]
.LBB13_44:
	s_endpgm
	.section	.rodata,"a",@progbits
	.p2align	6, 0x0
	.amdhsa_kernel _ZL13mul_mat_vec_qIL9ggml_type2ELi1ELb1ELb1EEvPKvS2_PKi31ggml_cuda_mm_fusion_args_devicePfj15HIP_vector_typeIjLj3EEjjjS8_jjjS8_jjjj
		.amdhsa_group_segment_fixed_size 0
		.amdhsa_private_segment_fixed_size 0
		.amdhsa_kernarg_size 144
		.amdhsa_user_sgpr_count 6
		.amdhsa_user_sgpr_private_segment_buffer 1
		.amdhsa_user_sgpr_dispatch_ptr 0
		.amdhsa_user_sgpr_queue_ptr 0
		.amdhsa_user_sgpr_kernarg_segment_ptr 1
		.amdhsa_user_sgpr_dispatch_id 0
		.amdhsa_user_sgpr_flat_scratch_init 0
		.amdhsa_user_sgpr_private_segment_size 0
		.amdhsa_wavefront_size32 1
		.amdhsa_uses_dynamic_stack 0
		.amdhsa_system_sgpr_private_segment_wavefront_offset 0
		.amdhsa_system_sgpr_workgroup_id_x 1
		.amdhsa_system_sgpr_workgroup_id_y 1
		.amdhsa_system_sgpr_workgroup_id_z 1
		.amdhsa_system_sgpr_workgroup_info 0
		.amdhsa_system_vgpr_workitem_id 1
		.amdhsa_next_free_vgpr 26
		.amdhsa_next_free_sgpr 40
		.amdhsa_reserve_vcc 1
		.amdhsa_reserve_flat_scratch 0
		.amdhsa_float_round_mode_32 0
		.amdhsa_float_round_mode_16_64 0
		.amdhsa_float_denorm_mode_32 3
		.amdhsa_float_denorm_mode_16_64 3
		.amdhsa_dx10_clamp 1
		.amdhsa_ieee_mode 1
		.amdhsa_fp16_overflow 0
		.amdhsa_workgroup_processor_mode 1
		.amdhsa_memory_ordered 1
		.amdhsa_forward_progress 1
		.amdhsa_shared_vgpr_count 0
		.amdhsa_exception_fp_ieee_invalid_op 0
		.amdhsa_exception_fp_denorm_src 0
		.amdhsa_exception_fp_ieee_div_zero 0
		.amdhsa_exception_fp_ieee_overflow 0
		.amdhsa_exception_fp_ieee_underflow 0
		.amdhsa_exception_fp_ieee_inexact 0
		.amdhsa_exception_int_div_zero 0
	.end_amdhsa_kernel
	.section	.text._ZL13mul_mat_vec_qIL9ggml_type2ELi1ELb1ELb1EEvPKvS2_PKi31ggml_cuda_mm_fusion_args_devicePfj15HIP_vector_typeIjLj3EEjjjS8_jjjS8_jjjj,"axG",@progbits,_ZL13mul_mat_vec_qIL9ggml_type2ELi1ELb1ELb1EEvPKvS2_PKi31ggml_cuda_mm_fusion_args_devicePfj15HIP_vector_typeIjLj3EEjjjS8_jjjS8_jjjj,comdat
.Lfunc_end13:
	.size	_ZL13mul_mat_vec_qIL9ggml_type2ELi1ELb1ELb1EEvPKvS2_PKi31ggml_cuda_mm_fusion_args_devicePfj15HIP_vector_typeIjLj3EEjjjS8_jjjS8_jjjj, .Lfunc_end13-_ZL13mul_mat_vec_qIL9ggml_type2ELi1ELb1ELb1EEvPKvS2_PKi31ggml_cuda_mm_fusion_args_devicePfj15HIP_vector_typeIjLj3EEjjjS8_jjjS8_jjjj
                                        ; -- End function
	.set _ZL13mul_mat_vec_qIL9ggml_type2ELi1ELb1ELb1EEvPKvS2_PKi31ggml_cuda_mm_fusion_args_devicePfj15HIP_vector_typeIjLj3EEjjjS8_jjjS8_jjjj.num_vgpr, 26
	.set _ZL13mul_mat_vec_qIL9ggml_type2ELi1ELb1ELb1EEvPKvS2_PKi31ggml_cuda_mm_fusion_args_devicePfj15HIP_vector_typeIjLj3EEjjjS8_jjjS8_jjjj.num_agpr, 0
	.set _ZL13mul_mat_vec_qIL9ggml_type2ELi1ELb1ELb1EEvPKvS2_PKi31ggml_cuda_mm_fusion_args_devicePfj15HIP_vector_typeIjLj3EEjjjS8_jjjS8_jjjj.numbered_sgpr, 40
	.set _ZL13mul_mat_vec_qIL9ggml_type2ELi1ELb1ELb1EEvPKvS2_PKi31ggml_cuda_mm_fusion_args_devicePfj15HIP_vector_typeIjLj3EEjjjS8_jjjS8_jjjj.num_named_barrier, 0
	.set _ZL13mul_mat_vec_qIL9ggml_type2ELi1ELb1ELb1EEvPKvS2_PKi31ggml_cuda_mm_fusion_args_devicePfj15HIP_vector_typeIjLj3EEjjjS8_jjjS8_jjjj.private_seg_size, 0
	.set _ZL13mul_mat_vec_qIL9ggml_type2ELi1ELb1ELb1EEvPKvS2_PKi31ggml_cuda_mm_fusion_args_devicePfj15HIP_vector_typeIjLj3EEjjjS8_jjjS8_jjjj.uses_vcc, 1
	.set _ZL13mul_mat_vec_qIL9ggml_type2ELi1ELb1ELb1EEvPKvS2_PKi31ggml_cuda_mm_fusion_args_devicePfj15HIP_vector_typeIjLj3EEjjjS8_jjjS8_jjjj.uses_flat_scratch, 0
	.set _ZL13mul_mat_vec_qIL9ggml_type2ELi1ELb1ELb1EEvPKvS2_PKi31ggml_cuda_mm_fusion_args_devicePfj15HIP_vector_typeIjLj3EEjjjS8_jjjS8_jjjj.has_dyn_sized_stack, 0
	.set _ZL13mul_mat_vec_qIL9ggml_type2ELi1ELb1ELb1EEvPKvS2_PKi31ggml_cuda_mm_fusion_args_devicePfj15HIP_vector_typeIjLj3EEjjjS8_jjjS8_jjjj.has_recursion, 0
	.set _ZL13mul_mat_vec_qIL9ggml_type2ELi1ELb1ELb1EEvPKvS2_PKi31ggml_cuda_mm_fusion_args_devicePfj15HIP_vector_typeIjLj3EEjjjS8_jjjS8_jjjj.has_indirect_call, 0
	.section	.AMDGPU.csdata,"",@progbits
; Kernel info:
; codeLenInByte = 2152
; TotalNumSgprs: 42
; NumVgprs: 26
; ScratchSize: 0
; MemoryBound: 0
; FloatMode: 240
; IeeeMode: 1
; LDSByteSize: 0 bytes/workgroup (compile time only)
; SGPRBlocks: 0
; VGPRBlocks: 3
; NumSGPRsForWavesPerEU: 42
; NumVGPRsForWavesPerEU: 26
; Occupancy: 16
; WaveLimiterHint : 0
; COMPUTE_PGM_RSRC2:SCRATCH_EN: 0
; COMPUTE_PGM_RSRC2:USER_SGPR: 6
; COMPUTE_PGM_RSRC2:TRAP_HANDLER: 0
; COMPUTE_PGM_RSRC2:TGID_X_EN: 1
; COMPUTE_PGM_RSRC2:TGID_Y_EN: 1
; COMPUTE_PGM_RSRC2:TGID_Z_EN: 1
; COMPUTE_PGM_RSRC2:TIDIG_COMP_CNT: 1
	.section	.text._ZL13mul_mat_vec_qIL9ggml_type2ELi1ELb0ELb1EEvPKvS2_PKi31ggml_cuda_mm_fusion_args_devicePfj15HIP_vector_typeIjLj3EEjjjS8_jjjS8_jjjj,"axG",@progbits,_ZL13mul_mat_vec_qIL9ggml_type2ELi1ELb0ELb1EEvPKvS2_PKi31ggml_cuda_mm_fusion_args_devicePfj15HIP_vector_typeIjLj3EEjjjS8_jjjS8_jjjj,comdat
	.globl	_ZL13mul_mat_vec_qIL9ggml_type2ELi1ELb0ELb1EEvPKvS2_PKi31ggml_cuda_mm_fusion_args_devicePfj15HIP_vector_typeIjLj3EEjjjS8_jjjS8_jjjj ; -- Begin function _ZL13mul_mat_vec_qIL9ggml_type2ELi1ELb0ELb1EEvPKvS2_PKi31ggml_cuda_mm_fusion_args_devicePfj15HIP_vector_typeIjLj3EEjjjS8_jjjS8_jjjj
	.p2align	8
	.type	_ZL13mul_mat_vec_qIL9ggml_type2ELi1ELb0ELb1EEvPKvS2_PKi31ggml_cuda_mm_fusion_args_devicePfj15HIP_vector_typeIjLj3EEjjjS8_jjjS8_jjjj,@function
_ZL13mul_mat_vec_qIL9ggml_type2ELi1ELb0ELb1EEvPKvS2_PKi31ggml_cuda_mm_fusion_args_devicePfj15HIP_vector_typeIjLj3EEjjjS8_jjjS8_jjjj: ; @_ZL13mul_mat_vec_qIL9ggml_type2ELi1ELb0ELb1EEvPKvS2_PKi31ggml_cuda_mm_fusion_args_devicePfj15HIP_vector_typeIjLj3EEjjjS8_jjjS8_jjjj
; %bb.0:
	s_clause 0x1
	s_load_dwordx2 s[0:1], s[4:5], 0x10
	s_load_dwordx4 s[16:19], s[4:5], 0x40
	s_mov_b32 s10, s7
	s_waitcnt lgkmcnt(0)
	s_cmp_lg_u64 s[0:1], 0
	s_cselect_b32 s7, -1, 0
	s_cmp_eq_u64 s[0:1], 0
	s_cbranch_scc1 .LBB14_5
; %bb.1:
	s_mov_b32 s11, 0
	s_lshl_b64 s[2:3], s[10:11], 2
	s_add_u32 s0, s0, s2
	s_addc_u32 s1, s1, s3
	s_load_dword s20, s[0:1], 0x0
	s_clause 0x1
	s_load_dwordx4 s[0:3], s[4:5], 0x68
	s_load_dword s21, s[4:5], 0x50
	s_cbranch_execnz .LBB14_3
.LBB14_2:
	s_load_dwordx2 s[12:13], s[4:5], 0x5c
	s_waitcnt lgkmcnt(0)
	s_mul_hi_u32 s9, s12, s10
	s_add_i32 s9, s10, s9
	s_lshr_b32 s20, s9, s13
.LBB14_3:
	s_load_dword s11, s[4:5], 0x78
	s_andn2_b32 vcc_lo, exec_lo, s7
	s_cbranch_vccnz .LBB14_6
; %bb.4:
	s_mul_hi_u32 s7, s17, s10
	s_add_i32 s7, s10, s7
	s_lshr_b32 s7, s7, s18
	s_mul_i32 s7, s7, s19
	s_sub_i32 s22, s10, s7
	s_branch .LBB14_7
.LBB14_5:
                                        ; implicit-def: $sgpr20
	s_clause 0x1
	s_load_dwordx4 s[0:3], s[4:5], 0x68
	s_load_dword s21, s[4:5], 0x50
	s_branch .LBB14_2
.LBB14_6:
	s_mov_b32 s22, s10
.LBB14_7:
	s_load_dwordx4 s[12:15], s[4:5], 0x80
	v_lshl_or_b32 v2, v1, 5, v0
	v_mov_b32_e32 v4, 0
	s_lshr_b32 s9, s16, 5
	s_mov_b32 s7, exec_lo
	v_lshrrev_b16 v3, 1, v2
	v_and_b32_e32 v5, 0xffff, v3
	v_cmpx_gt_u32_e64 s9, v5
	s_cbranch_execz .LBB14_11
; %bb.8:
	s_load_dwordx4 s[16:19], s[4:5], 0x0
	s_waitcnt lgkmcnt(0)
	s_mul_hi_u32 s3, s3, s8
	s_mul_i32 s21, s21, s6
	s_add_i32 s3, s8, s3
	s_mul_i32 s13, s13, s8
	s_lshr_b32 s3, s3, s11
	s_mul_i32 s0, s20, s0
	s_mul_i32 s3, s3, s12
	v_lshlrev_b32_e32 v3, 2, v0
	s_add_i32 s3, s3, s21
	s_mul_i32 s11, s22, s1
	s_add_i32 s1, s0, s3
	s_mul_i32 s3, s13, 36
	s_mul_hi_u32 s12, s13, 36
	v_lshrrev_b32_e32 v2, 1, v2
	s_mul_hi_u32 s0, s11, 36
	s_mul_i32 s11, s11, 36
	v_and_b32_e32 v7, 4, v3
	v_and_b32_e32 v6, 1, v0
	v_mov_b32_e32 v4, 0
	s_add_u32 s3, s18, s3
	s_addc_u32 s13, s19, s12
	s_add_u32 s12, s3, s11
	s_addc_u32 s13, s13, s0
	v_lshlrev_b32_e32 v6, 3, v6
	v_mad_u64_u32 v[2:3], null, v2, 36, s[12:13]
	v_lshlrev_b32_e32 v7, 1, v7
	s_mov_b32 s3, 0
.LBB14_9:                               ; =>This Inner Loop Header: Depth=1
	v_add_nc_u32_e32 v8, s1, v5
	v_add_co_u32 v10, vcc_lo, v2, v6
	v_add_co_ci_u32_e64 v11, null, 0, v3, vcc_lo
	v_mad_i64_i32 v[8:9], null, v8, 18, s[16:17]
	v_add_nc_u32_e32 v5, 16, v5
	v_cmp_le_u32_e32 vcc_lo, s9, v5
	v_add_co_u32 v12, s0, v8, v7
	v_add_co_ci_u32_e64 v13, null, 0, v9, s0
	s_or_b32 s3, vcc_lo, s3
	global_load_dwordx2 v[12:13], v[12:13], off offset:2
	s_clause 0x2
	global_load_dwordx2 v[14:15], v[10:11], off offset:4
	global_load_dwordx2 v[10:11], v[10:11], off offset:20
	global_load_dword v16, v[2:3], off
	global_load_ushort v8, v[8:9], off
	v_mov_b32_e32 v9, 0
	v_add_co_u32 v2, s0, 0x240, v2
	v_add_co_ci_u32_e64 v3, null, 0, v3, s0
	s_waitcnt vmcnt(4)
	v_lshrrev_b32_e32 v17, 4, v12
	v_and_b32_e32 v12, 0xf0f0f0f, v12
	v_and_b32_e32 v17, 0xf0f0f0f, v17
	s_waitcnt vmcnt(3)
	v_dot4c_i32_i8 v9, v12, v14
	v_and_b32_e32 v12, 0xf0f0f0f, v13
	v_lshrrev_b32_e32 v13, 4, v13
	s_waitcnt vmcnt(2)
	v_dot4c_i32_i8 v9, v17, v10
	v_and_b32_e32 v10, 0xf0f0f0f, v13
	v_dot4c_i32_i8 v9, v12, v15
	s_waitcnt vmcnt(1)
	v_cvt_f32_f16_sdwa v12, v16 dst_sel:DWORD dst_unused:UNUSED_PAD src0_sel:WORD_1
	v_dot4c_i32_i8 v9, v10, v11
	v_mul_f32_e32 v10, -4.0, v12
	v_cvt_f32_i32_e32 v9, v9
	v_fma_mix_f32 v9, v9, v16, v10 op_sel_hi:[0,1,0]
	s_waitcnt vmcnt(0)
	v_fma_mix_f32 v4, v9, v8, v4 op_sel_hi:[0,1,0]
	s_andn2_b32 exec_lo, exec_lo, s3
	s_cbranch_execnz .LBB14_9
; %bb.10:
	s_or_b32 exec_lo, exec_lo, s3
.LBB14_11:
	s_or_b32 exec_lo, exec_lo, s7
	s_waitcnt lgkmcnt(0)
	; wave barrier
	buffer_gl0_inv
	s_mov_b32 s0, exec_lo
	v_cmpx_eq_u32_e32 0, v1
	s_cbranch_execz .LBB14_14
; %bb.12:
	v_mbcnt_lo_u32_b32 v1, -1, 0
	v_xor_b32_e32 v2, 16, v1
	v_xor_b32_e32 v3, 8, v1
	v_cmp_gt_i32_e32 vcc_lo, 32, v2
	v_cndmask_b32_e32 v2, v1, v2, vcc_lo
	v_cmp_gt_i32_e32 vcc_lo, 32, v3
	v_lshlrev_b32_e32 v2, 2, v2
	v_cndmask_b32_e32 v3, v1, v3, vcc_lo
	ds_bpermute_b32 v2, v2, v4
	v_lshlrev_b32_e32 v3, 2, v3
	s_waitcnt lgkmcnt(0)
	v_add_f32_e32 v2, v4, v2
	v_xor_b32_e32 v4, 4, v1
	ds_bpermute_b32 v3, v3, v2
	v_cmp_gt_i32_e32 vcc_lo, 32, v4
	v_cndmask_b32_e32 v4, v1, v4, vcc_lo
	v_lshlrev_b32_e32 v4, 2, v4
	s_waitcnt lgkmcnt(0)
	v_add_f32_e32 v2, v2, v3
	ds_bpermute_b32 v3, v4, v2
	v_xor_b32_e32 v4, 2, v1
	v_cmp_gt_i32_e32 vcc_lo, 32, v4
	v_cndmask_b32_e32 v4, v1, v4, vcc_lo
	v_lshlrev_b32_e32 v4, 2, v4
	s_waitcnt lgkmcnt(0)
	v_add_f32_e32 v2, v2, v3
	ds_bpermute_b32 v3, v4, v2
	v_xor_b32_e32 v4, 1, v1
	v_cmp_gt_i32_e32 vcc_lo, 32, v4
	v_cndmask_b32_e32 v1, v1, v4, vcc_lo
	v_cmp_eq_u32_e32 vcc_lo, 0, v0
	v_lshlrev_b32_e32 v4, 2, v1
	s_waitcnt lgkmcnt(0)
	v_add_f32_e32 v1, v2, v3
	ds_bpermute_b32 v2, v4, v1
	s_and_b32 exec_lo, exec_lo, vcc_lo
	s_cbranch_execz .LBB14_14
; %bb.13:
	s_load_dwordx2 s[0:1], s[4:5], 0x38
	s_mul_i32 s2, s2, s10
	s_mul_i32 s3, s14, s8
	s_add_i32 s2, s2, s6
	s_waitcnt lgkmcnt(0)
	v_add_f32_e32 v0, v1, v2
	s_add_i32 s2, s2, s3
	s_mov_b32 s3, 0
	v_mov_b32_e32 v1, 0
	s_lshl_b64 s[2:3], s[2:3], 2
	s_add_u32 s0, s0, s2
	s_addc_u32 s1, s1, s3
	global_store_dword v1, v0, s[0:1]
.LBB14_14:
	s_endpgm
	.section	.rodata,"a",@progbits
	.p2align	6, 0x0
	.amdhsa_kernel _ZL13mul_mat_vec_qIL9ggml_type2ELi1ELb0ELb1EEvPKvS2_PKi31ggml_cuda_mm_fusion_args_devicePfj15HIP_vector_typeIjLj3EEjjjS8_jjjS8_jjjj
		.amdhsa_group_segment_fixed_size 0
		.amdhsa_private_segment_fixed_size 0
		.amdhsa_kernarg_size 144
		.amdhsa_user_sgpr_count 6
		.amdhsa_user_sgpr_private_segment_buffer 1
		.amdhsa_user_sgpr_dispatch_ptr 0
		.amdhsa_user_sgpr_queue_ptr 0
		.amdhsa_user_sgpr_kernarg_segment_ptr 1
		.amdhsa_user_sgpr_dispatch_id 0
		.amdhsa_user_sgpr_flat_scratch_init 0
		.amdhsa_user_sgpr_private_segment_size 0
		.amdhsa_wavefront_size32 1
		.amdhsa_uses_dynamic_stack 0
		.amdhsa_system_sgpr_private_segment_wavefront_offset 0
		.amdhsa_system_sgpr_workgroup_id_x 1
		.amdhsa_system_sgpr_workgroup_id_y 1
		.amdhsa_system_sgpr_workgroup_id_z 1
		.amdhsa_system_sgpr_workgroup_info 0
		.amdhsa_system_vgpr_workitem_id 1
		.amdhsa_next_free_vgpr 18
		.amdhsa_next_free_sgpr 23
		.amdhsa_reserve_vcc 1
		.amdhsa_reserve_flat_scratch 0
		.amdhsa_float_round_mode_32 0
		.amdhsa_float_round_mode_16_64 0
		.amdhsa_float_denorm_mode_32 3
		.amdhsa_float_denorm_mode_16_64 3
		.amdhsa_dx10_clamp 1
		.amdhsa_ieee_mode 1
		.amdhsa_fp16_overflow 0
		.amdhsa_workgroup_processor_mode 1
		.amdhsa_memory_ordered 1
		.amdhsa_forward_progress 1
		.amdhsa_shared_vgpr_count 0
		.amdhsa_exception_fp_ieee_invalid_op 0
		.amdhsa_exception_fp_denorm_src 0
		.amdhsa_exception_fp_ieee_div_zero 0
		.amdhsa_exception_fp_ieee_overflow 0
		.amdhsa_exception_fp_ieee_underflow 0
		.amdhsa_exception_fp_ieee_inexact 0
		.amdhsa_exception_int_div_zero 0
	.end_amdhsa_kernel
	.section	.text._ZL13mul_mat_vec_qIL9ggml_type2ELi1ELb0ELb1EEvPKvS2_PKi31ggml_cuda_mm_fusion_args_devicePfj15HIP_vector_typeIjLj3EEjjjS8_jjjS8_jjjj,"axG",@progbits,_ZL13mul_mat_vec_qIL9ggml_type2ELi1ELb0ELb1EEvPKvS2_PKi31ggml_cuda_mm_fusion_args_devicePfj15HIP_vector_typeIjLj3EEjjjS8_jjjS8_jjjj,comdat
.Lfunc_end14:
	.size	_ZL13mul_mat_vec_qIL9ggml_type2ELi1ELb0ELb1EEvPKvS2_PKi31ggml_cuda_mm_fusion_args_devicePfj15HIP_vector_typeIjLj3EEjjjS8_jjjS8_jjjj, .Lfunc_end14-_ZL13mul_mat_vec_qIL9ggml_type2ELi1ELb0ELb1EEvPKvS2_PKi31ggml_cuda_mm_fusion_args_devicePfj15HIP_vector_typeIjLj3EEjjjS8_jjjS8_jjjj
                                        ; -- End function
	.set _ZL13mul_mat_vec_qIL9ggml_type2ELi1ELb0ELb1EEvPKvS2_PKi31ggml_cuda_mm_fusion_args_devicePfj15HIP_vector_typeIjLj3EEjjjS8_jjjS8_jjjj.num_vgpr, 18
	.set _ZL13mul_mat_vec_qIL9ggml_type2ELi1ELb0ELb1EEvPKvS2_PKi31ggml_cuda_mm_fusion_args_devicePfj15HIP_vector_typeIjLj3EEjjjS8_jjjS8_jjjj.num_agpr, 0
	.set _ZL13mul_mat_vec_qIL9ggml_type2ELi1ELb0ELb1EEvPKvS2_PKi31ggml_cuda_mm_fusion_args_devicePfj15HIP_vector_typeIjLj3EEjjjS8_jjjS8_jjjj.numbered_sgpr, 23
	.set _ZL13mul_mat_vec_qIL9ggml_type2ELi1ELb0ELb1EEvPKvS2_PKi31ggml_cuda_mm_fusion_args_devicePfj15HIP_vector_typeIjLj3EEjjjS8_jjjS8_jjjj.num_named_barrier, 0
	.set _ZL13mul_mat_vec_qIL9ggml_type2ELi1ELb0ELb1EEvPKvS2_PKi31ggml_cuda_mm_fusion_args_devicePfj15HIP_vector_typeIjLj3EEjjjS8_jjjS8_jjjj.private_seg_size, 0
	.set _ZL13mul_mat_vec_qIL9ggml_type2ELi1ELb0ELb1EEvPKvS2_PKi31ggml_cuda_mm_fusion_args_devicePfj15HIP_vector_typeIjLj3EEjjjS8_jjjS8_jjjj.uses_vcc, 1
	.set _ZL13mul_mat_vec_qIL9ggml_type2ELi1ELb0ELb1EEvPKvS2_PKi31ggml_cuda_mm_fusion_args_devicePfj15HIP_vector_typeIjLj3EEjjjS8_jjjS8_jjjj.uses_flat_scratch, 0
	.set _ZL13mul_mat_vec_qIL9ggml_type2ELi1ELb0ELb1EEvPKvS2_PKi31ggml_cuda_mm_fusion_args_devicePfj15HIP_vector_typeIjLj3EEjjjS8_jjjS8_jjjj.has_dyn_sized_stack, 0
	.set _ZL13mul_mat_vec_qIL9ggml_type2ELi1ELb0ELb1EEvPKvS2_PKi31ggml_cuda_mm_fusion_args_devicePfj15HIP_vector_typeIjLj3EEjjjS8_jjjS8_jjjj.has_recursion, 0
	.set _ZL13mul_mat_vec_qIL9ggml_type2ELi1ELb0ELb1EEvPKvS2_PKi31ggml_cuda_mm_fusion_args_devicePfj15HIP_vector_typeIjLj3EEjjjS8_jjjS8_jjjj.has_indirect_call, 0
	.section	.AMDGPU.csdata,"",@progbits
; Kernel info:
; codeLenInByte = 872
; TotalNumSgprs: 25
; NumVgprs: 18
; ScratchSize: 0
; MemoryBound: 0
; FloatMode: 240
; IeeeMode: 1
; LDSByteSize: 0 bytes/workgroup (compile time only)
; SGPRBlocks: 0
; VGPRBlocks: 2
; NumSGPRsForWavesPerEU: 25
; NumVGPRsForWavesPerEU: 18
; Occupancy: 16
; WaveLimiterHint : 0
; COMPUTE_PGM_RSRC2:SCRATCH_EN: 0
; COMPUTE_PGM_RSRC2:USER_SGPR: 6
; COMPUTE_PGM_RSRC2:TRAP_HANDLER: 0
; COMPUTE_PGM_RSRC2:TGID_X_EN: 1
; COMPUTE_PGM_RSRC2:TGID_Y_EN: 1
; COMPUTE_PGM_RSRC2:TGID_Z_EN: 1
; COMPUTE_PGM_RSRC2:TIDIG_COMP_CNT: 1
	.section	.text._ZL13mul_mat_vec_qIL9ggml_type2ELi1ELb1ELb0EEvPKvS2_PKi31ggml_cuda_mm_fusion_args_devicePfj15HIP_vector_typeIjLj3EEjjjS8_jjjS8_jjjj,"axG",@progbits,_ZL13mul_mat_vec_qIL9ggml_type2ELi1ELb1ELb0EEvPKvS2_PKi31ggml_cuda_mm_fusion_args_devicePfj15HIP_vector_typeIjLj3EEjjjS8_jjjS8_jjjj,comdat
	.globl	_ZL13mul_mat_vec_qIL9ggml_type2ELi1ELb1ELb0EEvPKvS2_PKi31ggml_cuda_mm_fusion_args_devicePfj15HIP_vector_typeIjLj3EEjjjS8_jjjS8_jjjj ; -- Begin function _ZL13mul_mat_vec_qIL9ggml_type2ELi1ELb1ELb0EEvPKvS2_PKi31ggml_cuda_mm_fusion_args_devicePfj15HIP_vector_typeIjLj3EEjjjS8_jjjS8_jjjj
	.p2align	8
	.type	_ZL13mul_mat_vec_qIL9ggml_type2ELi1ELb1ELb0EEvPKvS2_PKi31ggml_cuda_mm_fusion_args_devicePfj15HIP_vector_typeIjLj3EEjjjS8_jjjS8_jjjj,@function
_ZL13mul_mat_vec_qIL9ggml_type2ELi1ELb1ELb0EEvPKvS2_PKi31ggml_cuda_mm_fusion_args_devicePfj15HIP_vector_typeIjLj3EEjjjS8_jjjS8_jjjj: ; @_ZL13mul_mat_vec_qIL9ggml_type2ELi1ELb1ELb0EEvPKvS2_PKi31ggml_cuda_mm_fusion_args_devicePfj15HIP_vector_typeIjLj3EEjjjS8_jjjS8_jjjj
; %bb.0:
	s_clause 0x3
	s_load_dwordx8 s[12:19], s[4:5], 0x0
	s_load_dwordx4 s[28:31], s[4:5], 0x20
	s_load_dwordx4 s[36:39], s[4:5], 0x40
	s_load_dwordx4 s[20:23], s[4:5], 0x68
	s_mov_b32 s10, s7
	s_waitcnt lgkmcnt(0)
	s_cmp_lg_u64 s[16:17], 0
	s_cselect_b32 s0, -1, 0
	s_cmp_eq_u64 s[16:17], 0
	s_cbranch_scc1 .LBB15_5
; %bb.1:
	s_mov_b32 s11, 0
	s_lshl_b64 s[2:3], s[10:11], 2
	s_add_u32 s2, s16, s2
	s_addc_u32 s3, s17, s3
	s_load_dword s33, s[2:3], 0x0
	s_clause 0x1
	s_load_dword s34, s[4:5], 0x50
	s_load_dword s35, s[4:5], 0x78
	s_cbranch_execnz .LBB15_3
.LBB15_2:
	s_load_dwordx2 s[2:3], s[4:5], 0x5c
	s_waitcnt lgkmcnt(0)
	s_mul_hi_u32 s1, s2, s10
	s_add_i32 s1, s10, s1
	s_lshr_b32 s33, s1, s3
.LBB15_3:
	s_andn2_b32 vcc_lo, exec_lo, s0
	s_cbranch_vccnz .LBB15_6
; %bb.4:
	s_mul_hi_u32 s0, s37, s10
	s_waitcnt lgkmcnt(0)
	s_mov_b32 s1, s33
	s_add_i32 s0, s10, s0
	s_lshr_b32 s0, s0, s38
	s_mul_i32 s0, s0, s39
	s_sub_i32 s11, s10, s0
	s_branch .LBB15_7
.LBB15_5:
                                        ; implicit-def: $sgpr33
	s_clause 0x1
	s_load_dword s34, s[4:5], 0x50
	s_load_dword s35, s[4:5], 0x78
	s_branch .LBB15_2
.LBB15_6:
	s_mov_b32 s1, s10
	s_mov_b32 s11, s10
.LBB15_7:
	s_load_dwordx4 s[24:27], s[4:5], 0x80
	v_or_b32_e32 v2, v0, v1
	s_cmp_lg_u64 s[18:19], 0
	v_mov_b32_e32 v10, 0
	v_mov_b32_e32 v11, 0
	s_cselect_b32 s0, -1, 0
	v_cmp_eq_u32_e32 vcc_lo, 0, v2
	s_mov_b32 s17, 0
	s_mul_i32 s2, s1, s22
	s_and_b32 s3, s0, vcc_lo
	s_and_saveexec_b32 s1, s3
	s_cbranch_execz .LBB15_9
; %bb.8:
	s_waitcnt lgkmcnt(0)
	s_mul_i32 s16, s26, s8
	s_mov_b32 s3, s17
	s_lshl_b64 s[38:39], s[16:17], 2
	v_lshlrev_b32_e32 v2, 2, v0
	s_add_u32 s7, s18, s38
	s_addc_u32 s9, s19, s39
	s_lshl_b64 s[16:17], s[2:3], 2
	s_add_u32 s3, s7, s16
	s_addc_u32 s9, s9, s17
	s_ashr_i32 s7, s6, 31
	s_lshl_b64 s[16:17], s[6:7], 2
	s_add_u32 s16, s3, s16
	s_addc_u32 s17, s9, s17
	global_load_dword v11, v2, s[16:17]
.LBB15_9:
	s_or_b32 exec_lo, exec_lo, s1
	s_cmp_lg_u64 s[28:29], 0
	s_cselect_b32 s9, -1, 0
	s_cmp_lg_u64 s[30:31], 0
	s_cselect_b32 s1, -1, 0
	s_and_b32 s3, s1, s9
	s_and_b32 s3, s3, vcc_lo
	s_and_saveexec_b32 s16, s3
	s_cbranch_execz .LBB15_11
; %bb.10:
	s_waitcnt lgkmcnt(0)
	s_mul_i32 s18, s26, s8
	s_mov_b32 s19, 0
	v_lshlrev_b32_e32 v2, 2, v0
	s_lshl_b64 s[38:39], s[18:19], 2
	s_mov_b32 s3, s19
	s_add_u32 s7, s30, s38
	s_addc_u32 s17, s31, s39
	s_lshl_b64 s[2:3], s[2:3], 2
	s_add_u32 s18, s7, s2
	s_addc_u32 s17, s17, s3
	s_ashr_i32 s7, s6, 31
	s_lshl_b64 s[2:3], s[6:7], 2
	s_add_u32 s2, s18, s2
	s_addc_u32 s3, s17, s3
	global_load_dword v10, v2, s[2:3]
.LBB15_11:
	s_or_b32 exec_lo, exec_lo, s16
	v_lshl_or_b32 v2, v1, 5, v0
	v_mov_b32_e32 v14, 0
	v_cndmask_b32_e64 v12, 0, 1, s9
	v_mov_b32_e32 v13, 0
	s_lshr_b32 s3, s36, 5
	v_lshrrev_b16 v3, 1, v2
	s_mov_b32 s7, exec_lo
	v_and_b32_e32 v15, 0xffff, v3
	v_cmpx_gt_u32_e64 s3, v15
	s_cbranch_execz .LBB15_17
; %bb.12:
	s_mul_hi_u32 s2, s23, s8
	s_waitcnt lgkmcnt(0)
	s_mul_i32 s34, s34, s6
	s_add_i32 s2, s8, s2
	s_mul_i32 s16, s25, s8
	s_lshr_b32 s2, s2, s35
	s_mul_i32 s17, s33, s20
	s_mul_i32 s2, s2, s24
	v_lshlrev_b32_e32 v3, 2, v0
	s_add_i32 s2, s2, s34
	s_mul_i32 s18, s11, s21
	s_add_i32 s11, s17, s2
	s_mul_i32 s17, s16, 36
	s_mul_hi_u32 s16, s16, 36
	v_lshrrev_b32_e32 v2, 1, v2
	s_mul_hi_u32 s2, s18, 36
	s_mul_i32 s18, s18, 36
	s_add_u32 s14, s14, s17
	s_addc_u32 s15, s15, s16
	s_add_u32 s14, s14, s18
	v_and_b32_e32 v4, 4, v3
	v_and_b32_e32 v5, 1, v0
	s_addc_u32 s15, s15, s2
	v_mov_b32_e32 v14, 0
	v_mad_u64_u32 v[2:3], null, v2, 36, s[14:15]
	v_lshlrev_b32_e32 v16, 3, v5
	v_lshlrev_b32_e32 v17, 1, v4
	v_mov_b32_e32 v13, 0
	s_mov_b32 s14, 0
	s_branch .LBB15_14
.LBB15_13:                              ;   in Loop: Header=BB15_14 Depth=1
	s_waitcnt vmcnt(1)
	v_and_b32_e32 v21, 0xf0f0f0f, v8
	v_lshrrev_b32_e32 v8, 4, v8
	v_mov_b32_e32 v22, 0
	v_add_nc_u32_e32 v15, 16, v15
	v_add_co_u32 v2, s2, 0x240, v2
	v_and_b32_e32 v8, 0xf0f0f0f, v8
	v_dot4c_i32_i8 v22, v21, v6
	v_and_b32_e32 v6, 0xf0f0f0f, v9
	v_lshrrev_b32_e32 v9, 4, v9
	v_cmp_le_u32_e32 vcc_lo, s3, v15
	v_add_co_ci_u32_e64 v3, null, 0, v3, s2
	v_dot4c_i32_i8 v22, v8, v4
	v_and_b32_e32 v4, 0xf0f0f0f, v9
	s_or_b32 s14, vcc_lo, s14
	v_dot4c_i32_i8 v22, v6, v7
	v_dot4c_i32_i8 v22, v4, v5
	v_cvt_f32_i32_e32 v4, v22
	v_fma_f32 v4, v4, v19, -v20
	s_waitcnt vmcnt(0)
	v_fma_mix_f32 v14, v4, v18, v14 op_sel_hi:[0,1,0]
	s_andn2_b32 exec_lo, exec_lo, s14
	s_cbranch_execz .LBB15_16
.LBB15_14:                              ; =>This Inner Loop Header: Depth=1
	v_add_nc_u32_e32 v21, s11, v15
	global_load_dword v20, v[2:3], off
	v_add_co_u32 v4, vcc_lo, v2, v16
	v_add_co_ci_u32_e64 v5, null, 0, v3, vcc_lo
	v_mad_i64_i32 v[18:19], null, v21, 18, s[12:13]
	v_add_co_u32 v8, vcc_lo, v18, v17
	v_add_co_ci_u32_e64 v9, null, 0, v19, vcc_lo
	s_clause 0x1
	global_load_dwordx2 v[6:7], v[4:5], off offset:4
	global_load_dwordx2 v[4:5], v[4:5], off offset:20
	s_clause 0x1
	global_load_dwordx2 v[8:9], v[8:9], off offset:2
	global_load_ushort v18, v[18:19], off
	s_andn2_b32 vcc_lo, exec_lo, s9
	s_waitcnt vmcnt(4)
	v_cvt_f32_f16_sdwa v22, v20 dst_sel:DWORD dst_unused:UNUSED_PAD src0_sel:WORD_1
	v_cvt_f32_f16_e32 v19, v20
	v_mul_f32_e32 v20, 4.0, v22
	s_cbranch_vccnz .LBB15_13
; %bb.15:                               ;   in Loop: Header=BB15_14 Depth=1
	v_mad_i64_i32 v[21:22], null, v21, 18, s[28:29]
	v_add_co_u32 v23, vcc_lo, v21, v17
	v_add_co_ci_u32_e64 v24, null, 0, v22, vcc_lo
	s_clause 0x1
	global_load_dwordx2 v[23:24], v[23:24], off offset:2
	global_load_ushort v21, v[21:22], off
	v_mov_b32_e32 v22, 0
	s_waitcnt vmcnt(1)
	v_lshrrev_b32_e32 v25, 4, v23
	v_and_b32_e32 v23, 0xf0f0f0f, v23
	v_and_b32_e32 v25, 0xf0f0f0f, v25
	v_dot4c_i32_i8 v22, v23, v6
	v_lshrrev_b32_e32 v23, 4, v24
	v_and_b32_e32 v24, 0xf0f0f0f, v24
	v_dot4c_i32_i8 v22, v25, v4
	v_and_b32_e32 v23, 0xf0f0f0f, v23
	v_dot4c_i32_i8 v22, v24, v7
	v_dot4c_i32_i8 v22, v23, v5
	v_cvt_f32_i32_e32 v22, v22
	v_fma_f32 v22, v19, v22, -v20
	s_waitcnt vmcnt(0)
	v_fma_mix_f32 v13, v22, v21, v13 op_sel_hi:[0,1,0]
	s_branch .LBB15_13
.LBB15_16:
	s_or_b32 exec_lo, exec_lo, s14
.LBB15_17:
	s_or_b32 exec_lo, exec_lo, s7
	s_load_dword s2, s[4:5], 0x30
	s_waitcnt vmcnt(0) lgkmcnt(0)
	; wave barrier
	buffer_gl0_inv
	s_mov_b32 s3, exec_lo
	v_cmpx_eq_u32_e32 0, v1
	s_cbranch_execz .LBB15_44
; %bb.18:
	v_mbcnt_lo_u32_b32 v2, -1, 0
	v_xor_b32_e32 v1, 16, v2
	v_xor_b32_e32 v4, 8, v2
	;; [unrolled: 1-line block ×3, first 2 shown]
	v_cmp_gt_i32_e32 vcc_lo, 32, v1
	v_cndmask_b32_e32 v1, v2, v1, vcc_lo
	v_cmp_gt_i32_e32 vcc_lo, 32, v4
	v_lshlrev_b32_e32 v1, 2, v1
	v_cndmask_b32_e32 v4, v2, v4, vcc_lo
	v_cmp_gt_i32_e32 vcc_lo, 32, v5
	ds_bpermute_b32 v3, v1, v14
	v_lshlrev_b32_e32 v4, 2, v4
	v_cndmask_b32_e32 v5, v2, v5, vcc_lo
	v_lshlrev_b32_e32 v5, 2, v5
	s_waitcnt lgkmcnt(0)
	v_add_f32_e32 v3, v14, v3
	ds_bpermute_b32 v6, v4, v3
	s_waitcnt lgkmcnt(0)
	v_add_f32_e32 v3, v3, v6
	v_xor_b32_e32 v6, 2, v2
	ds_bpermute_b32 v7, v5, v3
	v_cmp_gt_i32_e32 vcc_lo, 32, v6
	v_cndmask_b32_e32 v6, v2, v6, vcc_lo
	v_lshlrev_b32_e32 v6, 2, v6
	s_waitcnt lgkmcnt(0)
	v_add_f32_e32 v3, v3, v7
	v_xor_b32_e32 v7, 1, v2
	ds_bpermute_b32 v8, v6, v3
	v_cmp_gt_i32_e32 vcc_lo, 32, v7
	v_cndmask_b32_e32 v2, v2, v7, vcc_lo
	v_cmp_ne_u32_e32 vcc_lo, 1, v12
	v_lshlrev_b32_e32 v7, 2, v2
	s_waitcnt lgkmcnt(0)
	v_add_f32_e32 v2, v3, v8
	ds_bpermute_b32 v3, v7, v2
	s_cbranch_vccnz .LBB15_20
; %bb.19:
	ds_bpermute_b32 v1, v1, v13
	s_waitcnt lgkmcnt(0)
	v_add_f32_e32 v1, v13, v1
	ds_bpermute_b32 v4, v4, v1
	s_waitcnt lgkmcnt(0)
	v_add_f32_e32 v1, v1, v4
	;; [unrolled: 3-line block ×5, first 2 shown]
.LBB15_20:
	v_cmp_eq_u32_e32 vcc_lo, 0, v0
	s_and_b32 exec_lo, exec_lo, vcc_lo
	s_cbranch_execz .LBB15_44
; %bb.21:
	s_waitcnt lgkmcnt(0)
	v_add_f32_e32 v1, v2, v3
	v_cmp_ne_u32_e32 vcc_lo, 1, v12
	v_add_f32_e32 v2, v11, v1
	v_cndmask_b32_e64 v1, v1, v2, s0
	s_cbranch_vccnz .LBB15_43
; %bb.22:
	v_add_f32_e32 v2, v10, v13
	s_cmp_lt_i32 s2, 2
	s_mov_b32 s0, 0
	v_cndmask_b32_e64 v2, v13, v2, s1
	s_cbranch_scc1 .LBB15_26
; %bb.23:
	s_cmp_gt_i32 s2, 2
	s_cbranch_scc0 .LBB15_27
; %bb.24:
	s_cmp_eq_u32 s2, 3
	s_cbranch_scc0 .LBB15_28
; %bb.25:
	v_max_f32_e32 v3, v2, v2
	s_mov_b32 s1, 0
	v_min_f32_e32 v3, 0x40e00000, v3
	v_mul_f32_e32 v4, 0xbfd9db23, v3
	v_mul_f32_e32 v5, 0x3fb8aa3b, v4
	v_cmp_ngt_f32_e32 vcc_lo, 0xc2ce8ed0, v4
	v_fma_f32 v6, 0x3fb8aa3b, v4, -v5
	v_rndne_f32_e32 v7, v5
	v_fmamk_f32 v6, v4, 0x32a5705f, v6
	v_sub_f32_e32 v5, v5, v7
	v_add_f32_e32 v5, v5, v6
	v_cvt_i32_f32_e32 v6, v7
	v_exp_f32_e32 v5, v5
	v_ldexp_f32 v5, v5, v6
	v_cndmask_b32_e32 v5, 0, v5, vcc_lo
	v_cmp_nlt_f32_e32 vcc_lo, 0x42b17218, v4
	v_cndmask_b32_e32 v4, 0x7f800000, v5, vcc_lo
	v_add_f32_e32 v4, 1.0, v4
	v_div_scale_f32 v5, null, v4, v4, v3
	v_div_scale_f32 v8, vcc_lo, v3, v4, v3
	v_rcp_f32_e32 v6, v5
	v_fma_f32 v7, -v5, v6, 1.0
	v_fmac_f32_e32 v6, v7, v6
	v_mul_f32_e32 v7, v8, v6
	v_fma_f32 v9, -v5, v7, v8
	v_fmac_f32_e32 v7, v9, v6
	v_max_f32_e32 v9, v1, v1
	v_fma_f32 v5, -v5, v7, v8
	v_min_f32_e32 v8, 0x40e00000, v9
	v_div_fmas_f32 v5, v5, v6, v7
	v_max_f32_e32 v6, 0xc0e00000, v8
	v_div_fixup_f32 v3, v5, v4, v3
	v_add_f32_e32 v4, 1.0, v6
	v_mul_f32_e32 v3, v4, v3
	s_branch .LBB15_29
.LBB15_26:
	s_mov_b32 s1, 0
                                        ; implicit-def: $vgpr3
	s_cbranch_execnz .LBB15_33
	s_branch .LBB15_34
.LBB15_27:
	s_mov_b32 s3, -1
	s_mov_b32 s1, 0
                                        ; implicit-def: $vgpr3
	s_branch .LBB15_30
.LBB15_28:
	s_mov_b32 s1, -1
                                        ; implicit-def: $vgpr3
.LBB15_29:
	s_mov_b32 s3, 0
.LBB15_30:
	s_and_b32 vcc_lo, exec_lo, s3
	s_cbranch_vccz .LBB15_32
; %bb.31:
	v_mul_f32_e32 v3, 0xbfb8aa3b, v2
	v_cmp_nlt_f32_e32 vcc_lo, 0x42ce8ed0, v2
	v_rndne_f32_e32 v4, v3
	v_fma_f32 v5, 0xbfb8aa3b, v2, -v3
	v_sub_f32_e32 v3, v3, v4
	v_fmamk_f32 v5, v2, 0xb2a5705f, v5
	v_cvt_i32_f32_e32 v4, v4
	v_add_f32_e32 v3, v3, v5
	v_exp_f32_e32 v3, v3
	v_ldexp_f32 v3, v3, v4
	v_cndmask_b32_e32 v3, 0, v3, vcc_lo
	v_cmp_ngt_f32_e32 vcc_lo, 0xc2b17218, v2
	v_cndmask_b32_e32 v3, 0x7f800000, v3, vcc_lo
	v_add_f32_e32 v3, 1.0, v3
	v_div_scale_f32 v4, null, v3, v3, v2
	v_rcp_f32_e32 v5, v4
	v_fma_f32 v6, -v4, v5, 1.0
	v_fmac_f32_e32 v5, v6, v5
	v_div_scale_f32 v6, vcc_lo, v2, v3, v2
	v_mul_f32_e32 v7, v6, v5
	v_fma_f32 v8, -v4, v7, v6
	v_fmac_f32_e32 v7, v8, v5
	v_fma_f32 v4, -v4, v7, v6
	v_div_fmas_f32 v4, v4, v5, v7
	v_div_fixup_f32 v3, v4, v3, v2
	v_mul_f32_e32 v3, v1, v3
.LBB15_32:
	s_branch .LBB15_34
.LBB15_33:
	s_cmp_lg_u32 s2, 1
	s_mov_b32 s0, -1
	s_cselect_b32 s1, -1, 0
.LBB15_34:
	s_andn2_b32 vcc_lo, exec_lo, s1
	s_cbranch_vccz .LBB15_36
; %bb.35:
	s_andn2_b32 vcc_lo, exec_lo, s0
	s_cbranch_vccz .LBB15_37
	s_branch .LBB15_42
.LBB15_36:
	v_mul_f32_e32 v3, v2, v1
	s_cbranch_execnz .LBB15_42
.LBB15_37:
	v_mul_f32_e32 v3, 0x3d372713, v2
	v_mul_f32_e32 v4, 0x3f4c422a, v2
	v_fma_f32 v3, v2, v3, 1.0
	v_mul_f32_e32 v3, v4, v3
                                        ; implicit-def: $vgpr4
	v_cmp_ngt_f32_e64 s0, 0x3f200000, |v3|
	s_and_saveexec_b32 s1, s0
	s_xor_b32 s0, exec_lo, s1
	s_cbranch_execz .LBB15_39
; %bb.38:
	v_add_f32_e64 v4, |v3|, |v3|
	v_mul_f32_e32 v5, 0x3fb8aa3b, v4
	v_cmp_ngt_f32_e32 vcc_lo, 0xc2ce8ed0, v4
	v_rndne_f32_e32 v6, v5
	v_fma_f32 v7, 0x3fb8aa3b, v4, -v5
	v_sub_f32_e32 v5, v5, v6
	v_fmamk_f32 v7, v4, 0x32a5705f, v7
	v_cvt_i32_f32_e32 v6, v6
	v_add_f32_e32 v5, v5, v7
	v_exp_f32_e32 v5, v5
	v_ldexp_f32 v5, v5, v6
	v_cndmask_b32_e32 v5, 0, v5, vcc_lo
	v_cmp_nlt_f32_e32 vcc_lo, 0x42b17218, v4
	v_cndmask_b32_e32 v4, 0x7f800000, v5, vcc_lo
	v_add_f32_e32 v4, 1.0, v4
	v_rcp_f32_e32 v4, v4
	v_fma_f32 v4, v4, -2.0, 1.0
.LBB15_39:
	s_andn2_saveexec_b32 s0, s0
	s_cbranch_execz .LBB15_41
; %bb.40:
	v_mul_f32_e32 v4, v3, v3
	s_mov_b32 s1, 0xbbbac73d
	v_fmaak_f32 v5, s1, v4, 0x3ca908c9
	v_fmaak_f32 v5, v4, v5, 0xbd5c1c4e
	;; [unrolled: 1-line block ×4, first 2 shown]
	v_mul_f32_e64 v5, |v3|, v5
	v_fma_f32 v4, v4, v5, |v3|
.LBB15_41:
	s_or_b32 exec_lo, exec_lo, s0
	v_bfi_b32 v3, 0x7fffffff, v4, v3
	v_mul_f32_e32 v2, 0.5, v2
	v_add_f32_e32 v3, 1.0, v3
	v_mul_f32_e32 v2, v2, v3
	v_mul_f32_e32 v3, v1, v2
.LBB15_42:
	v_mov_b32_e32 v1, v3
.LBB15_43:
	s_load_dwordx2 s[0:1], s[4:5], 0x38
	s_mul_i32 s2, s22, s10
	s_mul_i32 s3, s26, s8
	s_add_i32 s2, s2, s6
	v_lshlrev_b32_e32 v0, 2, v0
	s_add_i32 s2, s2, s3
	s_mov_b32 s3, 0
	s_lshl_b64 s[2:3], s[2:3], 2
	s_waitcnt lgkmcnt(0)
	s_add_u32 s0, s0, s2
	s_addc_u32 s1, s1, s3
	global_store_dword v0, v1, s[0:1]
.LBB15_44:
	s_endpgm
	.section	.rodata,"a",@progbits
	.p2align	6, 0x0
	.amdhsa_kernel _ZL13mul_mat_vec_qIL9ggml_type2ELi1ELb1ELb0EEvPKvS2_PKi31ggml_cuda_mm_fusion_args_devicePfj15HIP_vector_typeIjLj3EEjjjS8_jjjS8_jjjj
		.amdhsa_group_segment_fixed_size 0
		.amdhsa_private_segment_fixed_size 0
		.amdhsa_kernarg_size 144
		.amdhsa_user_sgpr_count 6
		.amdhsa_user_sgpr_private_segment_buffer 1
		.amdhsa_user_sgpr_dispatch_ptr 0
		.amdhsa_user_sgpr_queue_ptr 0
		.amdhsa_user_sgpr_kernarg_segment_ptr 1
		.amdhsa_user_sgpr_dispatch_id 0
		.amdhsa_user_sgpr_flat_scratch_init 0
		.amdhsa_user_sgpr_private_segment_size 0
		.amdhsa_wavefront_size32 1
		.amdhsa_uses_dynamic_stack 0
		.amdhsa_system_sgpr_private_segment_wavefront_offset 0
		.amdhsa_system_sgpr_workgroup_id_x 1
		.amdhsa_system_sgpr_workgroup_id_y 1
		.amdhsa_system_sgpr_workgroup_id_z 1
		.amdhsa_system_sgpr_workgroup_info 0
		.amdhsa_system_vgpr_workitem_id 1
		.amdhsa_next_free_vgpr 26
		.amdhsa_next_free_sgpr 40
		.amdhsa_reserve_vcc 1
		.amdhsa_reserve_flat_scratch 0
		.amdhsa_float_round_mode_32 0
		.amdhsa_float_round_mode_16_64 0
		.amdhsa_float_denorm_mode_32 3
		.amdhsa_float_denorm_mode_16_64 3
		.amdhsa_dx10_clamp 1
		.amdhsa_ieee_mode 1
		.amdhsa_fp16_overflow 0
		.amdhsa_workgroup_processor_mode 1
		.amdhsa_memory_ordered 1
		.amdhsa_forward_progress 1
		.amdhsa_shared_vgpr_count 0
		.amdhsa_exception_fp_ieee_invalid_op 0
		.amdhsa_exception_fp_denorm_src 0
		.amdhsa_exception_fp_ieee_div_zero 0
		.amdhsa_exception_fp_ieee_overflow 0
		.amdhsa_exception_fp_ieee_underflow 0
		.amdhsa_exception_fp_ieee_inexact 0
		.amdhsa_exception_int_div_zero 0
	.end_amdhsa_kernel
	.section	.text._ZL13mul_mat_vec_qIL9ggml_type2ELi1ELb1ELb0EEvPKvS2_PKi31ggml_cuda_mm_fusion_args_devicePfj15HIP_vector_typeIjLj3EEjjjS8_jjjS8_jjjj,"axG",@progbits,_ZL13mul_mat_vec_qIL9ggml_type2ELi1ELb1ELb0EEvPKvS2_PKi31ggml_cuda_mm_fusion_args_devicePfj15HIP_vector_typeIjLj3EEjjjS8_jjjS8_jjjj,comdat
.Lfunc_end15:
	.size	_ZL13mul_mat_vec_qIL9ggml_type2ELi1ELb1ELb0EEvPKvS2_PKi31ggml_cuda_mm_fusion_args_devicePfj15HIP_vector_typeIjLj3EEjjjS8_jjjS8_jjjj, .Lfunc_end15-_ZL13mul_mat_vec_qIL9ggml_type2ELi1ELb1ELb0EEvPKvS2_PKi31ggml_cuda_mm_fusion_args_devicePfj15HIP_vector_typeIjLj3EEjjjS8_jjjS8_jjjj
                                        ; -- End function
	.set _ZL13mul_mat_vec_qIL9ggml_type2ELi1ELb1ELb0EEvPKvS2_PKi31ggml_cuda_mm_fusion_args_devicePfj15HIP_vector_typeIjLj3EEjjjS8_jjjS8_jjjj.num_vgpr, 26
	.set _ZL13mul_mat_vec_qIL9ggml_type2ELi1ELb1ELb0EEvPKvS2_PKi31ggml_cuda_mm_fusion_args_devicePfj15HIP_vector_typeIjLj3EEjjjS8_jjjS8_jjjj.num_agpr, 0
	.set _ZL13mul_mat_vec_qIL9ggml_type2ELi1ELb1ELb0EEvPKvS2_PKi31ggml_cuda_mm_fusion_args_devicePfj15HIP_vector_typeIjLj3EEjjjS8_jjjS8_jjjj.numbered_sgpr, 40
	.set _ZL13mul_mat_vec_qIL9ggml_type2ELi1ELb1ELb0EEvPKvS2_PKi31ggml_cuda_mm_fusion_args_devicePfj15HIP_vector_typeIjLj3EEjjjS8_jjjS8_jjjj.num_named_barrier, 0
	.set _ZL13mul_mat_vec_qIL9ggml_type2ELi1ELb1ELb0EEvPKvS2_PKi31ggml_cuda_mm_fusion_args_devicePfj15HIP_vector_typeIjLj3EEjjjS8_jjjS8_jjjj.private_seg_size, 0
	.set _ZL13mul_mat_vec_qIL9ggml_type2ELi1ELb1ELb0EEvPKvS2_PKi31ggml_cuda_mm_fusion_args_devicePfj15HIP_vector_typeIjLj3EEjjjS8_jjjS8_jjjj.uses_vcc, 1
	.set _ZL13mul_mat_vec_qIL9ggml_type2ELi1ELb1ELb0EEvPKvS2_PKi31ggml_cuda_mm_fusion_args_devicePfj15HIP_vector_typeIjLj3EEjjjS8_jjjS8_jjjj.uses_flat_scratch, 0
	.set _ZL13mul_mat_vec_qIL9ggml_type2ELi1ELb1ELb0EEvPKvS2_PKi31ggml_cuda_mm_fusion_args_devicePfj15HIP_vector_typeIjLj3EEjjjS8_jjjS8_jjjj.has_dyn_sized_stack, 0
	.set _ZL13mul_mat_vec_qIL9ggml_type2ELi1ELb1ELb0EEvPKvS2_PKi31ggml_cuda_mm_fusion_args_devicePfj15HIP_vector_typeIjLj3EEjjjS8_jjjS8_jjjj.has_recursion, 0
	.set _ZL13mul_mat_vec_qIL9ggml_type2ELi1ELb1ELb0EEvPKvS2_PKi31ggml_cuda_mm_fusion_args_devicePfj15HIP_vector_typeIjLj3EEjjjS8_jjjS8_jjjj.has_indirect_call, 0
	.section	.AMDGPU.csdata,"",@progbits
; Kernel info:
; codeLenInByte = 2152
; TotalNumSgprs: 42
; NumVgprs: 26
; ScratchSize: 0
; MemoryBound: 0
; FloatMode: 240
; IeeeMode: 1
; LDSByteSize: 0 bytes/workgroup (compile time only)
; SGPRBlocks: 0
; VGPRBlocks: 3
; NumSGPRsForWavesPerEU: 42
; NumVGPRsForWavesPerEU: 26
; Occupancy: 16
; WaveLimiterHint : 0
; COMPUTE_PGM_RSRC2:SCRATCH_EN: 0
; COMPUTE_PGM_RSRC2:USER_SGPR: 6
; COMPUTE_PGM_RSRC2:TRAP_HANDLER: 0
; COMPUTE_PGM_RSRC2:TGID_X_EN: 1
; COMPUTE_PGM_RSRC2:TGID_Y_EN: 1
; COMPUTE_PGM_RSRC2:TGID_Z_EN: 1
; COMPUTE_PGM_RSRC2:TIDIG_COMP_CNT: 1
	.section	.text._ZL13mul_mat_vec_qIL9ggml_type2ELi1ELb0ELb0EEvPKvS2_PKi31ggml_cuda_mm_fusion_args_devicePfj15HIP_vector_typeIjLj3EEjjjS8_jjjS8_jjjj,"axG",@progbits,_ZL13mul_mat_vec_qIL9ggml_type2ELi1ELb0ELb0EEvPKvS2_PKi31ggml_cuda_mm_fusion_args_devicePfj15HIP_vector_typeIjLj3EEjjjS8_jjjS8_jjjj,comdat
	.globl	_ZL13mul_mat_vec_qIL9ggml_type2ELi1ELb0ELb0EEvPKvS2_PKi31ggml_cuda_mm_fusion_args_devicePfj15HIP_vector_typeIjLj3EEjjjS8_jjjS8_jjjj ; -- Begin function _ZL13mul_mat_vec_qIL9ggml_type2ELi1ELb0ELb0EEvPKvS2_PKi31ggml_cuda_mm_fusion_args_devicePfj15HIP_vector_typeIjLj3EEjjjS8_jjjS8_jjjj
	.p2align	8
	.type	_ZL13mul_mat_vec_qIL9ggml_type2ELi1ELb0ELb0EEvPKvS2_PKi31ggml_cuda_mm_fusion_args_devicePfj15HIP_vector_typeIjLj3EEjjjS8_jjjS8_jjjj,@function
_ZL13mul_mat_vec_qIL9ggml_type2ELi1ELb0ELb0EEvPKvS2_PKi31ggml_cuda_mm_fusion_args_devicePfj15HIP_vector_typeIjLj3EEjjjS8_jjjS8_jjjj: ; @_ZL13mul_mat_vec_qIL9ggml_type2ELi1ELb0ELb0EEvPKvS2_PKi31ggml_cuda_mm_fusion_args_devicePfj15HIP_vector_typeIjLj3EEjjjS8_jjjS8_jjjj
; %bb.0:
	s_clause 0x1
	s_load_dwordx2 s[0:1], s[4:5], 0x10
	s_load_dwordx4 s[16:19], s[4:5], 0x40
	s_mov_b32 s10, s7
	s_waitcnt lgkmcnt(0)
	s_cmp_lg_u64 s[0:1], 0
	s_cselect_b32 s7, -1, 0
	s_cmp_eq_u64 s[0:1], 0
	s_cbranch_scc1 .LBB16_5
; %bb.1:
	s_mov_b32 s11, 0
	s_lshl_b64 s[2:3], s[10:11], 2
	s_add_u32 s0, s0, s2
	s_addc_u32 s1, s1, s3
	s_load_dword s20, s[0:1], 0x0
	s_clause 0x1
	s_load_dwordx4 s[0:3], s[4:5], 0x68
	s_load_dword s21, s[4:5], 0x50
	s_cbranch_execnz .LBB16_3
.LBB16_2:
	s_load_dwordx2 s[12:13], s[4:5], 0x5c
	s_waitcnt lgkmcnt(0)
	s_mul_hi_u32 s9, s12, s10
	s_add_i32 s9, s10, s9
	s_lshr_b32 s20, s9, s13
.LBB16_3:
	s_load_dword s11, s[4:5], 0x78
	s_andn2_b32 vcc_lo, exec_lo, s7
	s_cbranch_vccnz .LBB16_6
; %bb.4:
	s_mul_hi_u32 s7, s17, s10
	s_add_i32 s7, s10, s7
	s_lshr_b32 s7, s7, s18
	s_mul_i32 s7, s7, s19
	s_sub_i32 s22, s10, s7
	s_branch .LBB16_7
.LBB16_5:
                                        ; implicit-def: $sgpr20
	s_clause 0x1
	s_load_dwordx4 s[0:3], s[4:5], 0x68
	s_load_dword s21, s[4:5], 0x50
	s_branch .LBB16_2
.LBB16_6:
	s_mov_b32 s22, s10
.LBB16_7:
	s_load_dwordx4 s[12:15], s[4:5], 0x80
	v_lshl_or_b32 v2, v1, 5, v0
	v_mov_b32_e32 v4, 0
	s_lshr_b32 s9, s16, 5
	s_mov_b32 s7, exec_lo
	v_lshrrev_b16 v3, 1, v2
	v_and_b32_e32 v5, 0xffff, v3
	v_cmpx_gt_u32_e64 s9, v5
	s_cbranch_execz .LBB16_11
; %bb.8:
	s_load_dwordx4 s[16:19], s[4:5], 0x0
	s_waitcnt lgkmcnt(0)
	s_mul_hi_u32 s3, s3, s8
	s_mul_i32 s21, s21, s6
	s_add_i32 s3, s8, s3
	s_mul_i32 s13, s13, s8
	s_lshr_b32 s3, s3, s11
	s_mul_i32 s0, s20, s0
	s_mul_i32 s3, s3, s12
	v_lshlrev_b32_e32 v3, 2, v0
	s_add_i32 s3, s3, s21
	s_mul_i32 s11, s22, s1
	s_add_i32 s1, s0, s3
	s_mul_i32 s3, s13, 36
	s_mul_hi_u32 s12, s13, 36
	v_lshrrev_b32_e32 v2, 1, v2
	s_mul_hi_u32 s0, s11, 36
	s_mul_i32 s11, s11, 36
	v_and_b32_e32 v7, 4, v3
	v_and_b32_e32 v6, 1, v0
	v_mov_b32_e32 v4, 0
	s_add_u32 s3, s18, s3
	s_addc_u32 s13, s19, s12
	s_add_u32 s12, s3, s11
	s_addc_u32 s13, s13, s0
	v_lshlrev_b32_e32 v6, 3, v6
	v_mad_u64_u32 v[2:3], null, v2, 36, s[12:13]
	v_lshlrev_b32_e32 v7, 1, v7
	s_mov_b32 s3, 0
.LBB16_9:                               ; =>This Inner Loop Header: Depth=1
	v_add_nc_u32_e32 v8, s1, v5
	v_add_co_u32 v10, vcc_lo, v2, v6
	v_add_co_ci_u32_e64 v11, null, 0, v3, vcc_lo
	v_mad_i64_i32 v[8:9], null, v8, 18, s[16:17]
	v_add_nc_u32_e32 v5, 16, v5
	v_cmp_le_u32_e32 vcc_lo, s9, v5
	v_add_co_u32 v12, s0, v8, v7
	v_add_co_ci_u32_e64 v13, null, 0, v9, s0
	s_or_b32 s3, vcc_lo, s3
	global_load_dwordx2 v[12:13], v[12:13], off offset:2
	s_clause 0x2
	global_load_dwordx2 v[14:15], v[10:11], off offset:4
	global_load_dwordx2 v[10:11], v[10:11], off offset:20
	global_load_dword v16, v[2:3], off
	global_load_ushort v8, v[8:9], off
	v_mov_b32_e32 v9, 0
	v_add_co_u32 v2, s0, 0x240, v2
	v_add_co_ci_u32_e64 v3, null, 0, v3, s0
	s_waitcnt vmcnt(4)
	v_lshrrev_b32_e32 v17, 4, v12
	v_and_b32_e32 v12, 0xf0f0f0f, v12
	v_and_b32_e32 v17, 0xf0f0f0f, v17
	s_waitcnt vmcnt(3)
	v_dot4c_i32_i8 v9, v12, v14
	v_and_b32_e32 v12, 0xf0f0f0f, v13
	v_lshrrev_b32_e32 v13, 4, v13
	s_waitcnt vmcnt(2)
	v_dot4c_i32_i8 v9, v17, v10
	v_and_b32_e32 v10, 0xf0f0f0f, v13
	v_dot4c_i32_i8 v9, v12, v15
	s_waitcnt vmcnt(1)
	v_cvt_f32_f16_sdwa v12, v16 dst_sel:DWORD dst_unused:UNUSED_PAD src0_sel:WORD_1
	v_dot4c_i32_i8 v9, v10, v11
	v_mul_f32_e32 v10, -4.0, v12
	v_cvt_f32_i32_e32 v9, v9
	v_fma_mix_f32 v9, v9, v16, v10 op_sel_hi:[0,1,0]
	s_waitcnt vmcnt(0)
	v_fma_mix_f32 v4, v9, v8, v4 op_sel_hi:[0,1,0]
	s_andn2_b32 exec_lo, exec_lo, s3
	s_cbranch_execnz .LBB16_9
; %bb.10:
	s_or_b32 exec_lo, exec_lo, s3
.LBB16_11:
	s_or_b32 exec_lo, exec_lo, s7
	s_waitcnt lgkmcnt(0)
	; wave barrier
	buffer_gl0_inv
	s_mov_b32 s0, exec_lo
	v_cmpx_eq_u32_e32 0, v1
	s_cbranch_execz .LBB16_14
; %bb.12:
	v_mbcnt_lo_u32_b32 v1, -1, 0
	v_xor_b32_e32 v2, 16, v1
	v_xor_b32_e32 v3, 8, v1
	v_cmp_gt_i32_e32 vcc_lo, 32, v2
	v_cndmask_b32_e32 v2, v1, v2, vcc_lo
	v_cmp_gt_i32_e32 vcc_lo, 32, v3
	v_lshlrev_b32_e32 v2, 2, v2
	v_cndmask_b32_e32 v3, v1, v3, vcc_lo
	ds_bpermute_b32 v2, v2, v4
	v_lshlrev_b32_e32 v3, 2, v3
	s_waitcnt lgkmcnt(0)
	v_add_f32_e32 v2, v4, v2
	v_xor_b32_e32 v4, 4, v1
	ds_bpermute_b32 v3, v3, v2
	v_cmp_gt_i32_e32 vcc_lo, 32, v4
	v_cndmask_b32_e32 v4, v1, v4, vcc_lo
	v_lshlrev_b32_e32 v4, 2, v4
	s_waitcnt lgkmcnt(0)
	v_add_f32_e32 v2, v2, v3
	ds_bpermute_b32 v3, v4, v2
	v_xor_b32_e32 v4, 2, v1
	v_cmp_gt_i32_e32 vcc_lo, 32, v4
	v_cndmask_b32_e32 v4, v1, v4, vcc_lo
	v_lshlrev_b32_e32 v4, 2, v4
	s_waitcnt lgkmcnt(0)
	v_add_f32_e32 v2, v2, v3
	ds_bpermute_b32 v3, v4, v2
	v_xor_b32_e32 v4, 1, v1
	v_cmp_gt_i32_e32 vcc_lo, 32, v4
	v_cndmask_b32_e32 v1, v1, v4, vcc_lo
	v_cmp_eq_u32_e32 vcc_lo, 0, v0
	v_lshlrev_b32_e32 v4, 2, v1
	s_waitcnt lgkmcnt(0)
	v_add_f32_e32 v1, v2, v3
	ds_bpermute_b32 v2, v4, v1
	s_and_b32 exec_lo, exec_lo, vcc_lo
	s_cbranch_execz .LBB16_14
; %bb.13:
	s_load_dwordx2 s[0:1], s[4:5], 0x38
	s_mul_i32 s2, s2, s10
	s_mul_i32 s3, s14, s8
	s_add_i32 s2, s2, s6
	s_waitcnt lgkmcnt(0)
	v_add_f32_e32 v0, v1, v2
	s_add_i32 s2, s2, s3
	s_mov_b32 s3, 0
	v_mov_b32_e32 v1, 0
	s_lshl_b64 s[2:3], s[2:3], 2
	s_add_u32 s0, s0, s2
	s_addc_u32 s1, s1, s3
	global_store_dword v1, v0, s[0:1]
.LBB16_14:
	s_endpgm
	.section	.rodata,"a",@progbits
	.p2align	6, 0x0
	.amdhsa_kernel _ZL13mul_mat_vec_qIL9ggml_type2ELi1ELb0ELb0EEvPKvS2_PKi31ggml_cuda_mm_fusion_args_devicePfj15HIP_vector_typeIjLj3EEjjjS8_jjjS8_jjjj
		.amdhsa_group_segment_fixed_size 0
		.amdhsa_private_segment_fixed_size 0
		.amdhsa_kernarg_size 144
		.amdhsa_user_sgpr_count 6
		.amdhsa_user_sgpr_private_segment_buffer 1
		.amdhsa_user_sgpr_dispatch_ptr 0
		.amdhsa_user_sgpr_queue_ptr 0
		.amdhsa_user_sgpr_kernarg_segment_ptr 1
		.amdhsa_user_sgpr_dispatch_id 0
		.amdhsa_user_sgpr_flat_scratch_init 0
		.amdhsa_user_sgpr_private_segment_size 0
		.amdhsa_wavefront_size32 1
		.amdhsa_uses_dynamic_stack 0
		.amdhsa_system_sgpr_private_segment_wavefront_offset 0
		.amdhsa_system_sgpr_workgroup_id_x 1
		.amdhsa_system_sgpr_workgroup_id_y 1
		.amdhsa_system_sgpr_workgroup_id_z 1
		.amdhsa_system_sgpr_workgroup_info 0
		.amdhsa_system_vgpr_workitem_id 1
		.amdhsa_next_free_vgpr 18
		.amdhsa_next_free_sgpr 23
		.amdhsa_reserve_vcc 1
		.amdhsa_reserve_flat_scratch 0
		.amdhsa_float_round_mode_32 0
		.amdhsa_float_round_mode_16_64 0
		.amdhsa_float_denorm_mode_32 3
		.amdhsa_float_denorm_mode_16_64 3
		.amdhsa_dx10_clamp 1
		.amdhsa_ieee_mode 1
		.amdhsa_fp16_overflow 0
		.amdhsa_workgroup_processor_mode 1
		.amdhsa_memory_ordered 1
		.amdhsa_forward_progress 1
		.amdhsa_shared_vgpr_count 0
		.amdhsa_exception_fp_ieee_invalid_op 0
		.amdhsa_exception_fp_denorm_src 0
		.amdhsa_exception_fp_ieee_div_zero 0
		.amdhsa_exception_fp_ieee_overflow 0
		.amdhsa_exception_fp_ieee_underflow 0
		.amdhsa_exception_fp_ieee_inexact 0
		.amdhsa_exception_int_div_zero 0
	.end_amdhsa_kernel
	.section	.text._ZL13mul_mat_vec_qIL9ggml_type2ELi1ELb0ELb0EEvPKvS2_PKi31ggml_cuda_mm_fusion_args_devicePfj15HIP_vector_typeIjLj3EEjjjS8_jjjS8_jjjj,"axG",@progbits,_ZL13mul_mat_vec_qIL9ggml_type2ELi1ELb0ELb0EEvPKvS2_PKi31ggml_cuda_mm_fusion_args_devicePfj15HIP_vector_typeIjLj3EEjjjS8_jjjS8_jjjj,comdat
.Lfunc_end16:
	.size	_ZL13mul_mat_vec_qIL9ggml_type2ELi1ELb0ELb0EEvPKvS2_PKi31ggml_cuda_mm_fusion_args_devicePfj15HIP_vector_typeIjLj3EEjjjS8_jjjS8_jjjj, .Lfunc_end16-_ZL13mul_mat_vec_qIL9ggml_type2ELi1ELb0ELb0EEvPKvS2_PKi31ggml_cuda_mm_fusion_args_devicePfj15HIP_vector_typeIjLj3EEjjjS8_jjjS8_jjjj
                                        ; -- End function
	.set _ZL13mul_mat_vec_qIL9ggml_type2ELi1ELb0ELb0EEvPKvS2_PKi31ggml_cuda_mm_fusion_args_devicePfj15HIP_vector_typeIjLj3EEjjjS8_jjjS8_jjjj.num_vgpr, 18
	.set _ZL13mul_mat_vec_qIL9ggml_type2ELi1ELb0ELb0EEvPKvS2_PKi31ggml_cuda_mm_fusion_args_devicePfj15HIP_vector_typeIjLj3EEjjjS8_jjjS8_jjjj.num_agpr, 0
	.set _ZL13mul_mat_vec_qIL9ggml_type2ELi1ELb0ELb0EEvPKvS2_PKi31ggml_cuda_mm_fusion_args_devicePfj15HIP_vector_typeIjLj3EEjjjS8_jjjS8_jjjj.numbered_sgpr, 23
	.set _ZL13mul_mat_vec_qIL9ggml_type2ELi1ELb0ELb0EEvPKvS2_PKi31ggml_cuda_mm_fusion_args_devicePfj15HIP_vector_typeIjLj3EEjjjS8_jjjS8_jjjj.num_named_barrier, 0
	.set _ZL13mul_mat_vec_qIL9ggml_type2ELi1ELb0ELb0EEvPKvS2_PKi31ggml_cuda_mm_fusion_args_devicePfj15HIP_vector_typeIjLj3EEjjjS8_jjjS8_jjjj.private_seg_size, 0
	.set _ZL13mul_mat_vec_qIL9ggml_type2ELi1ELb0ELb0EEvPKvS2_PKi31ggml_cuda_mm_fusion_args_devicePfj15HIP_vector_typeIjLj3EEjjjS8_jjjS8_jjjj.uses_vcc, 1
	.set _ZL13mul_mat_vec_qIL9ggml_type2ELi1ELb0ELb0EEvPKvS2_PKi31ggml_cuda_mm_fusion_args_devicePfj15HIP_vector_typeIjLj3EEjjjS8_jjjS8_jjjj.uses_flat_scratch, 0
	.set _ZL13mul_mat_vec_qIL9ggml_type2ELi1ELb0ELb0EEvPKvS2_PKi31ggml_cuda_mm_fusion_args_devicePfj15HIP_vector_typeIjLj3EEjjjS8_jjjS8_jjjj.has_dyn_sized_stack, 0
	.set _ZL13mul_mat_vec_qIL9ggml_type2ELi1ELb0ELb0EEvPKvS2_PKi31ggml_cuda_mm_fusion_args_devicePfj15HIP_vector_typeIjLj3EEjjjS8_jjjS8_jjjj.has_recursion, 0
	.set _ZL13mul_mat_vec_qIL9ggml_type2ELi1ELb0ELb0EEvPKvS2_PKi31ggml_cuda_mm_fusion_args_devicePfj15HIP_vector_typeIjLj3EEjjjS8_jjjS8_jjjj.has_indirect_call, 0
	.section	.AMDGPU.csdata,"",@progbits
; Kernel info:
; codeLenInByte = 872
; TotalNumSgprs: 25
; NumVgprs: 18
; ScratchSize: 0
; MemoryBound: 0
; FloatMode: 240
; IeeeMode: 1
; LDSByteSize: 0 bytes/workgroup (compile time only)
; SGPRBlocks: 0
; VGPRBlocks: 2
; NumSGPRsForWavesPerEU: 25
; NumVGPRsForWavesPerEU: 18
; Occupancy: 16
; WaveLimiterHint : 0
; COMPUTE_PGM_RSRC2:SCRATCH_EN: 0
; COMPUTE_PGM_RSRC2:USER_SGPR: 6
; COMPUTE_PGM_RSRC2:TRAP_HANDLER: 0
; COMPUTE_PGM_RSRC2:TGID_X_EN: 1
; COMPUTE_PGM_RSRC2:TGID_Y_EN: 1
; COMPUTE_PGM_RSRC2:TGID_Z_EN: 1
; COMPUTE_PGM_RSRC2:TIDIG_COMP_CNT: 1
	.section	.text._ZL13mul_mat_vec_qIL9ggml_type2ELi2ELb0ELb0EEvPKvS2_PKi31ggml_cuda_mm_fusion_args_devicePfj15HIP_vector_typeIjLj3EEjjjS8_jjjS8_jjjj,"axG",@progbits,_ZL13mul_mat_vec_qIL9ggml_type2ELi2ELb0ELb0EEvPKvS2_PKi31ggml_cuda_mm_fusion_args_devicePfj15HIP_vector_typeIjLj3EEjjjS8_jjjS8_jjjj,comdat
	.globl	_ZL13mul_mat_vec_qIL9ggml_type2ELi2ELb0ELb0EEvPKvS2_PKi31ggml_cuda_mm_fusion_args_devicePfj15HIP_vector_typeIjLj3EEjjjS8_jjjS8_jjjj ; -- Begin function _ZL13mul_mat_vec_qIL9ggml_type2ELi2ELb0ELb0EEvPKvS2_PKi31ggml_cuda_mm_fusion_args_devicePfj15HIP_vector_typeIjLj3EEjjjS8_jjjS8_jjjj
	.p2align	8
	.type	_ZL13mul_mat_vec_qIL9ggml_type2ELi2ELb0ELb0EEvPKvS2_PKi31ggml_cuda_mm_fusion_args_devicePfj15HIP_vector_typeIjLj3EEjjjS8_jjjS8_jjjj,@function
_ZL13mul_mat_vec_qIL9ggml_type2ELi2ELb0ELb0EEvPKvS2_PKi31ggml_cuda_mm_fusion_args_devicePfj15HIP_vector_typeIjLj3EEjjjS8_jjjS8_jjjj: ; @_ZL13mul_mat_vec_qIL9ggml_type2ELi2ELb0ELb0EEvPKvS2_PKi31ggml_cuda_mm_fusion_args_devicePfj15HIP_vector_typeIjLj3EEjjjS8_jjjS8_jjjj
; %bb.0:
	s_clause 0x5
	s_load_dwordx4 s[16:19], s[4:5], 0x80
	s_load_dword s9, s[4:5], 0x40
	s_load_dwordx4 s[0:3], s[4:5], 0x50
	s_load_dword s24, s[4:5], 0x60
	;; [unrolled: 2-line block ×3, first 2 shown]
	v_lshl_or_b32 v2, v1, 5, v0
	v_mov_b32_e32 v4, 0
	v_mov_b32_e32 v6, 0
	v_lshrrev_b16 v3, 1, v2
	v_and_b32_e32 v5, 0xffff, v3
	s_waitcnt lgkmcnt(0)
	s_lshr_b32 s19, s9, 5
	s_mov_b32 s9, exec_lo
	v_cmpx_gt_u32_e64 s19, v5
	s_cbranch_execz .LBB17_4
; %bb.1:
	s_load_dwordx4 s[20:23], s[4:5], 0x0
	v_lshlrev_b32_e32 v3, 1, v0
	s_mul_i32 s10, s17, s8
	s_mul_i32 s11, s13, s7
	s_mul_hi_u32 s13, s15, s8
	v_and_b32_e32 v6, 1, v0
	s_mul_hi_u32 s15, s10, 36
	v_and_b32_e32 v9, 2, v3
	s_mul_i32 s10, s10, 36
	v_lshrrev_b32_e32 v2, 1, v2
	s_mul_hi_u32 s17, s11, 36
	s_mul_i32 s11, s11, 36
	s_mul_hi_u32 s3, s3, s7
	v_lshlrev_b32_e32 v7, 3, v6
	v_lshlrev_b32_e32 v6, 1, v9
	s_mul_i32 s0, s0, s6
	v_mov_b32_e32 v4, 0
	v_lshlrev_b32_e32 v9, 2, v9
	v_lshlrev_b32_e32 v8, 1, v6
	s_waitcnt lgkmcnt(0)
	s_add_u32 s10, s22, s10
	s_addc_u32 s15, s23, s15
	s_add_u32 s10, s10, s11
	s_addc_u32 s11, s15, s17
	s_add_i32 s3, s7, s3
	s_add_i32 s13, s8, s13
	s_lshr_b32 s3, s3, s24
	v_mad_u64_u32 v[2:3], null, v2, 36, s[10:11]
	s_lshr_b32 s13, s13, s25
	s_mul_i32 s3, s3, s12
	v_mov_b32_e32 v6, 0
	s_mul_i32 s12, s13, s16
	s_add_i32 s3, s3, s0
	s_add_i32 s12, s12, s3
	s_mov_b32 s3, 0
.LBB17_2:                               ; =>This Inner Loop Header: Depth=1
	v_add_nc_u32_e32 v12, s12, v5
	v_add_nc_u32_e32 v14, s1, v5
	v_add_co_u32 v10, vcc_lo, v2, v7
	v_add_co_ci_u32_e64 v11, null, 0, v3, vcc_lo
	v_mad_i64_i32 v[12:13], null, v12, 18, s[20:21]
	v_mad_u64_u32 v[14:15], null, v14, 36, s[10:11]
	v_add_nc_u32_e32 v5, 16, v5
	v_add_co_u32 v16, vcc_lo, v12, v8
	v_add_co_ci_u32_e64 v17, null, 0, v13, vcc_lo
	v_add_co_u32 v18, vcc_lo, v14, v9
	v_add_co_ci_u32_e64 v19, null, 0, v15, vcc_lo
	global_load_dwordx2 v[16:17], v[16:17], off offset:2
	global_load_dwordx2 v[20:21], v[10:11], off offset:4
	;; [unrolled: 1-line block ×5, first 2 shown]
	global_load_dword v24, v[2:3], off
	global_load_dword v14, v[14:15], off
	global_load_ushort v12, v[12:13], off
	v_mov_b32_e32 v13, 0
	v_mov_b32_e32 v15, 0
	v_add_co_u32 v2, vcc_lo, 0x240, v2
	v_cmp_le_u32_e64 s0, s19, v5
	v_add_co_ci_u32_e64 v3, null, 0, v3, vcc_lo
	s_or_b32 s3, s0, s3
	s_waitcnt vmcnt(7)
	v_lshrrev_b32_e32 v25, 4, v16
	v_and_b32_e32 v16, 0xf0f0f0f, v16
	v_and_b32_e32 v25, 0xf0f0f0f, v25
	s_waitcnt vmcnt(6)
	v_dot4c_i32_i8 v13, v16, v20
	s_waitcnt vmcnt(5)
	v_dot4c_i32_i8 v15, v16, v22
	v_and_b32_e32 v16, 0xf0f0f0f, v17
	v_lshrrev_b32_e32 v17, 4, v17
	s_waitcnt vmcnt(4)
	v_dot4c_i32_i8 v13, v25, v10
	s_waitcnt vmcnt(3)
	v_dot4c_i32_i8 v15, v25, v18
	v_and_b32_e32 v10, 0xf0f0f0f, v17
	s_waitcnt vmcnt(1)
	v_cvt_f32_f16_sdwa v17, v14 dst_sel:DWORD dst_unused:UNUSED_PAD src0_sel:WORD_1
	v_dot4c_i32_i8 v13, v16, v21
	v_dot4c_i32_i8 v15, v16, v23
	v_cvt_f32_f16_sdwa v16, v24 dst_sel:DWORD dst_unused:UNUSED_PAD src0_sel:WORD_1
	v_dot4c_i32_i8 v13, v10, v11
	v_dot4c_i32_i8 v15, v10, v19
	v_mul_f32_e32 v10, 4.0, v16
	v_mul_f32_e32 v11, 4.0, v17
	v_cvt_f32_i32_e32 v13, v13
	v_cvt_f32_i32_e32 v15, v15
	v_fma_mix_f32 v10, v13, v24, -v10 op_sel_hi:[0,1,0]
	v_fma_mix_f32 v11, v15, v14, -v11 op_sel_hi:[0,1,0]
	s_waitcnt vmcnt(0)
	v_fma_mix_f32 v6, v10, v12, v6 op_sel_hi:[0,1,0]
	v_fma_mix_f32 v4, v11, v12, v4 op_sel_hi:[0,1,0]
	s_andn2_b32 exec_lo, exec_lo, s3
	s_cbranch_execnz .LBB17_2
; %bb.3:
	s_or_b32 exec_lo, exec_lo, s3
.LBB17_4:
	s_or_b32 exec_lo, exec_lo, s9
	s_mov_b32 s1, 0
	; wave barrier
	buffer_gl0_inv
	s_mov_b32 s0, exec_lo
	v_cmpx_eq_u32_e32 0, v1
	s_cbranch_execz .LBB17_9
; %bb.5:
	v_mbcnt_lo_u32_b32 v7, -1, 0
	s_load_dwordx2 s[4:5], s[4:5], 0x38
	s_mul_i32 s0, s14, s7
	s_mul_i32 s3, s18, s8
	s_add_i32 s0, s0, s6
	v_xor_b32_e32 v1, 16, v7
	v_xor_b32_e32 v2, 8, v7
	s_add_i32 s0, s0, s3
	s_lshl_b64 s[0:1], s[0:1], 2
	v_cmp_gt_i32_e32 vcc_lo, 32, v1
	v_cndmask_b32_e32 v1, v7, v1, vcc_lo
	v_cmp_gt_i32_e32 vcc_lo, 32, v2
	v_lshlrev_b32_e32 v1, 2, v1
	v_cndmask_b32_e32 v2, v7, v2, vcc_lo
	s_waitcnt lgkmcnt(0)
	s_add_u32 s0, s4, s0
	s_addc_u32 s1, s5, s1
	ds_bpermute_b32 v3, v1, v6
	v_lshlrev_b32_e32 v2, 2, v2
	s_waitcnt lgkmcnt(0)
	v_add_f32_e32 v5, v6, v3
	v_xor_b32_e32 v3, 4, v7
	ds_bpermute_b32 v6, v2, v5
	v_cmp_gt_i32_e32 vcc_lo, 32, v3
	v_cndmask_b32_e32 v3, v7, v3, vcc_lo
	v_lshlrev_b32_e32 v3, 2, v3
	s_waitcnt lgkmcnt(0)
	v_add_f32_e32 v6, v5, v6
	v_xor_b32_e32 v5, 2, v7
	ds_bpermute_b32 v8, v3, v6
	v_cmp_gt_i32_e32 vcc_lo, 32, v5
	v_cndmask_b32_e32 v5, v7, v5, vcc_lo
	;; [unrolled: 7-line block ×3, first 2 shown]
	v_cmp_eq_u32_e32 vcc_lo, 0, v0
	v_lshlrev_b32_e32 v6, 2, v6
	s_waitcnt lgkmcnt(0)
	v_add_f32_e32 v7, v8, v9
	ds_bpermute_b32 v8, v6, v7
	s_and_saveexec_b32 s3, vcc_lo
	s_cbranch_execz .LBB17_7
; %bb.6:
	s_waitcnt lgkmcnt(0)
	v_add_f32_e32 v0, v7, v8
	v_mov_b32_e32 v7, 0
	global_store_dword v7, v0, s[0:1]
.LBB17_7:
	s_or_b32 exec_lo, exec_lo, s3
	ds_bpermute_b32 v0, v1, v4
	s_waitcnt lgkmcnt(0)
	v_add_f32_e32 v0, v4, v0
	ds_bpermute_b32 v1, v2, v0
	s_waitcnt lgkmcnt(0)
	v_add_f32_e32 v0, v0, v1
	;; [unrolled: 3-line block ×4, first 2 shown]
	ds_bpermute_b32 v1, v6, v0
	s_and_b32 exec_lo, exec_lo, vcc_lo
	s_cbranch_execz .LBB17_9
; %bb.8:
	s_mov_b32 s3, 0
	s_waitcnt lgkmcnt(0)
	v_add_f32_e32 v0, v0, v1
	s_lshl_b64 s[2:3], s[2:3], 2
	v_mov_b32_e32 v1, 0
	s_add_u32 s0, s0, s2
	s_addc_u32 s1, s1, s3
	global_store_dword v1, v0, s[0:1]
.LBB17_9:
	s_endpgm
	.section	.rodata,"a",@progbits
	.p2align	6, 0x0
	.amdhsa_kernel _ZL13mul_mat_vec_qIL9ggml_type2ELi2ELb0ELb0EEvPKvS2_PKi31ggml_cuda_mm_fusion_args_devicePfj15HIP_vector_typeIjLj3EEjjjS8_jjjS8_jjjj
		.amdhsa_group_segment_fixed_size 0
		.amdhsa_private_segment_fixed_size 0
		.amdhsa_kernarg_size 144
		.amdhsa_user_sgpr_count 6
		.amdhsa_user_sgpr_private_segment_buffer 1
		.amdhsa_user_sgpr_dispatch_ptr 0
		.amdhsa_user_sgpr_queue_ptr 0
		.amdhsa_user_sgpr_kernarg_segment_ptr 1
		.amdhsa_user_sgpr_dispatch_id 0
		.amdhsa_user_sgpr_flat_scratch_init 0
		.amdhsa_user_sgpr_private_segment_size 0
		.amdhsa_wavefront_size32 1
		.amdhsa_uses_dynamic_stack 0
		.amdhsa_system_sgpr_private_segment_wavefront_offset 0
		.amdhsa_system_sgpr_workgroup_id_x 1
		.amdhsa_system_sgpr_workgroup_id_y 1
		.amdhsa_system_sgpr_workgroup_id_z 1
		.amdhsa_system_sgpr_workgroup_info 0
		.amdhsa_system_vgpr_workitem_id 1
		.amdhsa_next_free_vgpr 26
		.amdhsa_next_free_sgpr 26
		.amdhsa_reserve_vcc 1
		.amdhsa_reserve_flat_scratch 0
		.amdhsa_float_round_mode_32 0
		.amdhsa_float_round_mode_16_64 0
		.amdhsa_float_denorm_mode_32 3
		.amdhsa_float_denorm_mode_16_64 3
		.amdhsa_dx10_clamp 1
		.amdhsa_ieee_mode 1
		.amdhsa_fp16_overflow 0
		.amdhsa_workgroup_processor_mode 1
		.amdhsa_memory_ordered 1
		.amdhsa_forward_progress 1
		.amdhsa_shared_vgpr_count 0
		.amdhsa_exception_fp_ieee_invalid_op 0
		.amdhsa_exception_fp_denorm_src 0
		.amdhsa_exception_fp_ieee_div_zero 0
		.amdhsa_exception_fp_ieee_overflow 0
		.amdhsa_exception_fp_ieee_underflow 0
		.amdhsa_exception_fp_ieee_inexact 0
		.amdhsa_exception_int_div_zero 0
	.end_amdhsa_kernel
	.section	.text._ZL13mul_mat_vec_qIL9ggml_type2ELi2ELb0ELb0EEvPKvS2_PKi31ggml_cuda_mm_fusion_args_devicePfj15HIP_vector_typeIjLj3EEjjjS8_jjjS8_jjjj,"axG",@progbits,_ZL13mul_mat_vec_qIL9ggml_type2ELi2ELb0ELb0EEvPKvS2_PKi31ggml_cuda_mm_fusion_args_devicePfj15HIP_vector_typeIjLj3EEjjjS8_jjjS8_jjjj,comdat
.Lfunc_end17:
	.size	_ZL13mul_mat_vec_qIL9ggml_type2ELi2ELb0ELb0EEvPKvS2_PKi31ggml_cuda_mm_fusion_args_devicePfj15HIP_vector_typeIjLj3EEjjjS8_jjjS8_jjjj, .Lfunc_end17-_ZL13mul_mat_vec_qIL9ggml_type2ELi2ELb0ELb0EEvPKvS2_PKi31ggml_cuda_mm_fusion_args_devicePfj15HIP_vector_typeIjLj3EEjjjS8_jjjS8_jjjj
                                        ; -- End function
	.set _ZL13mul_mat_vec_qIL9ggml_type2ELi2ELb0ELb0EEvPKvS2_PKi31ggml_cuda_mm_fusion_args_devicePfj15HIP_vector_typeIjLj3EEjjjS8_jjjS8_jjjj.num_vgpr, 26
	.set _ZL13mul_mat_vec_qIL9ggml_type2ELi2ELb0ELb0EEvPKvS2_PKi31ggml_cuda_mm_fusion_args_devicePfj15HIP_vector_typeIjLj3EEjjjS8_jjjS8_jjjj.num_agpr, 0
	.set _ZL13mul_mat_vec_qIL9ggml_type2ELi2ELb0ELb0EEvPKvS2_PKi31ggml_cuda_mm_fusion_args_devicePfj15HIP_vector_typeIjLj3EEjjjS8_jjjS8_jjjj.numbered_sgpr, 26
	.set _ZL13mul_mat_vec_qIL9ggml_type2ELi2ELb0ELb0EEvPKvS2_PKi31ggml_cuda_mm_fusion_args_devicePfj15HIP_vector_typeIjLj3EEjjjS8_jjjS8_jjjj.num_named_barrier, 0
	.set _ZL13mul_mat_vec_qIL9ggml_type2ELi2ELb0ELb0EEvPKvS2_PKi31ggml_cuda_mm_fusion_args_devicePfj15HIP_vector_typeIjLj3EEjjjS8_jjjS8_jjjj.private_seg_size, 0
	.set _ZL13mul_mat_vec_qIL9ggml_type2ELi2ELb0ELb0EEvPKvS2_PKi31ggml_cuda_mm_fusion_args_devicePfj15HIP_vector_typeIjLj3EEjjjS8_jjjS8_jjjj.uses_vcc, 1
	.set _ZL13mul_mat_vec_qIL9ggml_type2ELi2ELb0ELb0EEvPKvS2_PKi31ggml_cuda_mm_fusion_args_devicePfj15HIP_vector_typeIjLj3EEjjjS8_jjjS8_jjjj.uses_flat_scratch, 0
	.set _ZL13mul_mat_vec_qIL9ggml_type2ELi2ELb0ELb0EEvPKvS2_PKi31ggml_cuda_mm_fusion_args_devicePfj15HIP_vector_typeIjLj3EEjjjS8_jjjS8_jjjj.has_dyn_sized_stack, 0
	.set _ZL13mul_mat_vec_qIL9ggml_type2ELi2ELb0ELb0EEvPKvS2_PKi31ggml_cuda_mm_fusion_args_devicePfj15HIP_vector_typeIjLj3EEjjjS8_jjjS8_jjjj.has_recursion, 0
	.set _ZL13mul_mat_vec_qIL9ggml_type2ELi2ELb0ELb0EEvPKvS2_PKi31ggml_cuda_mm_fusion_args_devicePfj15HIP_vector_typeIjLj3EEjjjS8_jjjS8_jjjj.has_indirect_call, 0
	.section	.AMDGPU.csdata,"",@progbits
; Kernel info:
; codeLenInByte = 996
; TotalNumSgprs: 28
; NumVgprs: 26
; ScratchSize: 0
; MemoryBound: 0
; FloatMode: 240
; IeeeMode: 1
; LDSByteSize: 0 bytes/workgroup (compile time only)
; SGPRBlocks: 0
; VGPRBlocks: 3
; NumSGPRsForWavesPerEU: 28
; NumVGPRsForWavesPerEU: 26
; Occupancy: 16
; WaveLimiterHint : 0
; COMPUTE_PGM_RSRC2:SCRATCH_EN: 0
; COMPUTE_PGM_RSRC2:USER_SGPR: 6
; COMPUTE_PGM_RSRC2:TRAP_HANDLER: 0
; COMPUTE_PGM_RSRC2:TGID_X_EN: 1
; COMPUTE_PGM_RSRC2:TGID_Y_EN: 1
; COMPUTE_PGM_RSRC2:TGID_Z_EN: 1
; COMPUTE_PGM_RSRC2:TIDIG_COMP_CNT: 1
	.section	.text._ZL13mul_mat_vec_qIL9ggml_type2ELi3ELb0ELb0EEvPKvS2_PKi31ggml_cuda_mm_fusion_args_devicePfj15HIP_vector_typeIjLj3EEjjjS8_jjjS8_jjjj,"axG",@progbits,_ZL13mul_mat_vec_qIL9ggml_type2ELi3ELb0ELb0EEvPKvS2_PKi31ggml_cuda_mm_fusion_args_devicePfj15HIP_vector_typeIjLj3EEjjjS8_jjjS8_jjjj,comdat
	.globl	_ZL13mul_mat_vec_qIL9ggml_type2ELi3ELb0ELb0EEvPKvS2_PKi31ggml_cuda_mm_fusion_args_devicePfj15HIP_vector_typeIjLj3EEjjjS8_jjjS8_jjjj ; -- Begin function _ZL13mul_mat_vec_qIL9ggml_type2ELi3ELb0ELb0EEvPKvS2_PKi31ggml_cuda_mm_fusion_args_devicePfj15HIP_vector_typeIjLj3EEjjjS8_jjjS8_jjjj
	.p2align	8
	.type	_ZL13mul_mat_vec_qIL9ggml_type2ELi3ELb0ELb0EEvPKvS2_PKi31ggml_cuda_mm_fusion_args_devicePfj15HIP_vector_typeIjLj3EEjjjS8_jjjS8_jjjj,@function
_ZL13mul_mat_vec_qIL9ggml_type2ELi3ELb0ELb0EEvPKvS2_PKi31ggml_cuda_mm_fusion_args_devicePfj15HIP_vector_typeIjLj3EEjjjS8_jjjS8_jjjj: ; @_ZL13mul_mat_vec_qIL9ggml_type2ELi3ELb0ELb0EEvPKvS2_PKi31ggml_cuda_mm_fusion_args_devicePfj15HIP_vector_typeIjLj3EEjjjS8_jjjS8_jjjj
; %bb.0:
	s_clause 0x5
	s_load_dwordx4 s[16:19], s[4:5], 0x80
	s_load_dword s9, s[4:5], 0x40
	s_load_dwordx4 s[0:3], s[4:5], 0x50
	s_load_dword s24, s[4:5], 0x60
	;; [unrolled: 2-line block ×3, first 2 shown]
	v_lshl_or_b32 v2, v1, 5, v0
	v_mov_b32_e32 v4, 0
	v_mov_b32_e32 v5, 0
	;; [unrolled: 1-line block ×3, first 2 shown]
	v_lshrrev_b16 v3, 1, v2
	v_and_b32_e32 v6, 0xffff, v3
	s_waitcnt lgkmcnt(0)
	s_lshr_b32 s19, s9, 5
	s_mov_b32 s9, exec_lo
	v_cmpx_gt_u32_e64 s19, v6
	s_cbranch_execz .LBB18_4
; %bb.1:
	s_load_dwordx4 s[20:23], s[4:5], 0x0
	v_lshlrev_b32_e32 v3, 1, v0
	s_mul_i32 s10, s17, s8
	s_mul_i32 s11, s13, s7
	s_mul_hi_u32 s13, s15, s8
	v_and_b32_e32 v5, 1, v0
	s_mul_hi_u32 s15, s10, 36
	v_and_b32_e32 v7, 2, v3
	s_mul_i32 s10, s10, 36
	v_lshrrev_b32_e32 v2, 1, v2
	s_mul_hi_u32 s17, s11, 36
	s_mul_i32 s11, s11, 36
	s_mul_hi_u32 s3, s3, s7
	v_lshlrev_b32_e32 v8, 3, v5
	v_lshlrev_b32_e32 v5, 1, v7
	s_mul_i32 s0, s0, s6
	v_mov_b32_e32 v4, 0
	v_lshlrev_b32_e32 v10, 2, v7
	v_mov_b32_e32 v7, 0
	v_lshlrev_b32_e32 v9, 1, v5
	s_waitcnt lgkmcnt(0)
	s_add_u32 s10, s22, s10
	s_addc_u32 s15, s23, s15
	s_add_u32 s10, s10, s11
	s_addc_u32 s11, s15, s17
	s_add_i32 s3, s7, s3
	s_add_i32 s13, s8, s13
	s_lshr_b32 s3, s3, s24
	v_mad_u64_u32 v[2:3], null, v2, 36, s[10:11]
	s_lshr_b32 s13, s13, s25
	s_mul_i32 s3, s3, s12
	v_mov_b32_e32 v5, 0
	s_mul_i32 s12, s13, s16
	s_add_i32 s3, s3, s0
	s_add_i32 s0, s12, s3
	s_lshl_b32 s12, s1, 1
	s_mov_b32 s3, 0
.LBB18_2:                               ; =>This Inner Loop Header: Depth=1
	v_add_nc_u32_e32 v13, s0, v6
	v_add_nc_u32_e32 v17, s12, v6
	;; [unrolled: 1-line block ×3, first 2 shown]
	v_add_co_u32 v11, vcc_lo, v2, v8
	v_mad_i64_i32 v[13:14], null, v13, 18, s[20:21]
	v_mad_u64_u32 v[17:18], null, v17, 36, s[10:11]
	v_mad_u64_u32 v[19:20], null, v19, 36, s[10:11]
	v_add_co_ci_u32_e64 v12, null, 0, v3, vcc_lo
	v_add_co_u32 v21, vcc_lo, v13, v9
	v_add_co_ci_u32_e64 v22, null, 0, v14, vcc_lo
	v_add_co_u32 v23, vcc_lo, v17, v10
	;; [unrolled: 2-line block ×3, first 2 shown]
	v_add_co_ci_u32_e64 v26, null, 0, v20, vcc_lo
	s_clause 0x2
	global_load_dword v31, v[2:3], off
	global_load_dwordx2 v[15:16], v[11:12], off offset:4
	global_load_dwordx2 v[11:12], v[11:12], off offset:20
	;; [unrolled: 1-line block ×3, first 2 shown]
	s_clause 0x5
	global_load_dwordx2 v[27:28], v[23:24], off offset:4
	global_load_dwordx2 v[23:24], v[23:24], off offset:20
	;; [unrolled: 1-line block ×4, first 2 shown]
	global_load_dword v17, v[17:18], off
	global_load_dword v18, v[19:20], off
	global_load_ushort v13, v[13:14], off
	v_mov_b32_e32 v14, 0
	v_mov_b32_e32 v19, 0
	;; [unrolled: 1-line block ×3, first 2 shown]
	v_add_nc_u32_e32 v6, 16, v6
	v_add_co_u32 v2, vcc_lo, 0x240, v2
	v_add_co_ci_u32_e64 v3, null, 0, v3, vcc_lo
	v_cmp_le_u32_e32 vcc_lo, s19, v6
	s_or_b32 s3, vcc_lo, s3
	s_waitcnt vmcnt(7)
	v_lshrrev_b32_e32 v33, 4, v21
	v_and_b32_e32 v21, 0xf0f0f0f, v21
	v_and_b32_e32 v34, 0xf0f0f0f, v22
	v_lshrrev_b32_e32 v22, 4, v22
	v_and_b32_e32 v33, 0xf0f0f0f, v33
	v_dot4c_i32_i8 v14, v21, v15
	s_waitcnt vmcnt(4)
	v_dot4c_i32_i8 v19, v21, v29
	v_dot4c_i32_i8 v20, v21, v27
	v_cvt_f32_f16_sdwa v32, v31 dst_sel:DWORD dst_unused:UNUSED_PAD src0_sel:WORD_1
	s_waitcnt vmcnt(1)
	v_cvt_f32_f16_sdwa v35, v18 dst_sel:DWORD dst_unused:UNUSED_PAD src0_sel:WORD_1
	v_dot4c_i32_i8 v14, v33, v11
	v_dot4c_i32_i8 v19, v33, v25
	;; [unrolled: 1-line block ×3, first 2 shown]
	v_and_b32_e32 v11, 0xf0f0f0f, v22
	v_cvt_f32_f16_sdwa v15, v17 dst_sel:DWORD dst_unused:UNUSED_PAD src0_sel:WORD_1
	v_dot4c_i32_i8 v14, v34, v16
	v_dot4c_i32_i8 v19, v34, v30
	;; [unrolled: 1-line block ×3, first 2 shown]
	v_mul_f32_e32 v32, 4.0, v32
	v_mul_f32_e32 v16, 4.0, v35
	v_dot4c_i32_i8 v14, v11, v12
	v_dot4c_i32_i8 v19, v11, v26
	;; [unrolled: 1-line block ×3, first 2 shown]
	v_mul_f32_e32 v11, 4.0, v15
	v_cvt_f32_i32_e32 v12, v14
	v_cvt_f32_i32_e32 v14, v19
	;; [unrolled: 1-line block ×3, first 2 shown]
	v_fma_mix_f32 v12, v12, v31, -v32 op_sel_hi:[0,1,0]
	v_fma_mix_f32 v14, v14, v18, -v16 op_sel_hi:[0,1,0]
	;; [unrolled: 1-line block ×3, first 2 shown]
	s_waitcnt vmcnt(0)
	v_fma_mix_f32 v7, v12, v13, v7 op_sel_hi:[0,1,0]
	v_fma_mix_f32 v5, v14, v13, v5 op_sel_hi:[0,1,0]
	;; [unrolled: 1-line block ×3, first 2 shown]
	s_andn2_b32 exec_lo, exec_lo, s3
	s_cbranch_execnz .LBB18_2
; %bb.3:
	s_or_b32 exec_lo, exec_lo, s3
.LBB18_4:
	s_or_b32 exec_lo, exec_lo, s9
	s_mov_b32 s1, 0
	; wave barrier
	buffer_gl0_inv
	s_mov_b32 s0, exec_lo
	v_cmpx_eq_u32_e32 0, v1
	s_cbranch_execz .LBB18_11
; %bb.5:
	v_mbcnt_lo_u32_b32 v8, -1, 0
	s_load_dwordx2 s[4:5], s[4:5], 0x38
	s_mul_i32 s0, s14, s7
	s_mul_i32 s3, s18, s8
	s_add_i32 s0, s0, s6
	v_xor_b32_e32 v1, 16, v8
	v_xor_b32_e32 v2, 8, v8
	s_add_i32 s0, s0, s3
	s_lshl_b64 s[0:1], s[0:1], 2
	v_cmp_gt_i32_e32 vcc_lo, 32, v1
	v_cndmask_b32_e32 v1, v8, v1, vcc_lo
	v_cmp_gt_i32_e32 vcc_lo, 32, v2
	v_lshlrev_b32_e32 v1, 2, v1
	v_cndmask_b32_e32 v2, v8, v2, vcc_lo
	s_waitcnt lgkmcnt(0)
	s_add_u32 s0, s4, s0
	s_addc_u32 s1, s5, s1
	ds_bpermute_b32 v3, v1, v7
	v_lshlrev_b32_e32 v2, 2, v2
	s_waitcnt lgkmcnt(0)
	v_add_f32_e32 v6, v7, v3
	v_xor_b32_e32 v3, 4, v8
	ds_bpermute_b32 v7, v2, v6
	v_cmp_gt_i32_e32 vcc_lo, 32, v3
	v_cndmask_b32_e32 v3, v8, v3, vcc_lo
	v_lshlrev_b32_e32 v3, 2, v3
	s_waitcnt lgkmcnt(0)
	v_add_f32_e32 v7, v6, v7
	v_xor_b32_e32 v6, 2, v8
	ds_bpermute_b32 v9, v3, v7
	v_cmp_gt_i32_e32 vcc_lo, 32, v6
	v_cndmask_b32_e32 v6, v8, v6, vcc_lo
	;; [unrolled: 7-line block ×3, first 2 shown]
	v_cmp_eq_u32_e32 vcc_lo, 0, v0
	v_lshlrev_b32_e32 v7, 2, v7
	s_waitcnt lgkmcnt(0)
	v_add_f32_e32 v8, v9, v10
	ds_bpermute_b32 v9, v7, v8
	s_and_saveexec_b32 s3, vcc_lo
	s_cbranch_execz .LBB18_7
; %bb.6:
	s_waitcnt lgkmcnt(0)
	v_add_f32_e32 v0, v8, v9
	v_mov_b32_e32 v8, 0
	global_store_dword v8, v0, s[0:1]
.LBB18_7:
	s_or_b32 exec_lo, exec_lo, s3
	ds_bpermute_b32 v0, v1, v5
	s_waitcnt lgkmcnt(0)
	v_add_f32_e32 v0, v5, v0
	ds_bpermute_b32 v5, v2, v0
	s_waitcnt lgkmcnt(0)
	v_add_f32_e32 v0, v0, v5
	;; [unrolled: 3-line block ×4, first 2 shown]
	ds_bpermute_b32 v5, v7, v0
	s_and_saveexec_b32 s4, vcc_lo
	s_cbranch_execz .LBB18_9
; %bb.8:
	s_mov_b32 s3, 0
	s_waitcnt lgkmcnt(0)
	v_add_f32_e32 v0, v0, v5
	s_lshl_b64 s[6:7], s[2:3], 2
	v_mov_b32_e32 v5, 0
	s_add_u32 s6, s0, s6
	s_addc_u32 s7, s1, s7
	global_store_dword v5, v0, s[6:7]
.LBB18_9:
	s_or_b32 exec_lo, exec_lo, s4
	ds_bpermute_b32 v0, v1, v4
	s_waitcnt lgkmcnt(0)
	v_add_f32_e32 v0, v4, v0
	ds_bpermute_b32 v1, v2, v0
	s_waitcnt lgkmcnt(0)
	v_add_f32_e32 v0, v0, v1
	;; [unrolled: 3-line block ×4, first 2 shown]
	ds_bpermute_b32 v1, v7, v0
	s_and_b32 exec_lo, exec_lo, vcc_lo
	s_cbranch_execz .LBB18_11
; %bb.10:
	s_lshl_b32 s2, s2, 1
	s_mov_b32 s3, 0
	s_waitcnt lgkmcnt(0)
	v_add_f32_e32 v0, v0, v1
	s_lshl_b64 s[2:3], s[2:3], 2
	v_mov_b32_e32 v1, 0
	s_add_u32 s0, s0, s2
	s_addc_u32 s1, s1, s3
	global_store_dword v1, v0, s[0:1]
.LBB18_11:
	s_endpgm
	.section	.rodata,"a",@progbits
	.p2align	6, 0x0
	.amdhsa_kernel _ZL13mul_mat_vec_qIL9ggml_type2ELi3ELb0ELb0EEvPKvS2_PKi31ggml_cuda_mm_fusion_args_devicePfj15HIP_vector_typeIjLj3EEjjjS8_jjjS8_jjjj
		.amdhsa_group_segment_fixed_size 0
		.amdhsa_private_segment_fixed_size 0
		.amdhsa_kernarg_size 144
		.amdhsa_user_sgpr_count 6
		.amdhsa_user_sgpr_private_segment_buffer 1
		.amdhsa_user_sgpr_dispatch_ptr 0
		.amdhsa_user_sgpr_queue_ptr 0
		.amdhsa_user_sgpr_kernarg_segment_ptr 1
		.amdhsa_user_sgpr_dispatch_id 0
		.amdhsa_user_sgpr_flat_scratch_init 0
		.amdhsa_user_sgpr_private_segment_size 0
		.amdhsa_wavefront_size32 1
		.amdhsa_uses_dynamic_stack 0
		.amdhsa_system_sgpr_private_segment_wavefront_offset 0
		.amdhsa_system_sgpr_workgroup_id_x 1
		.amdhsa_system_sgpr_workgroup_id_y 1
		.amdhsa_system_sgpr_workgroup_id_z 1
		.amdhsa_system_sgpr_workgroup_info 0
		.amdhsa_system_vgpr_workitem_id 1
		.amdhsa_next_free_vgpr 36
		.amdhsa_next_free_sgpr 26
		.amdhsa_reserve_vcc 1
		.amdhsa_reserve_flat_scratch 0
		.amdhsa_float_round_mode_32 0
		.amdhsa_float_round_mode_16_64 0
		.amdhsa_float_denorm_mode_32 3
		.amdhsa_float_denorm_mode_16_64 3
		.amdhsa_dx10_clamp 1
		.amdhsa_ieee_mode 1
		.amdhsa_fp16_overflow 0
		.amdhsa_workgroup_processor_mode 1
		.amdhsa_memory_ordered 1
		.amdhsa_forward_progress 1
		.amdhsa_shared_vgpr_count 0
		.amdhsa_exception_fp_ieee_invalid_op 0
		.amdhsa_exception_fp_denorm_src 0
		.amdhsa_exception_fp_ieee_div_zero 0
		.amdhsa_exception_fp_ieee_overflow 0
		.amdhsa_exception_fp_ieee_underflow 0
		.amdhsa_exception_fp_ieee_inexact 0
		.amdhsa_exception_int_div_zero 0
	.end_amdhsa_kernel
	.section	.text._ZL13mul_mat_vec_qIL9ggml_type2ELi3ELb0ELb0EEvPKvS2_PKi31ggml_cuda_mm_fusion_args_devicePfj15HIP_vector_typeIjLj3EEjjjS8_jjjS8_jjjj,"axG",@progbits,_ZL13mul_mat_vec_qIL9ggml_type2ELi3ELb0ELb0EEvPKvS2_PKi31ggml_cuda_mm_fusion_args_devicePfj15HIP_vector_typeIjLj3EEjjjS8_jjjS8_jjjj,comdat
.Lfunc_end18:
	.size	_ZL13mul_mat_vec_qIL9ggml_type2ELi3ELb0ELb0EEvPKvS2_PKi31ggml_cuda_mm_fusion_args_devicePfj15HIP_vector_typeIjLj3EEjjjS8_jjjS8_jjjj, .Lfunc_end18-_ZL13mul_mat_vec_qIL9ggml_type2ELi3ELb0ELb0EEvPKvS2_PKi31ggml_cuda_mm_fusion_args_devicePfj15HIP_vector_typeIjLj3EEjjjS8_jjjS8_jjjj
                                        ; -- End function
	.set _ZL13mul_mat_vec_qIL9ggml_type2ELi3ELb0ELb0EEvPKvS2_PKi31ggml_cuda_mm_fusion_args_devicePfj15HIP_vector_typeIjLj3EEjjjS8_jjjS8_jjjj.num_vgpr, 36
	.set _ZL13mul_mat_vec_qIL9ggml_type2ELi3ELb0ELb0EEvPKvS2_PKi31ggml_cuda_mm_fusion_args_devicePfj15HIP_vector_typeIjLj3EEjjjS8_jjjS8_jjjj.num_agpr, 0
	.set _ZL13mul_mat_vec_qIL9ggml_type2ELi3ELb0ELb0EEvPKvS2_PKi31ggml_cuda_mm_fusion_args_devicePfj15HIP_vector_typeIjLj3EEjjjS8_jjjS8_jjjj.numbered_sgpr, 26
	.set _ZL13mul_mat_vec_qIL9ggml_type2ELi3ELb0ELb0EEvPKvS2_PKi31ggml_cuda_mm_fusion_args_devicePfj15HIP_vector_typeIjLj3EEjjjS8_jjjS8_jjjj.num_named_barrier, 0
	.set _ZL13mul_mat_vec_qIL9ggml_type2ELi3ELb0ELb0EEvPKvS2_PKi31ggml_cuda_mm_fusion_args_devicePfj15HIP_vector_typeIjLj3EEjjjS8_jjjS8_jjjj.private_seg_size, 0
	.set _ZL13mul_mat_vec_qIL9ggml_type2ELi3ELb0ELb0EEvPKvS2_PKi31ggml_cuda_mm_fusion_args_devicePfj15HIP_vector_typeIjLj3EEjjjS8_jjjS8_jjjj.uses_vcc, 1
	.set _ZL13mul_mat_vec_qIL9ggml_type2ELi3ELb0ELb0EEvPKvS2_PKi31ggml_cuda_mm_fusion_args_devicePfj15HIP_vector_typeIjLj3EEjjjS8_jjjS8_jjjj.uses_flat_scratch, 0
	.set _ZL13mul_mat_vec_qIL9ggml_type2ELi3ELb0ELb0EEvPKvS2_PKi31ggml_cuda_mm_fusion_args_devicePfj15HIP_vector_typeIjLj3EEjjjS8_jjjS8_jjjj.has_dyn_sized_stack, 0
	.set _ZL13mul_mat_vec_qIL9ggml_type2ELi3ELb0ELb0EEvPKvS2_PKi31ggml_cuda_mm_fusion_args_devicePfj15HIP_vector_typeIjLj3EEjjjS8_jjjS8_jjjj.has_recursion, 0
	.set _ZL13mul_mat_vec_qIL9ggml_type2ELi3ELb0ELb0EEvPKvS2_PKi31ggml_cuda_mm_fusion_args_devicePfj15HIP_vector_typeIjLj3EEjjjS8_jjjS8_jjjj.has_indirect_call, 0
	.section	.AMDGPU.csdata,"",@progbits
; Kernel info:
; codeLenInByte = 1228
; TotalNumSgprs: 28
; NumVgprs: 36
; ScratchSize: 0
; MemoryBound: 0
; FloatMode: 240
; IeeeMode: 1
; LDSByteSize: 0 bytes/workgroup (compile time only)
; SGPRBlocks: 0
; VGPRBlocks: 4
; NumSGPRsForWavesPerEU: 28
; NumVGPRsForWavesPerEU: 36
; Occupancy: 16
; WaveLimiterHint : 0
; COMPUTE_PGM_RSRC2:SCRATCH_EN: 0
; COMPUTE_PGM_RSRC2:USER_SGPR: 6
; COMPUTE_PGM_RSRC2:TRAP_HANDLER: 0
; COMPUTE_PGM_RSRC2:TGID_X_EN: 1
; COMPUTE_PGM_RSRC2:TGID_Y_EN: 1
; COMPUTE_PGM_RSRC2:TGID_Z_EN: 1
; COMPUTE_PGM_RSRC2:TIDIG_COMP_CNT: 1
	.section	.text._ZL13mul_mat_vec_qIL9ggml_type2ELi4ELb0ELb0EEvPKvS2_PKi31ggml_cuda_mm_fusion_args_devicePfj15HIP_vector_typeIjLj3EEjjjS8_jjjS8_jjjj,"axG",@progbits,_ZL13mul_mat_vec_qIL9ggml_type2ELi4ELb0ELb0EEvPKvS2_PKi31ggml_cuda_mm_fusion_args_devicePfj15HIP_vector_typeIjLj3EEjjjS8_jjjS8_jjjj,comdat
	.globl	_ZL13mul_mat_vec_qIL9ggml_type2ELi4ELb0ELb0EEvPKvS2_PKi31ggml_cuda_mm_fusion_args_devicePfj15HIP_vector_typeIjLj3EEjjjS8_jjjS8_jjjj ; -- Begin function _ZL13mul_mat_vec_qIL9ggml_type2ELi4ELb0ELb0EEvPKvS2_PKi31ggml_cuda_mm_fusion_args_devicePfj15HIP_vector_typeIjLj3EEjjjS8_jjjS8_jjjj
	.p2align	8
	.type	_ZL13mul_mat_vec_qIL9ggml_type2ELi4ELb0ELb0EEvPKvS2_PKi31ggml_cuda_mm_fusion_args_devicePfj15HIP_vector_typeIjLj3EEjjjS8_jjjS8_jjjj,@function
_ZL13mul_mat_vec_qIL9ggml_type2ELi4ELb0ELb0EEvPKvS2_PKi31ggml_cuda_mm_fusion_args_devicePfj15HIP_vector_typeIjLj3EEjjjS8_jjjS8_jjjj: ; @_ZL13mul_mat_vec_qIL9ggml_type2ELi4ELb0ELb0EEvPKvS2_PKi31ggml_cuda_mm_fusion_args_devicePfj15HIP_vector_typeIjLj3EEjjjS8_jjjS8_jjjj
; %bb.0:
	s_clause 0x5
	s_load_dwordx4 s[16:19], s[4:5], 0x80
	s_load_dword s9, s[4:5], 0x40
	s_load_dwordx4 s[0:3], s[4:5], 0x50
	s_load_dword s24, s[4:5], 0x60
	;; [unrolled: 2-line block ×3, first 2 shown]
	v_lshl_or_b32 v2, v1, 5, v0
	v_mov_b32_e32 v4, 0
	v_mov_b32_e32 v5, 0
	;; [unrolled: 1-line block ×4, first 2 shown]
	v_lshrrev_b16 v3, 1, v2
	v_and_b32_e32 v7, 0xffff, v3
	s_waitcnt lgkmcnt(0)
	s_lshr_b32 s19, s9, 5
	s_mov_b32 s9, exec_lo
	v_cmpx_gt_u32_e64 s19, v7
	s_cbranch_execz .LBB19_4
; %bb.1:
	s_load_dwordx4 s[20:23], s[4:5], 0x0
	v_lshlrev_b32_e32 v3, 1, v0
	s_mul_i32 s10, s17, s8
	s_mul_i32 s11, s13, s7
	s_mul_hi_u32 s13, s15, s8
	s_mul_hi_u32 s15, s10, 36
	v_and_b32_e32 v5, 2, v3
	s_mul_i32 s10, s10, 36
	v_and_b32_e32 v3, 1, v0
	v_lshrrev_b32_e32 v2, 1, v2
	s_mul_hi_u32 s17, s11, 36
	s_mul_i32 s11, s11, 36
	s_mul_hi_u32 s3, s3, s7
	v_lshlrev_b32_e32 v6, 1, v5
	v_lshlrev_b32_e32 v9, 3, v3
	s_mul_i32 s0, s0, s6
	v_mov_b32_e32 v4, 0
	v_lshlrev_b32_e32 v11, 2, v5
	v_lshlrev_b32_e32 v10, 1, v6
	v_mov_b32_e32 v5, 0
	s_waitcnt lgkmcnt(0)
	s_add_u32 s10, s22, s10
	s_addc_u32 s15, s23, s15
	s_add_u32 s10, s10, s11
	s_addc_u32 s11, s15, s17
	s_add_i32 s3, s7, s3
	s_add_i32 s13, s8, s13
	s_lshr_b32 s3, s3, s24
	v_mad_u64_u32 v[2:3], null, v2, 36, s[10:11]
	s_lshr_b32 s13, s13, s25
	s_mul_i32 s3, s3, s12
	v_mov_b32_e32 v8, 0
	v_mov_b32_e32 v6, 0
	s_mul_i32 s12, s13, s16
	s_add_i32 s3, s3, s0
	s_mul_i32 s13, s1, 3
	s_add_i32 s0, s12, s3
	s_lshl_b32 s3, s1, 1
	s_mov_b32 s12, 0
.LBB19_2:                               ; =>This Inner Loop Header: Depth=1
	v_add_nc_u32_e32 v14, s0, v7
	v_add_nc_u32_e32 v18, s1, v7
	;; [unrolled: 1-line block ×4, first 2 shown]
	v_add_co_u32 v12, vcc_lo, v2, v9
	v_mad_i64_i32 v[14:15], null, v14, 18, s[20:21]
	v_mad_u64_u32 v[18:19], null, v18, 36, s[10:11]
	v_mad_u64_u32 v[20:21], null, v20, 36, s[10:11]
	;; [unrolled: 1-line block ×3, first 2 shown]
	v_add_co_ci_u32_e64 v13, null, 0, v3, vcc_lo
	v_add_co_u32 v24, vcc_lo, v14, v10
	v_add_co_ci_u32_e64 v25, null, 0, v15, vcc_lo
	v_add_co_u32 v26, vcc_lo, v18, v11
	v_add_co_ci_u32_e64 v27, null, 0, v19, vcc_lo
	v_add_co_u32 v28, vcc_lo, v20, v11
	v_add_co_ci_u32_e64 v29, null, 0, v21, vcc_lo
	v_add_co_u32 v30, vcc_lo, v22, v11
	s_clause 0x2
	global_load_dword v34, v[2:3], off
	global_load_dwordx2 v[16:17], v[12:13], off offset:4
	global_load_dwordx2 v[12:13], v[12:13], off offset:20
	v_add_co_ci_u32_e64 v31, null, 0, v23, vcc_lo
	global_load_dwordx2 v[24:25], v[24:25], off offset:2
	s_clause 0x8
	global_load_dwordx2 v[32:33], v[26:27], off offset:4
	global_load_dwordx2 v[26:27], v[26:27], off offset:20
	global_load_dword v35, v[20:21], off
	global_load_dword v36, v[18:19], off
	global_load_dwordx2 v[18:19], v[30:31], off offset:20
	global_load_dwordx2 v[20:21], v[28:29], off offset:4
	;; [unrolled: 1-line block ×4, first 2 shown]
	global_load_dword v22, v[22:23], off
	global_load_ushort v14, v[14:15], off
	v_mov_b32_e32 v15, 0
	v_mov_b32_e32 v23, 0
	;; [unrolled: 1-line block ×4, first 2 shown]
	v_add_nc_u32_e32 v7, 16, v7
	v_add_co_u32 v2, vcc_lo, 0x240, v2
	v_add_co_ci_u32_e64 v3, null, 0, v3, vcc_lo
	v_cmp_le_u32_e32 vcc_lo, s19, v7
	s_or_b32 s12, vcc_lo, s12
	s_waitcnt vmcnt(10)
	v_and_b32_e32 v40, 0xf0f0f0f, v24
	v_lshrrev_b32_e32 v24, 4, v24
	v_and_b32_e32 v41, 0xf0f0f0f, v25
	v_lshrrev_b32_e32 v25, 4, v25
	s_waitcnt vmcnt(6)
	v_cvt_f32_f16_sdwa v42, v36 dst_sel:DWORD dst_unused:UNUSED_PAD src0_sel:WORD_1
	v_dot4c_i32_i8 v23, v40, v32
	v_and_b32_e32 v24, 0xf0f0f0f, v24
	v_dot4c_i32_i8 v15, v40, v16
	s_waitcnt vmcnt(4)
	v_dot4c_i32_i8 v37, v40, v20
	s_waitcnt vmcnt(2)
	v_dot4c_i32_i8 v38, v40, v30
	v_and_b32_e32 v25, 0xf0f0f0f, v25
	v_dot4c_i32_i8 v23, v24, v26
	v_dot4c_i32_i8 v15, v24, v12
	v_dot4c_i32_i8 v37, v24, v28
	v_dot4c_i32_i8 v38, v24, v18
	v_cvt_f32_f16_sdwa v39, v34 dst_sel:DWORD dst_unused:UNUSED_PAD src0_sel:WORD_1
	v_dot4c_i32_i8 v23, v41, v33
	v_dot4c_i32_i8 v15, v41, v17
	;; [unrolled: 1-line block ×4, first 2 shown]
	v_cvt_f32_f16_sdwa v43, v35 dst_sel:DWORD dst_unused:UNUSED_PAD src0_sel:WORD_1
	s_waitcnt vmcnt(1)
	v_cvt_f32_f16_sdwa v44, v22 dst_sel:DWORD dst_unused:UNUSED_PAD src0_sel:WORD_1
	v_dot4c_i32_i8 v15, v25, v13
	v_dot4c_i32_i8 v23, v25, v27
	;; [unrolled: 1-line block ×4, first 2 shown]
	v_mul_f32_e32 v39, 4.0, v39
	v_mul_f32_e32 v16, 4.0, v42
	;; [unrolled: 1-line block ×4, first 2 shown]
	v_cvt_f32_i32_e32 v12, v15
	v_cvt_f32_i32_e32 v13, v23
	;; [unrolled: 1-line block ×4, first 2 shown]
	v_fma_mix_f32 v12, v12, v34, -v39 op_sel_hi:[0,1,0]
	v_fma_mix_f32 v13, v13, v36, -v16 op_sel_hi:[0,1,0]
	;; [unrolled: 1-line block ×4, first 2 shown]
	s_waitcnt vmcnt(0)
	v_fma_mix_f32 v8, v12, v14, v8 op_sel_hi:[0,1,0]
	v_fma_mix_f32 v6, v13, v14, v6 op_sel_hi:[0,1,0]
	;; [unrolled: 1-line block ×4, first 2 shown]
	s_andn2_b32 exec_lo, exec_lo, s12
	s_cbranch_execnz .LBB19_2
; %bb.3:
	s_or_b32 exec_lo, exec_lo, s12
.LBB19_4:
	s_or_b32 exec_lo, exec_lo, s9
	s_mov_b32 s1, 0
	; wave barrier
	buffer_gl0_inv
	s_mov_b32 s0, exec_lo
	v_cmpx_eq_u32_e32 0, v1
	s_cbranch_execz .LBB19_13
; %bb.5:
	v_mbcnt_lo_u32_b32 v9, -1, 0
	s_load_dwordx2 s[4:5], s[4:5], 0x38
	s_mul_i32 s0, s14, s7
	s_mul_i32 s3, s18, s8
	s_add_i32 s0, s0, s6
	v_xor_b32_e32 v1, 16, v9
	v_xor_b32_e32 v2, 8, v9
	s_add_i32 s0, s0, s3
	s_lshl_b64 s[0:1], s[0:1], 2
	v_cmp_gt_i32_e32 vcc_lo, 32, v1
	v_cndmask_b32_e32 v1, v9, v1, vcc_lo
	v_cmp_gt_i32_e32 vcc_lo, 32, v2
	v_lshlrev_b32_e32 v1, 2, v1
	v_cndmask_b32_e32 v2, v9, v2, vcc_lo
	s_waitcnt lgkmcnt(0)
	s_add_u32 s0, s4, s0
	s_addc_u32 s1, s5, s1
	ds_bpermute_b32 v3, v1, v8
	v_lshlrev_b32_e32 v2, 2, v2
	s_waitcnt lgkmcnt(0)
	v_add_f32_e32 v7, v8, v3
	v_xor_b32_e32 v3, 4, v9
	ds_bpermute_b32 v8, v2, v7
	v_cmp_gt_i32_e32 vcc_lo, 32, v3
	v_cndmask_b32_e32 v3, v9, v3, vcc_lo
	v_lshlrev_b32_e32 v3, 2, v3
	s_waitcnt lgkmcnt(0)
	v_add_f32_e32 v8, v7, v8
	v_xor_b32_e32 v7, 2, v9
	ds_bpermute_b32 v10, v3, v8
	v_cmp_gt_i32_e32 vcc_lo, 32, v7
	v_cndmask_b32_e32 v7, v9, v7, vcc_lo
	;; [unrolled: 7-line block ×3, first 2 shown]
	v_cmp_eq_u32_e32 vcc_lo, 0, v0
	v_lshlrev_b32_e32 v8, 2, v8
	s_waitcnt lgkmcnt(0)
	v_add_f32_e32 v9, v10, v11
	ds_bpermute_b32 v10, v8, v9
	s_and_saveexec_b32 s3, vcc_lo
	s_cbranch_execz .LBB19_7
; %bb.6:
	s_waitcnt lgkmcnt(0)
	v_add_f32_e32 v0, v9, v10
	v_mov_b32_e32 v9, 0
	global_store_dword v9, v0, s[0:1]
.LBB19_7:
	s_or_b32 exec_lo, exec_lo, s3
	ds_bpermute_b32 v0, v1, v6
	s_waitcnt lgkmcnt(0)
	v_add_f32_e32 v0, v6, v0
	ds_bpermute_b32 v6, v2, v0
	s_waitcnt lgkmcnt(0)
	v_add_f32_e32 v0, v0, v6
	ds_bpermute_b32 v6, v3, v0
	s_waitcnt lgkmcnt(0)
	v_add_f32_e32 v0, v0, v6
	ds_bpermute_b32 v6, v7, v0
	s_waitcnt lgkmcnt(0)
	v_add_f32_e32 v0, v0, v6
	ds_bpermute_b32 v6, v8, v0
	s_and_saveexec_b32 s4, vcc_lo
	s_cbranch_execz .LBB19_9
; %bb.8:
	s_mov_b32 s3, 0
	s_waitcnt lgkmcnt(0)
	v_add_f32_e32 v0, v0, v6
	s_lshl_b64 s[6:7], s[2:3], 2
	v_mov_b32_e32 v6, 0
	s_add_u32 s6, s0, s6
	s_addc_u32 s7, s1, s7
	global_store_dword v6, v0, s[6:7]
.LBB19_9:
	s_or_b32 exec_lo, exec_lo, s4
	ds_bpermute_b32 v0, v1, v5
	s_waitcnt lgkmcnt(0)
	v_add_f32_e32 v0, v5, v0
	ds_bpermute_b32 v5, v2, v0
	s_waitcnt lgkmcnt(0)
	v_add_f32_e32 v0, v0, v5
	ds_bpermute_b32 v5, v3, v0
	s_waitcnt lgkmcnt(0)
	v_add_f32_e32 v0, v0, v5
	ds_bpermute_b32 v5, v7, v0
	s_waitcnt lgkmcnt(0)
	v_add_f32_e32 v0, v0, v5
	ds_bpermute_b32 v5, v8, v0
	s_and_saveexec_b32 s3, vcc_lo
	s_cbranch_execz .LBB19_11
; %bb.10:
	s_lshl_b32 s4, s2, 1
	s_mov_b32 s5, 0
	s_waitcnt lgkmcnt(0)
	v_add_f32_e32 v0, v0, v5
	s_lshl_b64 s[4:5], s[4:5], 2
	v_mov_b32_e32 v5, 0
	s_add_u32 s4, s0, s4
	s_addc_u32 s5, s1, s5
	global_store_dword v5, v0, s[4:5]
.LBB19_11:
	s_or_b32 exec_lo, exec_lo, s3
	ds_bpermute_b32 v0, v1, v4
	s_waitcnt lgkmcnt(0)
	v_add_f32_e32 v0, v4, v0
	ds_bpermute_b32 v1, v2, v0
	s_waitcnt lgkmcnt(0)
	v_add_f32_e32 v0, v0, v1
	ds_bpermute_b32 v1, v3, v0
	s_waitcnt lgkmcnt(0)
	v_add_f32_e32 v0, v0, v1
	ds_bpermute_b32 v1, v7, v0
	s_waitcnt lgkmcnt(0)
	v_add_f32_e32 v0, v0, v1
	ds_bpermute_b32 v1, v8, v0
	s_and_b32 exec_lo, exec_lo, vcc_lo
	s_cbranch_execz .LBB19_13
; %bb.12:
	s_mul_i32 s2, s2, 3
	s_mov_b32 s3, 0
	s_waitcnt lgkmcnt(0)
	v_add_f32_e32 v0, v0, v1
	s_lshl_b64 s[2:3], s[2:3], 2
	v_mov_b32_e32 v1, 0
	s_add_u32 s0, s0, s2
	s_addc_u32 s1, s1, s3
	global_store_dword v1, v0, s[0:1]
.LBB19_13:
	s_endpgm
	.section	.rodata,"a",@progbits
	.p2align	6, 0x0
	.amdhsa_kernel _ZL13mul_mat_vec_qIL9ggml_type2ELi4ELb0ELb0EEvPKvS2_PKi31ggml_cuda_mm_fusion_args_devicePfj15HIP_vector_typeIjLj3EEjjjS8_jjjS8_jjjj
		.amdhsa_group_segment_fixed_size 0
		.amdhsa_private_segment_fixed_size 0
		.amdhsa_kernarg_size 144
		.amdhsa_user_sgpr_count 6
		.amdhsa_user_sgpr_private_segment_buffer 1
		.amdhsa_user_sgpr_dispatch_ptr 0
		.amdhsa_user_sgpr_queue_ptr 0
		.amdhsa_user_sgpr_kernarg_segment_ptr 1
		.amdhsa_user_sgpr_dispatch_id 0
		.amdhsa_user_sgpr_flat_scratch_init 0
		.amdhsa_user_sgpr_private_segment_size 0
		.amdhsa_wavefront_size32 1
		.amdhsa_uses_dynamic_stack 0
		.amdhsa_system_sgpr_private_segment_wavefront_offset 0
		.amdhsa_system_sgpr_workgroup_id_x 1
		.amdhsa_system_sgpr_workgroup_id_y 1
		.amdhsa_system_sgpr_workgroup_id_z 1
		.amdhsa_system_sgpr_workgroup_info 0
		.amdhsa_system_vgpr_workitem_id 1
		.amdhsa_next_free_vgpr 45
		.amdhsa_next_free_sgpr 26
		.amdhsa_reserve_vcc 1
		.amdhsa_reserve_flat_scratch 0
		.amdhsa_float_round_mode_32 0
		.amdhsa_float_round_mode_16_64 0
		.amdhsa_float_denorm_mode_32 3
		.amdhsa_float_denorm_mode_16_64 3
		.amdhsa_dx10_clamp 1
		.amdhsa_ieee_mode 1
		.amdhsa_fp16_overflow 0
		.amdhsa_workgroup_processor_mode 1
		.amdhsa_memory_ordered 1
		.amdhsa_forward_progress 1
		.amdhsa_shared_vgpr_count 0
		.amdhsa_exception_fp_ieee_invalid_op 0
		.amdhsa_exception_fp_denorm_src 0
		.amdhsa_exception_fp_ieee_div_zero 0
		.amdhsa_exception_fp_ieee_overflow 0
		.amdhsa_exception_fp_ieee_underflow 0
		.amdhsa_exception_fp_ieee_inexact 0
		.amdhsa_exception_int_div_zero 0
	.end_amdhsa_kernel
	.section	.text._ZL13mul_mat_vec_qIL9ggml_type2ELi4ELb0ELb0EEvPKvS2_PKi31ggml_cuda_mm_fusion_args_devicePfj15HIP_vector_typeIjLj3EEjjjS8_jjjS8_jjjj,"axG",@progbits,_ZL13mul_mat_vec_qIL9ggml_type2ELi4ELb0ELb0EEvPKvS2_PKi31ggml_cuda_mm_fusion_args_devicePfj15HIP_vector_typeIjLj3EEjjjS8_jjjS8_jjjj,comdat
.Lfunc_end19:
	.size	_ZL13mul_mat_vec_qIL9ggml_type2ELi4ELb0ELb0EEvPKvS2_PKi31ggml_cuda_mm_fusion_args_devicePfj15HIP_vector_typeIjLj3EEjjjS8_jjjS8_jjjj, .Lfunc_end19-_ZL13mul_mat_vec_qIL9ggml_type2ELi4ELb0ELb0EEvPKvS2_PKi31ggml_cuda_mm_fusion_args_devicePfj15HIP_vector_typeIjLj3EEjjjS8_jjjS8_jjjj
                                        ; -- End function
	.set _ZL13mul_mat_vec_qIL9ggml_type2ELi4ELb0ELb0EEvPKvS2_PKi31ggml_cuda_mm_fusion_args_devicePfj15HIP_vector_typeIjLj3EEjjjS8_jjjS8_jjjj.num_vgpr, 45
	.set _ZL13mul_mat_vec_qIL9ggml_type2ELi4ELb0ELb0EEvPKvS2_PKi31ggml_cuda_mm_fusion_args_devicePfj15HIP_vector_typeIjLj3EEjjjS8_jjjS8_jjjj.num_agpr, 0
	.set _ZL13mul_mat_vec_qIL9ggml_type2ELi4ELb0ELb0EEvPKvS2_PKi31ggml_cuda_mm_fusion_args_devicePfj15HIP_vector_typeIjLj3EEjjjS8_jjjS8_jjjj.numbered_sgpr, 26
	.set _ZL13mul_mat_vec_qIL9ggml_type2ELi4ELb0ELb0EEvPKvS2_PKi31ggml_cuda_mm_fusion_args_devicePfj15HIP_vector_typeIjLj3EEjjjS8_jjjS8_jjjj.num_named_barrier, 0
	.set _ZL13mul_mat_vec_qIL9ggml_type2ELi4ELb0ELb0EEvPKvS2_PKi31ggml_cuda_mm_fusion_args_devicePfj15HIP_vector_typeIjLj3EEjjjS8_jjjS8_jjjj.private_seg_size, 0
	.set _ZL13mul_mat_vec_qIL9ggml_type2ELi4ELb0ELb0EEvPKvS2_PKi31ggml_cuda_mm_fusion_args_devicePfj15HIP_vector_typeIjLj3EEjjjS8_jjjS8_jjjj.uses_vcc, 1
	.set _ZL13mul_mat_vec_qIL9ggml_type2ELi4ELb0ELb0EEvPKvS2_PKi31ggml_cuda_mm_fusion_args_devicePfj15HIP_vector_typeIjLj3EEjjjS8_jjjS8_jjjj.uses_flat_scratch, 0
	.set _ZL13mul_mat_vec_qIL9ggml_type2ELi4ELb0ELb0EEvPKvS2_PKi31ggml_cuda_mm_fusion_args_devicePfj15HIP_vector_typeIjLj3EEjjjS8_jjjS8_jjjj.has_dyn_sized_stack, 0
	.set _ZL13mul_mat_vec_qIL9ggml_type2ELi4ELb0ELb0EEvPKvS2_PKi31ggml_cuda_mm_fusion_args_devicePfj15HIP_vector_typeIjLj3EEjjjS8_jjjS8_jjjj.has_recursion, 0
	.set _ZL13mul_mat_vec_qIL9ggml_type2ELi4ELb0ELb0EEvPKvS2_PKi31ggml_cuda_mm_fusion_args_devicePfj15HIP_vector_typeIjLj3EEjjjS8_jjjS8_jjjj.has_indirect_call, 0
	.section	.AMDGPU.csdata,"",@progbits
; Kernel info:
; codeLenInByte = 1476
; TotalNumSgprs: 28
; NumVgprs: 45
; ScratchSize: 0
; MemoryBound: 0
; FloatMode: 240
; IeeeMode: 1
; LDSByteSize: 0 bytes/workgroup (compile time only)
; SGPRBlocks: 0
; VGPRBlocks: 5
; NumSGPRsForWavesPerEU: 28
; NumVGPRsForWavesPerEU: 45
; Occupancy: 16
; WaveLimiterHint : 0
; COMPUTE_PGM_RSRC2:SCRATCH_EN: 0
; COMPUTE_PGM_RSRC2:USER_SGPR: 6
; COMPUTE_PGM_RSRC2:TRAP_HANDLER: 0
; COMPUTE_PGM_RSRC2:TGID_X_EN: 1
; COMPUTE_PGM_RSRC2:TGID_Y_EN: 1
; COMPUTE_PGM_RSRC2:TGID_Z_EN: 1
; COMPUTE_PGM_RSRC2:TIDIG_COMP_CNT: 1
	.section	.text._ZL13mul_mat_vec_qIL9ggml_type2ELi5ELb0ELb0EEvPKvS2_PKi31ggml_cuda_mm_fusion_args_devicePfj15HIP_vector_typeIjLj3EEjjjS8_jjjS8_jjjj,"axG",@progbits,_ZL13mul_mat_vec_qIL9ggml_type2ELi5ELb0ELb0EEvPKvS2_PKi31ggml_cuda_mm_fusion_args_devicePfj15HIP_vector_typeIjLj3EEjjjS8_jjjS8_jjjj,comdat
	.globl	_ZL13mul_mat_vec_qIL9ggml_type2ELi5ELb0ELb0EEvPKvS2_PKi31ggml_cuda_mm_fusion_args_devicePfj15HIP_vector_typeIjLj3EEjjjS8_jjjS8_jjjj ; -- Begin function _ZL13mul_mat_vec_qIL9ggml_type2ELi5ELb0ELb0EEvPKvS2_PKi31ggml_cuda_mm_fusion_args_devicePfj15HIP_vector_typeIjLj3EEjjjS8_jjjS8_jjjj
	.p2align	8
	.type	_ZL13mul_mat_vec_qIL9ggml_type2ELi5ELb0ELb0EEvPKvS2_PKi31ggml_cuda_mm_fusion_args_devicePfj15HIP_vector_typeIjLj3EEjjjS8_jjjS8_jjjj,@function
_ZL13mul_mat_vec_qIL9ggml_type2ELi5ELb0ELb0EEvPKvS2_PKi31ggml_cuda_mm_fusion_args_devicePfj15HIP_vector_typeIjLj3EEjjjS8_jjjS8_jjjj: ; @_ZL13mul_mat_vec_qIL9ggml_type2ELi5ELb0ELb0EEvPKvS2_PKi31ggml_cuda_mm_fusion_args_devicePfj15HIP_vector_typeIjLj3EEjjjS8_jjjS8_jjjj
; %bb.0:
	s_clause 0x5
	s_load_dwordx4 s[16:19], s[4:5], 0x80
	s_load_dword s9, s[4:5], 0x40
	s_load_dwordx4 s[0:3], s[4:5], 0x50
	s_load_dword s24, s[4:5], 0x60
	;; [unrolled: 2-line block ×3, first 2 shown]
	v_lshl_or_b32 v2, v1, 5, v0
	v_mov_b32_e32 v4, 0
	v_mov_b32_e32 v5, 0
	;; [unrolled: 1-line block ×4, first 2 shown]
	v_lshrrev_b16 v3, 1, v2
	v_mov_b32_e32 v9, 0
	v_and_b32_e32 v8, 0xffff, v3
	s_waitcnt lgkmcnt(0)
	s_lshr_b32 s19, s9, 5
	s_mov_b32 s9, exec_lo
	v_cmpx_gt_u32_e64 s19, v8
	s_cbranch_execz .LBB20_4
; %bb.1:
	s_load_dwordx4 s[20:23], s[4:5], 0x0
	v_lshlrev_b32_e32 v3, 1, v0
	s_mul_i32 s10, s17, s8
	s_mul_i32 s11, s13, s7
	;; [unrolled: 1-line block ×3, first 2 shown]
	s_mul_hi_u32 s0, s3, s7
	s_mul_hi_u32 s3, s15, s8
	v_and_b32_e32 v5, 1, v0
	s_mul_hi_u32 s15, s10, 36
	v_and_b32_e32 v6, 2, v3
	s_mul_i32 s10, s10, 36
	v_lshrrev_b32_e32 v2, 1, v2
	s_mul_hi_u32 s17, s11, 36
	s_mul_i32 s11, s11, 36
	v_lshlrev_b32_e32 v10, 3, v5
	v_lshlrev_b32_e32 v5, 1, v6
	v_mov_b32_e32 v4, 0
	v_lshlrev_b32_e32 v12, 2, v6
	v_mov_b32_e32 v6, 0
	v_mov_b32_e32 v7, 0
	s_waitcnt lgkmcnt(0)
	s_add_u32 s10, s22, s10
	s_addc_u32 s15, s23, s15
	s_add_u32 s10, s10, s11
	s_addc_u32 s11, s15, s17
	s_add_i32 s15, s7, s0
	s_add_i32 s3, s8, s3
	s_lshr_b32 s15, s15, s24
	v_mad_u64_u32 v[2:3], null, v2, 36, s[10:11]
	s_lshr_b32 s3, s3, s25
	s_mul_i32 s12, s15, s12
	v_lshlrev_b32_e32 v11, 1, v5
	v_mov_b32_e32 v5, 0
	v_mov_b32_e32 v9, 0
	s_mul_i32 s3, s3, s16
	s_add_i32 s12, s12, s13
	s_lshl_b32 s0, s1, 1
	s_add_i32 s3, s3, s12
	s_mul_i32 s12, s1, 3
	s_lshl_b32 s15, s1, 2
	s_mov_b32 s13, 0
.LBB20_2:                               ; =>This Inner Loop Header: Depth=1
	v_add_nc_u32_e32 v15, s3, v8
	v_add_nc_u32_e32 v19, s1, v8
	;; [unrolled: 1-line block ×5, first 2 shown]
	v_mad_i64_i32 v[15:16], null, v15, 18, s[20:21]
	v_mad_u64_u32 v[19:20], null, v19, 36, s[10:11]
	v_mad_u64_u32 v[21:22], null, v21, 36, s[10:11]
	v_add_co_u32 v13, vcc_lo, v2, v10
	v_mad_u64_u32 v[23:24], null, v23, 36, s[10:11]
	v_add_co_ci_u32_e64 v14, null, 0, v3, vcc_lo
	v_mad_u64_u32 v[25:26], null, v25, 36, s[10:11]
	v_add_co_u32 v27, vcc_lo, v15, v11
	v_add_co_ci_u32_e64 v28, null, 0, v16, vcc_lo
	v_add_co_u32 v29, vcc_lo, v19, v12
	v_add_co_ci_u32_e64 v30, null, 0, v20, vcc_lo
	;; [unrolled: 2-line block ×4, first 2 shown]
	v_add_co_u32 v35, vcc_lo, v25, v12
	s_clause 0x2
	global_load_dword v39, v[2:3], off
	global_load_dwordx2 v[17:18], v[13:14], off offset:4
	global_load_dwordx2 v[13:14], v[13:14], off offset:20
	v_add_co_ci_u32_e64 v36, null, 0, v26, vcc_lo
	global_load_dwordx2 v[27:28], v[27:28], off offset:2
	s_clause 0xb
	global_load_dwordx2 v[37:38], v[29:30], off offset:4
	global_load_dwordx2 v[29:30], v[29:30], off offset:20
	global_load_dword v40, v[21:22], off
	global_load_dword v41, v[19:20], off
	global_load_dwordx2 v[19:20], v[31:32], off offset:4
	global_load_dwordx2 v[21:22], v[31:32], off offset:20
	;; [unrolled: 1-line block ×3, first 2 shown]
	global_load_dword v42, v[23:24], off
	global_load_dwordx2 v[23:24], v[33:34], off offset:20
	global_load_dwordx2 v[33:34], v[35:36], off offset:4
	;; [unrolled: 1-line block ×3, first 2 shown]
	global_load_dword v25, v[25:26], off
	global_load_ushort v15, v[15:16], off
	v_mov_b32_e32 v16, 0
	v_mov_b32_e32 v26, 0
	v_mov_b32_e32 v43, 0
	v_mov_b32_e32 v44, 0
	v_mov_b32_e32 v45, 0
	v_add_nc_u32_e32 v8, 16, v8
	v_add_co_u32 v2, vcc_lo, 0x240, v2
	v_add_co_ci_u32_e64 v3, null, 0, v3, vcc_lo
	v_cmp_le_u32_e32 vcc_lo, s19, v8
	s_or_b32 s13, vcc_lo, s13
	s_waitcnt vmcnt(13)
	v_and_b32_e32 v47, 0xf0f0f0f, v27
	v_lshrrev_b32_e32 v27, 4, v27
	v_and_b32_e32 v48, 0xf0f0f0f, v28
	v_lshrrev_b32_e32 v28, 4, v28
	s_waitcnt vmcnt(9)
	v_cvt_f32_f16_sdwa v49, v41 dst_sel:DWORD dst_unused:UNUSED_PAD src0_sel:WORD_1
	v_dot4c_i32_i8 v26, v47, v37
	v_and_b32_e32 v27, 0xf0f0f0f, v27
	s_waitcnt vmcnt(8)
	v_dot4c_i32_i8 v43, v47, v19
	s_waitcnt vmcnt(6)
	v_dot4c_i32_i8 v44, v47, v31
	v_dot4c_i32_i8 v16, v47, v17
	s_waitcnt vmcnt(3)
	v_dot4c_i32_i8 v45, v47, v33
	v_dot4c_i32_i8 v26, v27, v29
	;; [unrolled: 1-line block ×5, first 2 shown]
	s_waitcnt vmcnt(2)
	v_dot4c_i32_i8 v45, v27, v35
	v_and_b32_e32 v28, 0xf0f0f0f, v28
	v_dot4c_i32_i8 v26, v48, v38
	v_dot4c_i32_i8 v43, v48, v20
	;; [unrolled: 1-line block ×5, first 2 shown]
	v_cvt_f32_f16_sdwa v46, v39 dst_sel:DWORD dst_unused:UNUSED_PAD src0_sel:WORD_1
	v_cvt_f32_f16_sdwa v50, v40 dst_sel:DWORD dst_unused:UNUSED_PAD src0_sel:WORD_1
	;; [unrolled: 1-line block ×3, first 2 shown]
	s_waitcnt vmcnt(1)
	v_cvt_f32_f16_sdwa v52, v25 dst_sel:DWORD dst_unused:UNUSED_PAD src0_sel:WORD_1
	v_dot4c_i32_i8 v16, v28, v14
	v_dot4c_i32_i8 v26, v28, v30
	;; [unrolled: 1-line block ×5, first 2 shown]
	v_mul_f32_e32 v46, 4.0, v46
	v_mul_f32_e32 v17, 4.0, v49
	;; [unrolled: 1-line block ×5, first 2 shown]
	v_cvt_f32_i32_e32 v13, v16
	v_cvt_f32_i32_e32 v14, v26
	;; [unrolled: 1-line block ×5, first 2 shown]
	v_fma_mix_f32 v13, v13, v39, -v46 op_sel_hi:[0,1,0]
	v_fma_mix_f32 v14, v14, v41, -v17 op_sel_hi:[0,1,0]
	;; [unrolled: 1-line block ×5, first 2 shown]
	s_waitcnt vmcnt(0)
	v_fma_mix_f32 v9, v13, v15, v9 op_sel_hi:[0,1,0]
	v_fma_mix_f32 v7, v14, v15, v7 op_sel_hi:[0,1,0]
	;; [unrolled: 1-line block ×5, first 2 shown]
	s_andn2_b32 exec_lo, exec_lo, s13
	s_cbranch_execnz .LBB20_2
; %bb.3:
	s_or_b32 exec_lo, exec_lo, s13
.LBB20_4:
	s_or_b32 exec_lo, exec_lo, s9
	s_mov_b32 s1, 0
	; wave barrier
	buffer_gl0_inv
	s_mov_b32 s0, exec_lo
	v_cmpx_eq_u32_e32 0, v1
	s_cbranch_execz .LBB20_15
; %bb.5:
	v_mbcnt_lo_u32_b32 v10, -1, 0
	s_load_dwordx2 s[4:5], s[4:5], 0x38
	s_mul_i32 s0, s14, s7
	s_mul_i32 s3, s18, s8
	s_add_i32 s0, s0, s6
	v_xor_b32_e32 v1, 16, v10
	v_xor_b32_e32 v2, 8, v10
	s_add_i32 s0, s0, s3
	s_lshl_b64 s[0:1], s[0:1], 2
	v_cmp_gt_i32_e32 vcc_lo, 32, v1
	v_cndmask_b32_e32 v1, v10, v1, vcc_lo
	v_cmp_gt_i32_e32 vcc_lo, 32, v2
	v_lshlrev_b32_e32 v1, 2, v1
	v_cndmask_b32_e32 v2, v10, v2, vcc_lo
	s_waitcnt lgkmcnt(0)
	s_add_u32 s0, s4, s0
	s_addc_u32 s1, s5, s1
	ds_bpermute_b32 v3, v1, v9
	v_lshlrev_b32_e32 v2, 2, v2
	s_waitcnt lgkmcnt(0)
	v_add_f32_e32 v8, v9, v3
	v_xor_b32_e32 v3, 4, v10
	ds_bpermute_b32 v9, v2, v8
	v_cmp_gt_i32_e32 vcc_lo, 32, v3
	v_cndmask_b32_e32 v3, v10, v3, vcc_lo
	v_lshlrev_b32_e32 v3, 2, v3
	s_waitcnt lgkmcnt(0)
	v_add_f32_e32 v9, v8, v9
	v_xor_b32_e32 v8, 2, v10
	ds_bpermute_b32 v11, v3, v9
	v_cmp_gt_i32_e32 vcc_lo, 32, v8
	v_cndmask_b32_e32 v8, v10, v8, vcc_lo
	;; [unrolled: 7-line block ×3, first 2 shown]
	v_cmp_eq_u32_e32 vcc_lo, 0, v0
	v_lshlrev_b32_e32 v9, 2, v9
	s_waitcnt lgkmcnt(0)
	v_add_f32_e32 v10, v11, v12
	ds_bpermute_b32 v11, v9, v10
	s_and_saveexec_b32 s3, vcc_lo
	s_cbranch_execz .LBB20_7
; %bb.6:
	s_waitcnt lgkmcnt(0)
	v_add_f32_e32 v0, v10, v11
	v_mov_b32_e32 v10, 0
	global_store_dword v10, v0, s[0:1]
.LBB20_7:
	s_or_b32 exec_lo, exec_lo, s3
	ds_bpermute_b32 v0, v1, v7
	s_waitcnt lgkmcnt(0)
	v_add_f32_e32 v0, v7, v0
	ds_bpermute_b32 v7, v2, v0
	s_waitcnt lgkmcnt(0)
	v_add_f32_e32 v0, v0, v7
	;; [unrolled: 3-line block ×4, first 2 shown]
	ds_bpermute_b32 v7, v9, v0
	s_and_saveexec_b32 s4, vcc_lo
	s_cbranch_execz .LBB20_9
; %bb.8:
	s_mov_b32 s3, 0
	s_waitcnt lgkmcnt(0)
	v_add_f32_e32 v0, v0, v7
	s_lshl_b64 s[6:7], s[2:3], 2
	v_mov_b32_e32 v7, 0
	s_add_u32 s6, s0, s6
	s_addc_u32 s7, s1, s7
	global_store_dword v7, v0, s[6:7]
.LBB20_9:
	s_or_b32 exec_lo, exec_lo, s4
	ds_bpermute_b32 v0, v1, v6
	s_waitcnt lgkmcnt(0)
	v_add_f32_e32 v0, v6, v0
	ds_bpermute_b32 v6, v2, v0
	s_waitcnt lgkmcnt(0)
	v_add_f32_e32 v0, v0, v6
	;; [unrolled: 3-line block ×4, first 2 shown]
	ds_bpermute_b32 v6, v9, v0
	s_and_saveexec_b32 s3, vcc_lo
	s_cbranch_execz .LBB20_11
; %bb.10:
	s_lshl_b32 s4, s2, 1
	s_mov_b32 s5, 0
	s_waitcnt lgkmcnt(0)
	v_add_f32_e32 v0, v0, v6
	s_lshl_b64 s[4:5], s[4:5], 2
	v_mov_b32_e32 v6, 0
	s_add_u32 s4, s0, s4
	s_addc_u32 s5, s1, s5
	global_store_dword v6, v0, s[4:5]
.LBB20_11:
	s_or_b32 exec_lo, exec_lo, s3
	ds_bpermute_b32 v0, v1, v5
	s_waitcnt lgkmcnt(0)
	v_add_f32_e32 v0, v5, v0
	ds_bpermute_b32 v5, v2, v0
	s_waitcnt lgkmcnt(0)
	v_add_f32_e32 v0, v0, v5
	;; [unrolled: 3-line block ×4, first 2 shown]
	ds_bpermute_b32 v5, v9, v0
	s_and_saveexec_b32 s3, vcc_lo
	s_cbranch_execz .LBB20_13
; %bb.12:
	s_mul_i32 s4, s2, 3
	s_mov_b32 s5, 0
	s_waitcnt lgkmcnt(0)
	v_add_f32_e32 v0, v0, v5
	s_lshl_b64 s[4:5], s[4:5], 2
	v_mov_b32_e32 v5, 0
	s_add_u32 s4, s0, s4
	s_addc_u32 s5, s1, s5
	global_store_dword v5, v0, s[4:5]
.LBB20_13:
	s_or_b32 exec_lo, exec_lo, s3
	ds_bpermute_b32 v0, v1, v4
	s_waitcnt lgkmcnt(0)
	v_add_f32_e32 v0, v4, v0
	ds_bpermute_b32 v1, v2, v0
	s_waitcnt lgkmcnt(0)
	v_add_f32_e32 v0, v0, v1
	;; [unrolled: 3-line block ×4, first 2 shown]
	ds_bpermute_b32 v1, v9, v0
	s_and_b32 exec_lo, exec_lo, vcc_lo
	s_cbranch_execz .LBB20_15
; %bb.14:
	s_lshl_b32 s2, s2, 2
	s_mov_b32 s3, 0
	s_waitcnt lgkmcnt(0)
	v_add_f32_e32 v0, v0, v1
	s_lshl_b64 s[2:3], s[2:3], 2
	v_mov_b32_e32 v1, 0
	s_add_u32 s0, s0, s2
	s_addc_u32 s1, s1, s3
	global_store_dword v1, v0, s[0:1]
.LBB20_15:
	s_endpgm
	.section	.rodata,"a",@progbits
	.p2align	6, 0x0
	.amdhsa_kernel _ZL13mul_mat_vec_qIL9ggml_type2ELi5ELb0ELb0EEvPKvS2_PKi31ggml_cuda_mm_fusion_args_devicePfj15HIP_vector_typeIjLj3EEjjjS8_jjjS8_jjjj
		.amdhsa_group_segment_fixed_size 0
		.amdhsa_private_segment_fixed_size 0
		.amdhsa_kernarg_size 144
		.amdhsa_user_sgpr_count 6
		.amdhsa_user_sgpr_private_segment_buffer 1
		.amdhsa_user_sgpr_dispatch_ptr 0
		.amdhsa_user_sgpr_queue_ptr 0
		.amdhsa_user_sgpr_kernarg_segment_ptr 1
		.amdhsa_user_sgpr_dispatch_id 0
		.amdhsa_user_sgpr_flat_scratch_init 0
		.amdhsa_user_sgpr_private_segment_size 0
		.amdhsa_wavefront_size32 1
		.amdhsa_uses_dynamic_stack 0
		.amdhsa_system_sgpr_private_segment_wavefront_offset 0
		.amdhsa_system_sgpr_workgroup_id_x 1
		.amdhsa_system_sgpr_workgroup_id_y 1
		.amdhsa_system_sgpr_workgroup_id_z 1
		.amdhsa_system_sgpr_workgroup_info 0
		.amdhsa_system_vgpr_workitem_id 1
		.amdhsa_next_free_vgpr 53
		.amdhsa_next_free_sgpr 26
		.amdhsa_reserve_vcc 1
		.amdhsa_reserve_flat_scratch 0
		.amdhsa_float_round_mode_32 0
		.amdhsa_float_round_mode_16_64 0
		.amdhsa_float_denorm_mode_32 3
		.amdhsa_float_denorm_mode_16_64 3
		.amdhsa_dx10_clamp 1
		.amdhsa_ieee_mode 1
		.amdhsa_fp16_overflow 0
		.amdhsa_workgroup_processor_mode 1
		.amdhsa_memory_ordered 1
		.amdhsa_forward_progress 1
		.amdhsa_shared_vgpr_count 0
		.amdhsa_exception_fp_ieee_invalid_op 0
		.amdhsa_exception_fp_denorm_src 0
		.amdhsa_exception_fp_ieee_div_zero 0
		.amdhsa_exception_fp_ieee_overflow 0
		.amdhsa_exception_fp_ieee_underflow 0
		.amdhsa_exception_fp_ieee_inexact 0
		.amdhsa_exception_int_div_zero 0
	.end_amdhsa_kernel
	.section	.text._ZL13mul_mat_vec_qIL9ggml_type2ELi5ELb0ELb0EEvPKvS2_PKi31ggml_cuda_mm_fusion_args_devicePfj15HIP_vector_typeIjLj3EEjjjS8_jjjS8_jjjj,"axG",@progbits,_ZL13mul_mat_vec_qIL9ggml_type2ELi5ELb0ELb0EEvPKvS2_PKi31ggml_cuda_mm_fusion_args_devicePfj15HIP_vector_typeIjLj3EEjjjS8_jjjS8_jjjj,comdat
.Lfunc_end20:
	.size	_ZL13mul_mat_vec_qIL9ggml_type2ELi5ELb0ELb0EEvPKvS2_PKi31ggml_cuda_mm_fusion_args_devicePfj15HIP_vector_typeIjLj3EEjjjS8_jjjS8_jjjj, .Lfunc_end20-_ZL13mul_mat_vec_qIL9ggml_type2ELi5ELb0ELb0EEvPKvS2_PKi31ggml_cuda_mm_fusion_args_devicePfj15HIP_vector_typeIjLj3EEjjjS8_jjjS8_jjjj
                                        ; -- End function
	.set _ZL13mul_mat_vec_qIL9ggml_type2ELi5ELb0ELb0EEvPKvS2_PKi31ggml_cuda_mm_fusion_args_devicePfj15HIP_vector_typeIjLj3EEjjjS8_jjjS8_jjjj.num_vgpr, 53
	.set _ZL13mul_mat_vec_qIL9ggml_type2ELi5ELb0ELb0EEvPKvS2_PKi31ggml_cuda_mm_fusion_args_devicePfj15HIP_vector_typeIjLj3EEjjjS8_jjjS8_jjjj.num_agpr, 0
	.set _ZL13mul_mat_vec_qIL9ggml_type2ELi5ELb0ELb0EEvPKvS2_PKi31ggml_cuda_mm_fusion_args_devicePfj15HIP_vector_typeIjLj3EEjjjS8_jjjS8_jjjj.numbered_sgpr, 26
	.set _ZL13mul_mat_vec_qIL9ggml_type2ELi5ELb0ELb0EEvPKvS2_PKi31ggml_cuda_mm_fusion_args_devicePfj15HIP_vector_typeIjLj3EEjjjS8_jjjS8_jjjj.num_named_barrier, 0
	.set _ZL13mul_mat_vec_qIL9ggml_type2ELi5ELb0ELb0EEvPKvS2_PKi31ggml_cuda_mm_fusion_args_devicePfj15HIP_vector_typeIjLj3EEjjjS8_jjjS8_jjjj.private_seg_size, 0
	.set _ZL13mul_mat_vec_qIL9ggml_type2ELi5ELb0ELb0EEvPKvS2_PKi31ggml_cuda_mm_fusion_args_devicePfj15HIP_vector_typeIjLj3EEjjjS8_jjjS8_jjjj.uses_vcc, 1
	.set _ZL13mul_mat_vec_qIL9ggml_type2ELi5ELb0ELb0EEvPKvS2_PKi31ggml_cuda_mm_fusion_args_devicePfj15HIP_vector_typeIjLj3EEjjjS8_jjjS8_jjjj.uses_flat_scratch, 0
	.set _ZL13mul_mat_vec_qIL9ggml_type2ELi5ELb0ELb0EEvPKvS2_PKi31ggml_cuda_mm_fusion_args_devicePfj15HIP_vector_typeIjLj3EEjjjS8_jjjS8_jjjj.has_dyn_sized_stack, 0
	.set _ZL13mul_mat_vec_qIL9ggml_type2ELi5ELb0ELb0EEvPKvS2_PKi31ggml_cuda_mm_fusion_args_devicePfj15HIP_vector_typeIjLj3EEjjjS8_jjjS8_jjjj.has_recursion, 0
	.set _ZL13mul_mat_vec_qIL9ggml_type2ELi5ELb0ELb0EEvPKvS2_PKi31ggml_cuda_mm_fusion_args_devicePfj15HIP_vector_typeIjLj3EEjjjS8_jjjS8_jjjj.has_indirect_call, 0
	.section	.AMDGPU.csdata,"",@progbits
; Kernel info:
; codeLenInByte = 1724
; TotalNumSgprs: 28
; NumVgprs: 53
; ScratchSize: 0
; MemoryBound: 0
; FloatMode: 240
; IeeeMode: 1
; LDSByteSize: 0 bytes/workgroup (compile time only)
; SGPRBlocks: 0
; VGPRBlocks: 6
; NumSGPRsForWavesPerEU: 28
; NumVGPRsForWavesPerEU: 53
; Occupancy: 16
; WaveLimiterHint : 0
; COMPUTE_PGM_RSRC2:SCRATCH_EN: 0
; COMPUTE_PGM_RSRC2:USER_SGPR: 6
; COMPUTE_PGM_RSRC2:TRAP_HANDLER: 0
; COMPUTE_PGM_RSRC2:TGID_X_EN: 1
; COMPUTE_PGM_RSRC2:TGID_Y_EN: 1
; COMPUTE_PGM_RSRC2:TGID_Z_EN: 1
; COMPUTE_PGM_RSRC2:TIDIG_COMP_CNT: 1
	.section	.text._ZL13mul_mat_vec_qIL9ggml_type2ELi6ELb0ELb0EEvPKvS2_PKi31ggml_cuda_mm_fusion_args_devicePfj15HIP_vector_typeIjLj3EEjjjS8_jjjS8_jjjj,"axG",@progbits,_ZL13mul_mat_vec_qIL9ggml_type2ELi6ELb0ELb0EEvPKvS2_PKi31ggml_cuda_mm_fusion_args_devicePfj15HIP_vector_typeIjLj3EEjjjS8_jjjS8_jjjj,comdat
	.globl	_ZL13mul_mat_vec_qIL9ggml_type2ELi6ELb0ELb0EEvPKvS2_PKi31ggml_cuda_mm_fusion_args_devicePfj15HIP_vector_typeIjLj3EEjjjS8_jjjS8_jjjj ; -- Begin function _ZL13mul_mat_vec_qIL9ggml_type2ELi6ELb0ELb0EEvPKvS2_PKi31ggml_cuda_mm_fusion_args_devicePfj15HIP_vector_typeIjLj3EEjjjS8_jjjS8_jjjj
	.p2align	8
	.type	_ZL13mul_mat_vec_qIL9ggml_type2ELi6ELb0ELb0EEvPKvS2_PKi31ggml_cuda_mm_fusion_args_devicePfj15HIP_vector_typeIjLj3EEjjjS8_jjjS8_jjjj,@function
_ZL13mul_mat_vec_qIL9ggml_type2ELi6ELb0ELb0EEvPKvS2_PKi31ggml_cuda_mm_fusion_args_devicePfj15HIP_vector_typeIjLj3EEjjjS8_jjjS8_jjjj: ; @_ZL13mul_mat_vec_qIL9ggml_type2ELi6ELb0ELb0EEvPKvS2_PKi31ggml_cuda_mm_fusion_args_devicePfj15HIP_vector_typeIjLj3EEjjjS8_jjjS8_jjjj
; %bb.0:
	s_clause 0x5
	s_load_dwordx4 s[16:19], s[4:5], 0x80
	s_load_dword s9, s[4:5], 0x40
	s_load_dwordx4 s[0:3], s[4:5], 0x50
	s_load_dword s24, s[4:5], 0x60
	s_load_dwordx4 s[12:15], s[4:5], 0x68
	s_load_dword s25, s[4:5], 0x78
	v_lshl_or_b32 v2, v1, 5, v0
	v_mov_b32_e32 v4, 0
	v_mov_b32_e32 v5, 0
	v_mov_b32_e32 v6, 0
	v_mov_b32_e32 v7, 0
	v_lshrrev_b16 v3, 1, v2
	v_mov_b32_e32 v8, 0
	v_mov_b32_e32 v10, 0
	v_and_b32_e32 v9, 0xffff, v3
	s_waitcnt lgkmcnt(0)
	s_lshr_b32 s19, s9, 5
	s_mov_b32 s9, exec_lo
	v_cmpx_gt_u32_e64 s19, v9
	s_cbranch_execz .LBB21_4
; %bb.1:
	s_load_dwordx4 s[20:23], s[4:5], 0x0
	v_lshlrev_b32_e32 v3, 1, v0
	s_mul_i32 s10, s17, s8
	s_mul_i32 s11, s13, s7
	;; [unrolled: 1-line block ×3, first 2 shown]
	s_mul_hi_u32 s0, s3, s7
	s_mul_hi_u32 s3, s15, s8
	v_and_b32_e32 v5, 1, v0
	s_mul_hi_u32 s15, s10, 36
	v_and_b32_e32 v6, 2, v3
	s_mul_i32 s10, s10, 36
	v_lshrrev_b32_e32 v2, 1, v2
	s_mul_hi_u32 s17, s11, 36
	s_mul_i32 s11, s11, 36
	v_lshlrev_b32_e32 v11, 3, v5
	v_lshlrev_b32_e32 v5, 1, v6
	v_mov_b32_e32 v4, 0
	v_lshlrev_b32_e32 v13, 2, v6
	v_mov_b32_e32 v6, 0
	v_mov_b32_e32 v7, 0
	s_waitcnt lgkmcnt(0)
	s_add_u32 s10, s22, s10
	s_addc_u32 s15, s23, s15
	s_add_u32 s10, s10, s11
	s_addc_u32 s11, s15, s17
	s_add_i32 s15, s7, s0
	s_add_i32 s3, s8, s3
	s_lshr_b32 s15, s15, s24
	v_mad_u64_u32 v[2:3], null, v2, 36, s[10:11]
	s_lshr_b32 s3, s3, s25
	s_mul_i32 s12, s15, s12
	v_lshlrev_b32_e32 v12, 1, v5
	v_mov_b32_e32 v5, 0
	v_mov_b32_e32 v8, 0
	;; [unrolled: 1-line block ×3, first 2 shown]
	s_mul_i32 s3, s3, s16
	s_add_i32 s12, s12, s13
	s_lshl_b32 s0, s1, 1
	s_add_i32 s3, s3, s12
	s_mul_i32 s12, s1, 3
	s_lshl_b32 s13, s1, 2
	s_mul_i32 s16, s1, 5
	s_mov_b32 s15, 0
.LBB21_2:                               ; =>This Inner Loop Header: Depth=1
	v_add_nc_u32_e32 v16, s3, v9
	v_add_nc_u32_e32 v20, s1, v9
	v_add_nc_u32_e32 v22, s0, v9
	v_add_nc_u32_e32 v24, s12, v9
	v_add_nc_u32_e32 v26, s13, v9
	v_mad_i64_i32 v[16:17], null, v16, 18, s[20:21]
	v_mad_u64_u32 v[20:21], null, v20, 36, s[10:11]
	v_mad_u64_u32 v[22:23], null, v22, 36, s[10:11]
	v_add_nc_u32_e32 v28, s16, v9
	v_add_co_u32 v14, vcc_lo, v2, v11
	v_mad_u64_u32 v[24:25], null, v24, 36, s[10:11]
	v_add_co_ci_u32_e64 v15, null, 0, v3, vcc_lo
	v_mad_u64_u32 v[26:27], null, v26, 36, s[10:11]
	v_add_co_u32 v30, vcc_lo, v16, v12
	v_mad_u64_u32 v[28:29], null, v28, 36, s[10:11]
	v_add_co_ci_u32_e64 v31, null, 0, v17, vcc_lo
	v_add_co_u32 v32, vcc_lo, v20, v13
	v_add_co_ci_u32_e64 v33, null, 0, v21, vcc_lo
	v_add_co_u32 v34, vcc_lo, v22, v13
	;; [unrolled: 2-line block ×5, first 2 shown]
	s_clause 0x2
	global_load_dword v44, v[2:3], off
	global_load_dwordx2 v[18:19], v[14:15], off offset:4
	global_load_dwordx2 v[14:15], v[14:15], off offset:20
	v_add_co_ci_u32_e64 v41, null, 0, v29, vcc_lo
	global_load_dwordx2 v[30:31], v[30:31], off offset:2
	s_clause 0xe
	global_load_dwordx2 v[42:43], v[32:33], off offset:4
	global_load_dwordx2 v[32:33], v[32:33], off offset:20
	global_load_dword v45, v[22:23], off
	global_load_dword v46, v[20:21], off
	global_load_dwordx2 v[20:21], v[34:35], off offset:4
	global_load_dwordx2 v[22:23], v[34:35], off offset:20
	;; [unrolled: 1-line block ×3, first 2 shown]
	global_load_dword v47, v[24:25], off
	global_load_dwordx2 v[24:25], v[36:37], off offset:20
	global_load_dwordx2 v[36:37], v[38:39], off offset:4
	;; [unrolled: 1-line block ×3, first 2 shown]
	global_load_dword v48, v[26:27], off
	global_load_dwordx2 v[26:27], v[40:41], off offset:4
	global_load_dwordx2 v[40:41], v[40:41], off offset:20
	global_load_dword v28, v[28:29], off
	global_load_ushort v16, v[16:17], off
	v_mov_b32_e32 v17, 0
	v_mov_b32_e32 v29, 0
	;; [unrolled: 1-line block ×6, first 2 shown]
	v_add_nc_u32_e32 v9, 16, v9
	v_add_co_u32 v2, vcc_lo, 0x240, v2
	v_add_co_ci_u32_e64 v3, null, 0, v3, vcc_lo
	v_cmp_le_u32_e32 vcc_lo, s19, v9
	s_or_b32 s15, vcc_lo, s15
	s_waitcnt vmcnt(16)
	v_and_b32_e32 v54, 0xf0f0f0f, v30
	v_lshrrev_b32_e32 v30, 4, v30
	v_and_b32_e32 v55, 0xf0f0f0f, v31
	v_lshrrev_b32_e32 v31, 4, v31
	s_waitcnt vmcnt(12)
	v_cvt_f32_f16_sdwa v56, v46 dst_sel:DWORD dst_unused:UNUSED_PAD src0_sel:WORD_1
	v_dot4c_i32_i8 v29, v54, v42
	v_and_b32_e32 v30, 0xf0f0f0f, v30
	s_waitcnt vmcnt(11)
	v_dot4c_i32_i8 v49, v54, v20
	s_waitcnt vmcnt(9)
	v_dot4c_i32_i8 v50, v54, v34
	v_and_b32_e32 v31, 0xf0f0f0f, v31
	s_waitcnt vmcnt(6)
	v_dot4c_i32_i8 v51, v54, v36
	v_dot4c_i32_i8 v29, v30, v32
	;; [unrolled: 1-line block ×3, first 2 shown]
	s_waitcnt vmcnt(3)
	v_dot4c_i32_i8 v52, v54, v26
	v_dot4c_i32_i8 v49, v30, v22
	;; [unrolled: 1-line block ×5, first 2 shown]
	s_waitcnt vmcnt(2)
	v_dot4c_i32_i8 v52, v30, v40
	v_dot4c_i32_i8 v29, v55, v43
	;; [unrolled: 1-line block ×7, first 2 shown]
	v_cvt_f32_f16_sdwa v53, v44 dst_sel:DWORD dst_unused:UNUSED_PAD src0_sel:WORD_1
	v_cvt_f32_f16_sdwa v57, v45 dst_sel:DWORD dst_unused:UNUSED_PAD src0_sel:WORD_1
	;; [unrolled: 1-line block ×4, first 2 shown]
	s_waitcnt vmcnt(1)
	v_cvt_f32_f16_sdwa v60, v28 dst_sel:DWORD dst_unused:UNUSED_PAD src0_sel:WORD_1
	v_dot4c_i32_i8 v17, v31, v15
	v_dot4c_i32_i8 v29, v31, v33
	;; [unrolled: 1-line block ×6, first 2 shown]
	v_mul_f32_e32 v53, 4.0, v53
	v_mul_f32_e32 v18, 4.0, v56
	;; [unrolled: 1-line block ×6, first 2 shown]
	v_cvt_f32_i32_e32 v14, v17
	v_cvt_f32_i32_e32 v15, v29
	;; [unrolled: 1-line block ×6, first 2 shown]
	v_fma_mix_f32 v14, v14, v44, -v53 op_sel_hi:[0,1,0]
	v_fma_mix_f32 v15, v15, v46, -v18 op_sel_hi:[0,1,0]
	;; [unrolled: 1-line block ×6, first 2 shown]
	s_waitcnt vmcnt(0)
	v_fma_mix_f32 v10, v14, v16, v10 op_sel_hi:[0,1,0]
	v_fma_mix_f32 v8, v15, v16, v8 op_sel_hi:[0,1,0]
	;; [unrolled: 1-line block ×6, first 2 shown]
	s_andn2_b32 exec_lo, exec_lo, s15
	s_cbranch_execnz .LBB21_2
; %bb.3:
	s_or_b32 exec_lo, exec_lo, s15
.LBB21_4:
	s_or_b32 exec_lo, exec_lo, s9
	s_mov_b32 s1, 0
	; wave barrier
	buffer_gl0_inv
	s_mov_b32 s0, exec_lo
	v_cmpx_eq_u32_e32 0, v1
	s_cbranch_execz .LBB21_17
; %bb.5:
	v_mbcnt_lo_u32_b32 v11, -1, 0
	s_load_dwordx2 s[4:5], s[4:5], 0x38
	s_mul_i32 s0, s14, s7
	s_mul_i32 s3, s18, s8
	s_add_i32 s0, s0, s6
	v_xor_b32_e32 v1, 16, v11
	v_xor_b32_e32 v2, 8, v11
	s_add_i32 s0, s0, s3
	s_lshl_b64 s[0:1], s[0:1], 2
	v_cmp_gt_i32_e32 vcc_lo, 32, v1
	v_cndmask_b32_e32 v1, v11, v1, vcc_lo
	v_cmp_gt_i32_e32 vcc_lo, 32, v2
	v_lshlrev_b32_e32 v1, 2, v1
	v_cndmask_b32_e32 v2, v11, v2, vcc_lo
	s_waitcnt lgkmcnt(0)
	s_add_u32 s0, s4, s0
	s_addc_u32 s1, s5, s1
	ds_bpermute_b32 v3, v1, v10
	v_lshlrev_b32_e32 v2, 2, v2
	s_waitcnt lgkmcnt(0)
	v_add_f32_e32 v9, v10, v3
	v_xor_b32_e32 v3, 4, v11
	ds_bpermute_b32 v10, v2, v9
	v_cmp_gt_i32_e32 vcc_lo, 32, v3
	v_cndmask_b32_e32 v3, v11, v3, vcc_lo
	v_lshlrev_b32_e32 v3, 2, v3
	s_waitcnt lgkmcnt(0)
	v_add_f32_e32 v10, v9, v10
	v_xor_b32_e32 v9, 2, v11
	ds_bpermute_b32 v12, v3, v10
	v_cmp_gt_i32_e32 vcc_lo, 32, v9
	v_cndmask_b32_e32 v9, v11, v9, vcc_lo
	;; [unrolled: 7-line block ×3, first 2 shown]
	v_cmp_eq_u32_e32 vcc_lo, 0, v0
	v_lshlrev_b32_e32 v10, 2, v10
	s_waitcnt lgkmcnt(0)
	v_add_f32_e32 v11, v12, v13
	ds_bpermute_b32 v12, v10, v11
	s_and_saveexec_b32 s3, vcc_lo
	s_cbranch_execz .LBB21_7
; %bb.6:
	s_waitcnt lgkmcnt(0)
	v_add_f32_e32 v0, v11, v12
	v_mov_b32_e32 v11, 0
	global_store_dword v11, v0, s[0:1]
.LBB21_7:
	s_or_b32 exec_lo, exec_lo, s3
	ds_bpermute_b32 v0, v1, v8
	s_waitcnt lgkmcnt(0)
	v_add_f32_e32 v0, v8, v0
	ds_bpermute_b32 v8, v2, v0
	s_waitcnt lgkmcnt(0)
	v_add_f32_e32 v0, v0, v8
	ds_bpermute_b32 v8, v3, v0
	s_waitcnt lgkmcnt(0)
	v_add_f32_e32 v0, v0, v8
	ds_bpermute_b32 v8, v9, v0
	s_waitcnt lgkmcnt(0)
	v_add_f32_e32 v0, v0, v8
	ds_bpermute_b32 v8, v10, v0
	s_and_saveexec_b32 s4, vcc_lo
	s_cbranch_execz .LBB21_9
; %bb.8:
	s_mov_b32 s3, 0
	s_waitcnt lgkmcnt(0)
	v_add_f32_e32 v0, v0, v8
	s_lshl_b64 s[6:7], s[2:3], 2
	v_mov_b32_e32 v8, 0
	s_add_u32 s6, s0, s6
	s_addc_u32 s7, s1, s7
	global_store_dword v8, v0, s[6:7]
.LBB21_9:
	s_or_b32 exec_lo, exec_lo, s4
	ds_bpermute_b32 v0, v1, v7
	s_waitcnt lgkmcnt(0)
	v_add_f32_e32 v0, v7, v0
	ds_bpermute_b32 v7, v2, v0
	s_waitcnt lgkmcnt(0)
	v_add_f32_e32 v0, v0, v7
	;; [unrolled: 3-line block ×4, first 2 shown]
	ds_bpermute_b32 v7, v10, v0
	s_and_saveexec_b32 s3, vcc_lo
	s_cbranch_execz .LBB21_11
; %bb.10:
	s_lshl_b32 s4, s2, 1
	s_mov_b32 s5, 0
	s_waitcnt lgkmcnt(0)
	v_add_f32_e32 v0, v0, v7
	s_lshl_b64 s[4:5], s[4:5], 2
	v_mov_b32_e32 v7, 0
	s_add_u32 s4, s0, s4
	s_addc_u32 s5, s1, s5
	global_store_dword v7, v0, s[4:5]
.LBB21_11:
	s_or_b32 exec_lo, exec_lo, s3
	ds_bpermute_b32 v0, v1, v6
	s_waitcnt lgkmcnt(0)
	v_add_f32_e32 v0, v6, v0
	ds_bpermute_b32 v6, v2, v0
	s_waitcnt lgkmcnt(0)
	v_add_f32_e32 v0, v0, v6
	;; [unrolled: 3-line block ×4, first 2 shown]
	ds_bpermute_b32 v6, v10, v0
	s_and_saveexec_b32 s3, vcc_lo
	s_cbranch_execz .LBB21_13
; %bb.12:
	s_mul_i32 s4, s2, 3
	s_mov_b32 s5, 0
	s_waitcnt lgkmcnt(0)
	v_add_f32_e32 v0, v0, v6
	s_lshl_b64 s[4:5], s[4:5], 2
	v_mov_b32_e32 v6, 0
	s_add_u32 s4, s0, s4
	s_addc_u32 s5, s1, s5
	global_store_dword v6, v0, s[4:5]
.LBB21_13:
	s_or_b32 exec_lo, exec_lo, s3
	ds_bpermute_b32 v0, v1, v5
	s_waitcnt lgkmcnt(0)
	v_add_f32_e32 v0, v5, v0
	ds_bpermute_b32 v5, v2, v0
	s_waitcnt lgkmcnt(0)
	v_add_f32_e32 v0, v0, v5
	;; [unrolled: 3-line block ×4, first 2 shown]
	ds_bpermute_b32 v5, v10, v0
	s_and_saveexec_b32 s3, vcc_lo
	s_cbranch_execz .LBB21_15
; %bb.14:
	s_lshl_b32 s4, s2, 2
	s_mov_b32 s5, 0
	s_waitcnt lgkmcnt(0)
	v_add_f32_e32 v0, v0, v5
	s_lshl_b64 s[4:5], s[4:5], 2
	v_mov_b32_e32 v5, 0
	s_add_u32 s4, s0, s4
	s_addc_u32 s5, s1, s5
	global_store_dword v5, v0, s[4:5]
.LBB21_15:
	s_or_b32 exec_lo, exec_lo, s3
	ds_bpermute_b32 v0, v1, v4
	s_waitcnt lgkmcnt(0)
	v_add_f32_e32 v0, v4, v0
	ds_bpermute_b32 v1, v2, v0
	s_waitcnt lgkmcnt(0)
	v_add_f32_e32 v0, v0, v1
	;; [unrolled: 3-line block ×4, first 2 shown]
	ds_bpermute_b32 v1, v10, v0
	s_and_b32 exec_lo, exec_lo, vcc_lo
	s_cbranch_execz .LBB21_17
; %bb.16:
	s_mul_i32 s2, s2, 5
	s_mov_b32 s3, 0
	s_waitcnt lgkmcnt(0)
	v_add_f32_e32 v0, v0, v1
	s_lshl_b64 s[2:3], s[2:3], 2
	v_mov_b32_e32 v1, 0
	s_add_u32 s0, s0, s2
	s_addc_u32 s1, s1, s3
	global_store_dword v1, v0, s[0:1]
.LBB21_17:
	s_endpgm
	.section	.rodata,"a",@progbits
	.p2align	6, 0x0
	.amdhsa_kernel _ZL13mul_mat_vec_qIL9ggml_type2ELi6ELb0ELb0EEvPKvS2_PKi31ggml_cuda_mm_fusion_args_devicePfj15HIP_vector_typeIjLj3EEjjjS8_jjjS8_jjjj
		.amdhsa_group_segment_fixed_size 0
		.amdhsa_private_segment_fixed_size 0
		.amdhsa_kernarg_size 144
		.amdhsa_user_sgpr_count 6
		.amdhsa_user_sgpr_private_segment_buffer 1
		.amdhsa_user_sgpr_dispatch_ptr 0
		.amdhsa_user_sgpr_queue_ptr 0
		.amdhsa_user_sgpr_kernarg_segment_ptr 1
		.amdhsa_user_sgpr_dispatch_id 0
		.amdhsa_user_sgpr_flat_scratch_init 0
		.amdhsa_user_sgpr_private_segment_size 0
		.amdhsa_wavefront_size32 1
		.amdhsa_uses_dynamic_stack 0
		.amdhsa_system_sgpr_private_segment_wavefront_offset 0
		.amdhsa_system_sgpr_workgroup_id_x 1
		.amdhsa_system_sgpr_workgroup_id_y 1
		.amdhsa_system_sgpr_workgroup_id_z 1
		.amdhsa_system_sgpr_workgroup_info 0
		.amdhsa_system_vgpr_workitem_id 1
		.amdhsa_next_free_vgpr 61
		.amdhsa_next_free_sgpr 26
		.amdhsa_reserve_vcc 1
		.amdhsa_reserve_flat_scratch 0
		.amdhsa_float_round_mode_32 0
		.amdhsa_float_round_mode_16_64 0
		.amdhsa_float_denorm_mode_32 3
		.amdhsa_float_denorm_mode_16_64 3
		.amdhsa_dx10_clamp 1
		.amdhsa_ieee_mode 1
		.amdhsa_fp16_overflow 0
		.amdhsa_workgroup_processor_mode 1
		.amdhsa_memory_ordered 1
		.amdhsa_forward_progress 1
		.amdhsa_shared_vgpr_count 0
		.amdhsa_exception_fp_ieee_invalid_op 0
		.amdhsa_exception_fp_denorm_src 0
		.amdhsa_exception_fp_ieee_div_zero 0
		.amdhsa_exception_fp_ieee_overflow 0
		.amdhsa_exception_fp_ieee_underflow 0
		.amdhsa_exception_fp_ieee_inexact 0
		.amdhsa_exception_int_div_zero 0
	.end_amdhsa_kernel
	.section	.text._ZL13mul_mat_vec_qIL9ggml_type2ELi6ELb0ELb0EEvPKvS2_PKi31ggml_cuda_mm_fusion_args_devicePfj15HIP_vector_typeIjLj3EEjjjS8_jjjS8_jjjj,"axG",@progbits,_ZL13mul_mat_vec_qIL9ggml_type2ELi6ELb0ELb0EEvPKvS2_PKi31ggml_cuda_mm_fusion_args_devicePfj15HIP_vector_typeIjLj3EEjjjS8_jjjS8_jjjj,comdat
.Lfunc_end21:
	.size	_ZL13mul_mat_vec_qIL9ggml_type2ELi6ELb0ELb0EEvPKvS2_PKi31ggml_cuda_mm_fusion_args_devicePfj15HIP_vector_typeIjLj3EEjjjS8_jjjS8_jjjj, .Lfunc_end21-_ZL13mul_mat_vec_qIL9ggml_type2ELi6ELb0ELb0EEvPKvS2_PKi31ggml_cuda_mm_fusion_args_devicePfj15HIP_vector_typeIjLj3EEjjjS8_jjjS8_jjjj
                                        ; -- End function
	.set _ZL13mul_mat_vec_qIL9ggml_type2ELi6ELb0ELb0EEvPKvS2_PKi31ggml_cuda_mm_fusion_args_devicePfj15HIP_vector_typeIjLj3EEjjjS8_jjjS8_jjjj.num_vgpr, 61
	.set _ZL13mul_mat_vec_qIL9ggml_type2ELi6ELb0ELb0EEvPKvS2_PKi31ggml_cuda_mm_fusion_args_devicePfj15HIP_vector_typeIjLj3EEjjjS8_jjjS8_jjjj.num_agpr, 0
	.set _ZL13mul_mat_vec_qIL9ggml_type2ELi6ELb0ELb0EEvPKvS2_PKi31ggml_cuda_mm_fusion_args_devicePfj15HIP_vector_typeIjLj3EEjjjS8_jjjS8_jjjj.numbered_sgpr, 26
	.set _ZL13mul_mat_vec_qIL9ggml_type2ELi6ELb0ELb0EEvPKvS2_PKi31ggml_cuda_mm_fusion_args_devicePfj15HIP_vector_typeIjLj3EEjjjS8_jjjS8_jjjj.num_named_barrier, 0
	.set _ZL13mul_mat_vec_qIL9ggml_type2ELi6ELb0ELb0EEvPKvS2_PKi31ggml_cuda_mm_fusion_args_devicePfj15HIP_vector_typeIjLj3EEjjjS8_jjjS8_jjjj.private_seg_size, 0
	.set _ZL13mul_mat_vec_qIL9ggml_type2ELi6ELb0ELb0EEvPKvS2_PKi31ggml_cuda_mm_fusion_args_devicePfj15HIP_vector_typeIjLj3EEjjjS8_jjjS8_jjjj.uses_vcc, 1
	.set _ZL13mul_mat_vec_qIL9ggml_type2ELi6ELb0ELb0EEvPKvS2_PKi31ggml_cuda_mm_fusion_args_devicePfj15HIP_vector_typeIjLj3EEjjjS8_jjjS8_jjjj.uses_flat_scratch, 0
	.set _ZL13mul_mat_vec_qIL9ggml_type2ELi6ELb0ELb0EEvPKvS2_PKi31ggml_cuda_mm_fusion_args_devicePfj15HIP_vector_typeIjLj3EEjjjS8_jjjS8_jjjj.has_dyn_sized_stack, 0
	.set _ZL13mul_mat_vec_qIL9ggml_type2ELi6ELb0ELb0EEvPKvS2_PKi31ggml_cuda_mm_fusion_args_devicePfj15HIP_vector_typeIjLj3EEjjjS8_jjjS8_jjjj.has_recursion, 0
	.set _ZL13mul_mat_vec_qIL9ggml_type2ELi6ELb0ELb0EEvPKvS2_PKi31ggml_cuda_mm_fusion_args_devicePfj15HIP_vector_typeIjLj3EEjjjS8_jjjS8_jjjj.has_indirect_call, 0
	.section	.AMDGPU.csdata,"",@progbits
; Kernel info:
; codeLenInByte = 1968
; TotalNumSgprs: 28
; NumVgprs: 61
; ScratchSize: 0
; MemoryBound: 0
; FloatMode: 240
; IeeeMode: 1
; LDSByteSize: 0 bytes/workgroup (compile time only)
; SGPRBlocks: 0
; VGPRBlocks: 7
; NumSGPRsForWavesPerEU: 28
; NumVGPRsForWavesPerEU: 61
; Occupancy: 16
; WaveLimiterHint : 0
; COMPUTE_PGM_RSRC2:SCRATCH_EN: 0
; COMPUTE_PGM_RSRC2:USER_SGPR: 6
; COMPUTE_PGM_RSRC2:TRAP_HANDLER: 0
; COMPUTE_PGM_RSRC2:TGID_X_EN: 1
; COMPUTE_PGM_RSRC2:TGID_Y_EN: 1
; COMPUTE_PGM_RSRC2:TGID_Z_EN: 1
; COMPUTE_PGM_RSRC2:TIDIG_COMP_CNT: 1
	.section	.text._ZL13mul_mat_vec_qIL9ggml_type2ELi7ELb0ELb0EEvPKvS2_PKi31ggml_cuda_mm_fusion_args_devicePfj15HIP_vector_typeIjLj3EEjjjS8_jjjS8_jjjj,"axG",@progbits,_ZL13mul_mat_vec_qIL9ggml_type2ELi7ELb0ELb0EEvPKvS2_PKi31ggml_cuda_mm_fusion_args_devicePfj15HIP_vector_typeIjLj3EEjjjS8_jjjS8_jjjj,comdat
	.globl	_ZL13mul_mat_vec_qIL9ggml_type2ELi7ELb0ELb0EEvPKvS2_PKi31ggml_cuda_mm_fusion_args_devicePfj15HIP_vector_typeIjLj3EEjjjS8_jjjS8_jjjj ; -- Begin function _ZL13mul_mat_vec_qIL9ggml_type2ELi7ELb0ELb0EEvPKvS2_PKi31ggml_cuda_mm_fusion_args_devicePfj15HIP_vector_typeIjLj3EEjjjS8_jjjS8_jjjj
	.p2align	8
	.type	_ZL13mul_mat_vec_qIL9ggml_type2ELi7ELb0ELb0EEvPKvS2_PKi31ggml_cuda_mm_fusion_args_devicePfj15HIP_vector_typeIjLj3EEjjjS8_jjjS8_jjjj,@function
_ZL13mul_mat_vec_qIL9ggml_type2ELi7ELb0ELb0EEvPKvS2_PKi31ggml_cuda_mm_fusion_args_devicePfj15HIP_vector_typeIjLj3EEjjjS8_jjjS8_jjjj: ; @_ZL13mul_mat_vec_qIL9ggml_type2ELi7ELb0ELb0EEvPKvS2_PKi31ggml_cuda_mm_fusion_args_devicePfj15HIP_vector_typeIjLj3EEjjjS8_jjjS8_jjjj
; %bb.0:
	s_clause 0x5
	s_load_dwordx4 s[16:19], s[4:5], 0x80
	s_load_dword s9, s[4:5], 0x40
	s_load_dwordx4 s[0:3], s[4:5], 0x50
	s_load_dword s24, s[4:5], 0x60
	;; [unrolled: 2-line block ×3, first 2 shown]
	v_lshl_or_b32 v2, v1, 5, v0
	v_mov_b32_e32 v4, 0
	v_mov_b32_e32 v5, 0
	;; [unrolled: 1-line block ×4, first 2 shown]
	v_lshrrev_b16 v3, 1, v2
	v_mov_b32_e32 v8, 0
	v_mov_b32_e32 v9, 0
	;; [unrolled: 1-line block ×3, first 2 shown]
	v_and_b32_e32 v10, 0xffff, v3
	s_waitcnt lgkmcnt(0)
	s_lshr_b32 s19, s9, 5
	s_mov_b32 s9, exec_lo
	v_cmpx_gt_u32_e64 s19, v10
	s_cbranch_execz .LBB22_4
; %bb.1:
	s_load_dwordx4 s[20:23], s[4:5], 0x0
	v_lshlrev_b32_e32 v3, 1, v0
	s_mul_i32 s10, s17, s8
	s_mul_i32 s11, s13, s7
	s_mul_i32 s13, s0, s6
	s_mul_hi_u32 s0, s3, s7
	s_mul_hi_u32 s3, s15, s8
	v_and_b32_e32 v5, 1, v0
	s_mul_hi_u32 s15, s10, 36
	v_and_b32_e32 v6, 2, v3
	s_mul_i32 s10, s10, 36
	v_lshrrev_b32_e32 v2, 1, v2
	s_mul_hi_u32 s17, s11, 36
	s_mul_i32 s11, s11, 36
	v_lshlrev_b32_e32 v12, 3, v5
	v_lshlrev_b32_e32 v5, 1, v6
	v_mov_b32_e32 v4, 0
	v_lshlrev_b32_e32 v14, 2, v6
	v_mov_b32_e32 v6, 0
	v_mov_b32_e32 v7, 0
	s_waitcnt lgkmcnt(0)
	s_add_u32 s10, s22, s10
	s_addc_u32 s15, s23, s15
	s_add_u32 s10, s10, s11
	s_addc_u32 s11, s15, s17
	s_add_i32 s15, s7, s0
	s_add_i32 s3, s8, s3
	s_lshr_b32 s15, s15, s24
	v_mad_u64_u32 v[2:3], null, v2, 36, s[10:11]
	s_lshr_b32 s3, s3, s25
	s_mul_i32 s12, s15, s12
	v_lshlrev_b32_e32 v13, 1, v5
	v_mov_b32_e32 v5, 0
	v_mov_b32_e32 v8, 0
	v_mov_b32_e32 v9, 0
	v_mov_b32_e32 v11, 0
	s_mul_i32 s3, s3, s16
	s_add_i32 s12, s12, s13
	s_lshl_b32 s0, s1, 1
	s_add_i32 s3, s3, s12
	s_mul_i32 s12, s1, 3
	s_lshl_b32 s13, s1, 2
	s_mul_i32 s15, s1, 5
	s_mul_i32 s17, s1, 6
	s_mov_b32 s16, 0
.LBB22_2:                               ; =>This Inner Loop Header: Depth=1
	v_add_nc_u32_e32 v17, s3, v10
	v_add_nc_u32_e32 v21, s1, v10
	;; [unrolled: 1-line block ×4, first 2 shown]
	v_add_co_u32 v15, vcc_lo, v2, v12
	v_mad_i64_i32 v[17:18], null, v17, 18, s[20:21]
	v_mad_u64_u32 v[21:22], null, v21, 36, s[10:11]
	v_add_nc_u32_e32 v27, s13, v10
	v_mad_u64_u32 v[23:24], null, v23, 36, s[10:11]
	v_add_co_ci_u32_e64 v16, null, 0, v3, vcc_lo
	v_add_nc_u32_e32 v29, s15, v10
	v_mad_u64_u32 v[25:26], null, v25, 36, s[10:11]
	v_add_nc_u32_e32 v31, s17, v10
	v_mad_u64_u32 v[27:28], null, v27, 36, s[10:11]
	v_add_co_u32 v33, vcc_lo, v17, v13
	s_clause 0x2
	global_load_dword v51, v[2:3], off
	global_load_dwordx2 v[19:20], v[15:16], off offset:4
	global_load_dwordx2 v[15:16], v[15:16], off offset:20
	v_mad_u64_u32 v[29:30], null, v29, 36, s[10:11]
	v_add_co_ci_u32_e64 v34, null, 0, v18, vcc_lo
	v_add_co_u32 v35, vcc_lo, v21, v14
	v_mad_u64_u32 v[31:32], null, v31, 36, s[10:11]
	v_add_co_ci_u32_e64 v36, null, 0, v22, vcc_lo
	v_add_co_u32 v37, vcc_lo, v23, v14
	v_add_co_ci_u32_e64 v38, null, 0, v24, vcc_lo
	v_add_co_u32 v39, vcc_lo, v25, v14
	;; [unrolled: 2-line block ×5, first 2 shown]
	v_add_co_ci_u32_e64 v46, null, 0, v32, vcc_lo
	global_load_dwordx2 v[33:34], v[33:34], off offset:2
	s_clause 0x11
	global_load_dwordx2 v[47:48], v[35:36], off offset:20
	global_load_dword v52, v[23:24], off
	global_load_dword v53, v[21:22], off
	global_load_dwordx2 v[21:22], v[35:36], off offset:4
	global_load_dword v54, v[25:26], off
	global_load_dwordx2 v[23:24], v[37:38], off offset:4
	global_load_dwordx2 v[25:26], v[37:38], off offset:20
	;; [unrolled: 1-line block ×6, first 2 shown]
	global_load_dword v55, v[27:28], off
	global_load_dwordx2 v[27:28], v[45:46], off offset:4
	global_load_dwordx2 v[45:46], v[45:46], off offset:20
	;; [unrolled: 1-line block ×4, first 2 shown]
	global_load_dword v31, v[31:32], off
	global_load_dword v29, v[29:30], off
	global_load_ushort v17, v[17:18], off
	v_mov_b32_e32 v18, 0
	v_mov_b32_e32 v30, 0
	;; [unrolled: 1-line block ×6, first 2 shown]
	v_add_nc_u32_e32 v10, 16, v10
	v_add_co_u32 v2, vcc_lo, 0x240, v2
	v_add_co_ci_u32_e64 v3, null, 0, v3, vcc_lo
	v_cmp_le_u32_e32 vcc_lo, s19, v10
	s_or_b32 s16, vcc_lo, s16
	s_waitcnt vmcnt(19)
	v_lshrrev_b32_e32 v59, 4, v33
	v_and_b32_e32 v33, 0xf0f0f0f, v33
	v_and_b32_e32 v60, 0xf0f0f0f, v34
	;; [unrolled: 1-line block ×3, first 2 shown]
	v_dot4c_i32_i8 v18, v33, v19
	s_waitcnt vmcnt(15)
	v_dot4c_i32_i8 v30, v33, v21
	s_waitcnt vmcnt(13)
	;; [unrolled: 2-line block ×4, first 2 shown]
	v_dot4c_i32_i8 v57, v33, v39
	v_dot4c_i32_i8 v18, v59, v15
	v_mov_b32_e32 v15, 0
	v_dot4c_i32_i8 v30, v59, v47
	v_dot4c_i32_i8 v32, v59, v25
	s_waitcnt vmcnt(4)
	v_dot4c_i32_i8 v58, v33, v49
	v_dot4c_i32_i8 v18, v60, v20
	;; [unrolled: 1-line block ×3, first 2 shown]
	v_lshrrev_b32_e32 v20, 4, v34
	v_dot4c_i32_i8 v56, v59, v37
	v_dot4c_i32_i8 v57, v59, v41
	s_waitcnt vmcnt(3)
	v_dot4c_i32_i8 v58, v59, v43
	v_dot4c_i32_i8 v15, v59, v45
	;; [unrolled: 1-line block ×4, first 2 shown]
	v_and_b32_e32 v20, 0xf0f0f0f, v20
	v_dot4c_i32_i8 v56, v60, v36
	v_dot4c_i32_i8 v57, v60, v40
	;; [unrolled: 1-line block ×4, first 2 shown]
	v_cvt_f32_f16_sdwa v19, v51 dst_sel:DWORD dst_unused:UNUSED_PAD src0_sel:WORD_1
	v_cvt_f32_f16_sdwa v34, v53 dst_sel:DWORD dst_unused:UNUSED_PAD src0_sel:WORD_1
	;; [unrolled: 1-line block ×5, first 2 shown]
	s_waitcnt vmcnt(1)
	v_cvt_f32_f16_sdwa v24, v29 dst_sel:DWORD dst_unused:UNUSED_PAD src0_sel:WORD_1
	v_cvt_f32_f16_sdwa v25, v31 dst_sel:DWORD dst_unused:UNUSED_PAD src0_sel:WORD_1
	v_dot4c_i32_i8 v18, v20, v16
	v_dot4c_i32_i8 v30, v20, v48
	;; [unrolled: 1-line block ×7, first 2 shown]
	v_mul_f32_e32 v19, 4.0, v19
	v_mul_f32_e32 v27, 4.0, v34
	;; [unrolled: 1-line block ×7, first 2 shown]
	v_cvt_f32_i32_e32 v16, v18
	v_cvt_f32_i32_e32 v18, v30
	;; [unrolled: 1-line block ×7, first 2 shown]
	v_fma_mix_f32 v16, v16, v51, -v19 op_sel_hi:[0,1,0]
	v_fma_mix_f32 v18, v18, v53, -v27 op_sel_hi:[0,1,0]
	;; [unrolled: 1-line block ×7, first 2 shown]
	s_waitcnt vmcnt(0)
	v_fma_mix_f32 v11, v16, v17, v11 op_sel_hi:[0,1,0]
	v_fma_mix_f32 v9, v18, v17, v9 op_sel_hi:[0,1,0]
	;; [unrolled: 1-line block ×7, first 2 shown]
	s_andn2_b32 exec_lo, exec_lo, s16
	s_cbranch_execnz .LBB22_2
; %bb.3:
	s_or_b32 exec_lo, exec_lo, s16
.LBB22_4:
	s_or_b32 exec_lo, exec_lo, s9
	s_mov_b32 s1, 0
	; wave barrier
	buffer_gl0_inv
	s_mov_b32 s0, exec_lo
	v_cmpx_eq_u32_e32 0, v1
	s_cbranch_execz .LBB22_19
; %bb.5:
	v_mbcnt_lo_u32_b32 v12, -1, 0
	s_load_dwordx2 s[4:5], s[4:5], 0x38
	s_mul_i32 s0, s14, s7
	s_mul_i32 s3, s18, s8
	s_add_i32 s0, s0, s6
	v_xor_b32_e32 v1, 16, v12
	v_xor_b32_e32 v2, 8, v12
	s_add_i32 s0, s0, s3
	s_lshl_b64 s[0:1], s[0:1], 2
	v_cmp_gt_i32_e32 vcc_lo, 32, v1
	v_cndmask_b32_e32 v1, v12, v1, vcc_lo
	v_cmp_gt_i32_e32 vcc_lo, 32, v2
	v_lshlrev_b32_e32 v1, 2, v1
	v_cndmask_b32_e32 v2, v12, v2, vcc_lo
	s_waitcnt lgkmcnt(0)
	s_add_u32 s0, s4, s0
	s_addc_u32 s1, s5, s1
	ds_bpermute_b32 v3, v1, v11
	v_lshlrev_b32_e32 v2, 2, v2
	s_waitcnt lgkmcnt(0)
	v_add_f32_e32 v10, v11, v3
	v_xor_b32_e32 v3, 4, v12
	ds_bpermute_b32 v11, v2, v10
	v_cmp_gt_i32_e32 vcc_lo, 32, v3
	v_cndmask_b32_e32 v3, v12, v3, vcc_lo
	v_lshlrev_b32_e32 v3, 2, v3
	s_waitcnt lgkmcnt(0)
	v_add_f32_e32 v11, v10, v11
	v_xor_b32_e32 v10, 2, v12
	ds_bpermute_b32 v13, v3, v11
	v_cmp_gt_i32_e32 vcc_lo, 32, v10
	v_cndmask_b32_e32 v10, v12, v10, vcc_lo
	;; [unrolled: 7-line block ×3, first 2 shown]
	v_cmp_eq_u32_e32 vcc_lo, 0, v0
	v_lshlrev_b32_e32 v11, 2, v11
	s_waitcnt lgkmcnt(0)
	v_add_f32_e32 v12, v13, v14
	ds_bpermute_b32 v13, v11, v12
	s_and_saveexec_b32 s3, vcc_lo
	s_cbranch_execz .LBB22_7
; %bb.6:
	s_waitcnt lgkmcnt(0)
	v_add_f32_e32 v0, v12, v13
	v_mov_b32_e32 v12, 0
	global_store_dword v12, v0, s[0:1]
.LBB22_7:
	s_or_b32 exec_lo, exec_lo, s3
	ds_bpermute_b32 v0, v1, v9
	s_waitcnt lgkmcnt(0)
	v_add_f32_e32 v0, v9, v0
	ds_bpermute_b32 v9, v2, v0
	s_waitcnt lgkmcnt(0)
	v_add_f32_e32 v0, v0, v9
	;; [unrolled: 3-line block ×4, first 2 shown]
	ds_bpermute_b32 v9, v11, v0
	s_and_saveexec_b32 s4, vcc_lo
	s_cbranch_execz .LBB22_9
; %bb.8:
	s_mov_b32 s3, 0
	s_waitcnt lgkmcnt(0)
	v_add_f32_e32 v0, v0, v9
	s_lshl_b64 s[6:7], s[2:3], 2
	v_mov_b32_e32 v9, 0
	s_add_u32 s6, s0, s6
	s_addc_u32 s7, s1, s7
	global_store_dword v9, v0, s[6:7]
.LBB22_9:
	s_or_b32 exec_lo, exec_lo, s4
	ds_bpermute_b32 v0, v1, v8
	s_waitcnt lgkmcnt(0)
	v_add_f32_e32 v0, v8, v0
	ds_bpermute_b32 v8, v2, v0
	s_waitcnt lgkmcnt(0)
	v_add_f32_e32 v0, v0, v8
	;; [unrolled: 3-line block ×4, first 2 shown]
	ds_bpermute_b32 v8, v11, v0
	s_and_saveexec_b32 s3, vcc_lo
	s_cbranch_execz .LBB22_11
; %bb.10:
	s_lshl_b32 s4, s2, 1
	s_mov_b32 s5, 0
	s_waitcnt lgkmcnt(0)
	v_add_f32_e32 v0, v0, v8
	s_lshl_b64 s[4:5], s[4:5], 2
	v_mov_b32_e32 v8, 0
	s_add_u32 s4, s0, s4
	s_addc_u32 s5, s1, s5
	global_store_dword v8, v0, s[4:5]
.LBB22_11:
	s_or_b32 exec_lo, exec_lo, s3
	ds_bpermute_b32 v0, v1, v7
	s_waitcnt lgkmcnt(0)
	v_add_f32_e32 v0, v7, v0
	ds_bpermute_b32 v7, v2, v0
	s_waitcnt lgkmcnt(0)
	v_add_f32_e32 v0, v0, v7
	;; [unrolled: 3-line block ×4, first 2 shown]
	ds_bpermute_b32 v7, v11, v0
	s_and_saveexec_b32 s3, vcc_lo
	s_cbranch_execz .LBB22_13
; %bb.12:
	s_mul_i32 s4, s2, 3
	s_mov_b32 s5, 0
	s_waitcnt lgkmcnt(0)
	v_add_f32_e32 v0, v0, v7
	s_lshl_b64 s[4:5], s[4:5], 2
	v_mov_b32_e32 v7, 0
	s_add_u32 s4, s0, s4
	s_addc_u32 s5, s1, s5
	global_store_dword v7, v0, s[4:5]
.LBB22_13:
	s_or_b32 exec_lo, exec_lo, s3
	ds_bpermute_b32 v0, v1, v6
	s_waitcnt lgkmcnt(0)
	v_add_f32_e32 v0, v6, v0
	ds_bpermute_b32 v6, v2, v0
	s_waitcnt lgkmcnt(0)
	v_add_f32_e32 v0, v0, v6
	ds_bpermute_b32 v6, v3, v0
	s_waitcnt lgkmcnt(0)
	v_add_f32_e32 v0, v0, v6
	ds_bpermute_b32 v6, v10, v0
	s_waitcnt lgkmcnt(0)
	v_add_f32_e32 v0, v0, v6
	ds_bpermute_b32 v6, v11, v0
	s_and_saveexec_b32 s3, vcc_lo
	s_cbranch_execz .LBB22_15
; %bb.14:
	s_lshl_b32 s4, s2, 2
	s_mov_b32 s5, 0
	s_waitcnt lgkmcnt(0)
	v_add_f32_e32 v0, v0, v6
	s_lshl_b64 s[4:5], s[4:5], 2
	v_mov_b32_e32 v6, 0
	s_add_u32 s4, s0, s4
	s_addc_u32 s5, s1, s5
	global_store_dword v6, v0, s[4:5]
.LBB22_15:
	s_or_b32 exec_lo, exec_lo, s3
	ds_bpermute_b32 v0, v1, v5
	s_waitcnt lgkmcnt(0)
	v_add_f32_e32 v0, v5, v0
	ds_bpermute_b32 v5, v2, v0
	s_waitcnt lgkmcnt(0)
	v_add_f32_e32 v0, v0, v5
	;; [unrolled: 3-line block ×4, first 2 shown]
	ds_bpermute_b32 v5, v11, v0
	s_and_saveexec_b32 s3, vcc_lo
	s_cbranch_execz .LBB22_17
; %bb.16:
	s_mul_i32 s4, s2, 5
	s_mov_b32 s5, 0
	s_waitcnt lgkmcnt(0)
	v_add_f32_e32 v0, v0, v5
	s_lshl_b64 s[4:5], s[4:5], 2
	v_mov_b32_e32 v5, 0
	s_add_u32 s4, s0, s4
	s_addc_u32 s5, s1, s5
	global_store_dword v5, v0, s[4:5]
.LBB22_17:
	s_or_b32 exec_lo, exec_lo, s3
	ds_bpermute_b32 v0, v1, v4
	s_waitcnt lgkmcnt(0)
	v_add_f32_e32 v0, v4, v0
	ds_bpermute_b32 v1, v2, v0
	s_waitcnt lgkmcnt(0)
	v_add_f32_e32 v0, v0, v1
	;; [unrolled: 3-line block ×4, first 2 shown]
	ds_bpermute_b32 v1, v11, v0
	s_and_b32 exec_lo, exec_lo, vcc_lo
	s_cbranch_execz .LBB22_19
; %bb.18:
	s_mul_i32 s2, s2, 6
	s_mov_b32 s3, 0
	s_waitcnt lgkmcnt(0)
	v_add_f32_e32 v0, v0, v1
	s_lshl_b64 s[2:3], s[2:3], 2
	v_mov_b32_e32 v1, 0
	s_add_u32 s0, s0, s2
	s_addc_u32 s1, s1, s3
	global_store_dword v1, v0, s[0:1]
.LBB22_19:
	s_endpgm
	.section	.rodata,"a",@progbits
	.p2align	6, 0x0
	.amdhsa_kernel _ZL13mul_mat_vec_qIL9ggml_type2ELi7ELb0ELb0EEvPKvS2_PKi31ggml_cuda_mm_fusion_args_devicePfj15HIP_vector_typeIjLj3EEjjjS8_jjjS8_jjjj
		.amdhsa_group_segment_fixed_size 0
		.amdhsa_private_segment_fixed_size 0
		.amdhsa_kernarg_size 144
		.amdhsa_user_sgpr_count 6
		.amdhsa_user_sgpr_private_segment_buffer 1
		.amdhsa_user_sgpr_dispatch_ptr 0
		.amdhsa_user_sgpr_queue_ptr 0
		.amdhsa_user_sgpr_kernarg_segment_ptr 1
		.amdhsa_user_sgpr_dispatch_id 0
		.amdhsa_user_sgpr_flat_scratch_init 0
		.amdhsa_user_sgpr_private_segment_size 0
		.amdhsa_wavefront_size32 1
		.amdhsa_uses_dynamic_stack 0
		.amdhsa_system_sgpr_private_segment_wavefront_offset 0
		.amdhsa_system_sgpr_workgroup_id_x 1
		.amdhsa_system_sgpr_workgroup_id_y 1
		.amdhsa_system_sgpr_workgroup_id_z 1
		.amdhsa_system_sgpr_workgroup_info 0
		.amdhsa_system_vgpr_workitem_id 1
		.amdhsa_next_free_vgpr 61
		.amdhsa_next_free_sgpr 26
		.amdhsa_reserve_vcc 1
		.amdhsa_reserve_flat_scratch 0
		.amdhsa_float_round_mode_32 0
		.amdhsa_float_round_mode_16_64 0
		.amdhsa_float_denorm_mode_32 3
		.amdhsa_float_denorm_mode_16_64 3
		.amdhsa_dx10_clamp 1
		.amdhsa_ieee_mode 1
		.amdhsa_fp16_overflow 0
		.amdhsa_workgroup_processor_mode 1
		.amdhsa_memory_ordered 1
		.amdhsa_forward_progress 1
		.amdhsa_shared_vgpr_count 0
		.amdhsa_exception_fp_ieee_invalid_op 0
		.amdhsa_exception_fp_denorm_src 0
		.amdhsa_exception_fp_ieee_div_zero 0
		.amdhsa_exception_fp_ieee_overflow 0
		.amdhsa_exception_fp_ieee_underflow 0
		.amdhsa_exception_fp_ieee_inexact 0
		.amdhsa_exception_int_div_zero 0
	.end_amdhsa_kernel
	.section	.text._ZL13mul_mat_vec_qIL9ggml_type2ELi7ELb0ELb0EEvPKvS2_PKi31ggml_cuda_mm_fusion_args_devicePfj15HIP_vector_typeIjLj3EEjjjS8_jjjS8_jjjj,"axG",@progbits,_ZL13mul_mat_vec_qIL9ggml_type2ELi7ELb0ELb0EEvPKvS2_PKi31ggml_cuda_mm_fusion_args_devicePfj15HIP_vector_typeIjLj3EEjjjS8_jjjS8_jjjj,comdat
.Lfunc_end22:
	.size	_ZL13mul_mat_vec_qIL9ggml_type2ELi7ELb0ELb0EEvPKvS2_PKi31ggml_cuda_mm_fusion_args_devicePfj15HIP_vector_typeIjLj3EEjjjS8_jjjS8_jjjj, .Lfunc_end22-_ZL13mul_mat_vec_qIL9ggml_type2ELi7ELb0ELb0EEvPKvS2_PKi31ggml_cuda_mm_fusion_args_devicePfj15HIP_vector_typeIjLj3EEjjjS8_jjjS8_jjjj
                                        ; -- End function
	.set _ZL13mul_mat_vec_qIL9ggml_type2ELi7ELb0ELb0EEvPKvS2_PKi31ggml_cuda_mm_fusion_args_devicePfj15HIP_vector_typeIjLj3EEjjjS8_jjjS8_jjjj.num_vgpr, 61
	.set _ZL13mul_mat_vec_qIL9ggml_type2ELi7ELb0ELb0EEvPKvS2_PKi31ggml_cuda_mm_fusion_args_devicePfj15HIP_vector_typeIjLj3EEjjjS8_jjjS8_jjjj.num_agpr, 0
	.set _ZL13mul_mat_vec_qIL9ggml_type2ELi7ELb0ELb0EEvPKvS2_PKi31ggml_cuda_mm_fusion_args_devicePfj15HIP_vector_typeIjLj3EEjjjS8_jjjS8_jjjj.numbered_sgpr, 26
	.set _ZL13mul_mat_vec_qIL9ggml_type2ELi7ELb0ELb0EEvPKvS2_PKi31ggml_cuda_mm_fusion_args_devicePfj15HIP_vector_typeIjLj3EEjjjS8_jjjS8_jjjj.num_named_barrier, 0
	.set _ZL13mul_mat_vec_qIL9ggml_type2ELi7ELb0ELb0EEvPKvS2_PKi31ggml_cuda_mm_fusion_args_devicePfj15HIP_vector_typeIjLj3EEjjjS8_jjjS8_jjjj.private_seg_size, 0
	.set _ZL13mul_mat_vec_qIL9ggml_type2ELi7ELb0ELb0EEvPKvS2_PKi31ggml_cuda_mm_fusion_args_devicePfj15HIP_vector_typeIjLj3EEjjjS8_jjjS8_jjjj.uses_vcc, 1
	.set _ZL13mul_mat_vec_qIL9ggml_type2ELi7ELb0ELb0EEvPKvS2_PKi31ggml_cuda_mm_fusion_args_devicePfj15HIP_vector_typeIjLj3EEjjjS8_jjjS8_jjjj.uses_flat_scratch, 0
	.set _ZL13mul_mat_vec_qIL9ggml_type2ELi7ELb0ELb0EEvPKvS2_PKi31ggml_cuda_mm_fusion_args_devicePfj15HIP_vector_typeIjLj3EEjjjS8_jjjS8_jjjj.has_dyn_sized_stack, 0
	.set _ZL13mul_mat_vec_qIL9ggml_type2ELi7ELb0ELb0EEvPKvS2_PKi31ggml_cuda_mm_fusion_args_devicePfj15HIP_vector_typeIjLj3EEjjjS8_jjjS8_jjjj.has_recursion, 0
	.set _ZL13mul_mat_vec_qIL9ggml_type2ELi7ELb0ELb0EEvPKvS2_PKi31ggml_cuda_mm_fusion_args_devicePfj15HIP_vector_typeIjLj3EEjjjS8_jjjS8_jjjj.has_indirect_call, 0
	.section	.AMDGPU.csdata,"",@progbits
; Kernel info:
; codeLenInByte = 2208
; TotalNumSgprs: 28
; NumVgprs: 61
; ScratchSize: 0
; MemoryBound: 0
; FloatMode: 240
; IeeeMode: 1
; LDSByteSize: 0 bytes/workgroup (compile time only)
; SGPRBlocks: 0
; VGPRBlocks: 7
; NumSGPRsForWavesPerEU: 28
; NumVGPRsForWavesPerEU: 61
; Occupancy: 16
; WaveLimiterHint : 0
; COMPUTE_PGM_RSRC2:SCRATCH_EN: 0
; COMPUTE_PGM_RSRC2:USER_SGPR: 6
; COMPUTE_PGM_RSRC2:TRAP_HANDLER: 0
; COMPUTE_PGM_RSRC2:TGID_X_EN: 1
; COMPUTE_PGM_RSRC2:TGID_Y_EN: 1
; COMPUTE_PGM_RSRC2:TGID_Z_EN: 1
; COMPUTE_PGM_RSRC2:TIDIG_COMP_CNT: 1
	.section	.text._ZL13mul_mat_vec_qIL9ggml_type2ELi8ELb0ELb0EEvPKvS2_PKi31ggml_cuda_mm_fusion_args_devicePfj15HIP_vector_typeIjLj3EEjjjS8_jjjS8_jjjj,"axG",@progbits,_ZL13mul_mat_vec_qIL9ggml_type2ELi8ELb0ELb0EEvPKvS2_PKi31ggml_cuda_mm_fusion_args_devicePfj15HIP_vector_typeIjLj3EEjjjS8_jjjS8_jjjj,comdat
	.globl	_ZL13mul_mat_vec_qIL9ggml_type2ELi8ELb0ELb0EEvPKvS2_PKi31ggml_cuda_mm_fusion_args_devicePfj15HIP_vector_typeIjLj3EEjjjS8_jjjS8_jjjj ; -- Begin function _ZL13mul_mat_vec_qIL9ggml_type2ELi8ELb0ELb0EEvPKvS2_PKi31ggml_cuda_mm_fusion_args_devicePfj15HIP_vector_typeIjLj3EEjjjS8_jjjS8_jjjj
	.p2align	8
	.type	_ZL13mul_mat_vec_qIL9ggml_type2ELi8ELb0ELb0EEvPKvS2_PKi31ggml_cuda_mm_fusion_args_devicePfj15HIP_vector_typeIjLj3EEjjjS8_jjjS8_jjjj,@function
_ZL13mul_mat_vec_qIL9ggml_type2ELi8ELb0ELb0EEvPKvS2_PKi31ggml_cuda_mm_fusion_args_devicePfj15HIP_vector_typeIjLj3EEjjjS8_jjjS8_jjjj: ; @_ZL13mul_mat_vec_qIL9ggml_type2ELi8ELb0ELb0EEvPKvS2_PKi31ggml_cuda_mm_fusion_args_devicePfj15HIP_vector_typeIjLj3EEjjjS8_jjjS8_jjjj
; %bb.0:
	s_clause 0x5
	s_load_dwordx4 s[16:19], s[4:5], 0x80
	s_load_dword s9, s[4:5], 0x40
	s_load_dwordx4 s[0:3], s[4:5], 0x50
	s_load_dword s24, s[4:5], 0x60
	s_load_dwordx4 s[12:15], s[4:5], 0x68
	s_load_dword s25, s[4:5], 0x78
	v_lshl_or_b32 v2, v1, 5, v0
	v_mov_b32_e32 v4, 0
	v_mov_b32_e32 v5, 0
	v_mov_b32_e32 v6, 0
	v_mov_b32_e32 v7, 0
	v_lshrrev_b16 v3, 1, v2
	v_mov_b32_e32 v8, 0
	v_mov_b32_e32 v9, 0
	;; [unrolled: 1-line block ×4, first 2 shown]
	v_and_b32_e32 v11, 0xffff, v3
	s_waitcnt lgkmcnt(0)
	s_lshr_b32 s19, s9, 5
	s_mov_b32 s9, exec_lo
	v_cmpx_gt_u32_e64 s19, v11
	s_cbranch_execz .LBB23_4
; %bb.1:
	s_load_dwordx4 s[20:23], s[4:5], 0x0
	v_lshlrev_b32_e32 v3, 1, v0
	s_mul_i32 s10, s17, s8
	s_mul_i32 s11, s13, s7
	;; [unrolled: 1-line block ×3, first 2 shown]
	s_mul_hi_u32 s0, s3, s7
	s_mul_hi_u32 s3, s15, s8
	v_and_b32_e32 v5, 1, v0
	s_mul_hi_u32 s15, s10, 36
	v_and_b32_e32 v6, 2, v3
	s_mul_i32 s10, s10, 36
	v_lshrrev_b32_e32 v2, 1, v2
	s_mul_hi_u32 s17, s11, 36
	s_mul_i32 s11, s11, 36
	v_lshlrev_b32_e32 v13, 3, v5
	v_lshlrev_b32_e32 v5, 1, v6
	v_mov_b32_e32 v4, 0
	v_lshlrev_b32_e32 v15, 2, v6
	v_mov_b32_e32 v6, 0
	v_mov_b32_e32 v7, 0
	s_waitcnt lgkmcnt(0)
	s_add_u32 s10, s22, s10
	s_addc_u32 s15, s23, s15
	s_add_u32 s10, s10, s11
	s_addc_u32 s11, s15, s17
	s_add_i32 s15, s7, s0
	s_add_i32 s3, s8, s3
	s_lshr_b32 s15, s15, s24
	v_mad_u64_u32 v[2:3], null, v2, 36, s[10:11]
	s_lshr_b32 s3, s3, s25
	s_mul_i32 s12, s15, s12
	v_lshlrev_b32_e32 v14, 1, v5
	v_mov_b32_e32 v5, 0
	v_mov_b32_e32 v8, 0
	;; [unrolled: 1-line block ×5, first 2 shown]
	s_mul_i32 s3, s3, s16
	s_add_i32 s12, s12, s13
	s_lshl_b32 s0, s1, 1
	s_add_i32 s3, s3, s12
	s_mul_i32 s12, s1, 3
	s_lshl_b32 s13, s1, 2
	s_mul_i32 s15, s1, 5
	s_mul_i32 s16, s1, 6
	;; [unrolled: 1-line block ×3, first 2 shown]
	s_mov_b32 s17, 0
.LBB23_2:                               ; =>This Inner Loop Header: Depth=1
	v_add_nc_u32_e32 v18, s3, v11
	v_add_nc_u32_e32 v22, s1, v11
	;; [unrolled: 1-line block ×4, first 2 shown]
	v_add_co_u32 v16, vcc_lo, v2, v13
	v_mad_i64_i32 v[18:19], null, v18, 18, s[20:21]
	v_mad_u64_u32 v[22:23], null, v22, 36, s[10:11]
	v_add_nc_u32_e32 v28, s13, v11
	v_add_co_ci_u32_e64 v17, null, 0, v3, vcc_lo
	v_mad_u64_u32 v[24:25], null, v24, 36, s[10:11]
	v_add_nc_u32_e32 v30, s15, v11
	v_mad_u64_u32 v[26:27], null, v26, 36, s[10:11]
	v_add_nc_u32_e32 v32, s16, v11
	v_mad_u64_u32 v[28:29], null, v28, 36, s[10:11]
	v_add_co_u32 v36, vcc_lo, v18, v14
	s_clause 0x2
	global_load_dword v60, v[2:3], off
	global_load_dwordx2 v[20:21], v[16:17], off offset:4
	global_load_dwordx2 v[16:17], v[16:17], off offset:20
	v_mad_u64_u32 v[30:31], null, v30, 36, s[10:11]
	v_add_co_ci_u32_e64 v37, null, 0, v19, vcc_lo
	v_add_co_u32 v38, vcc_lo, v22, v15
	v_mad_u64_u32 v[32:33], null, v32, 36, s[10:11]
	v_add_co_ci_u32_e64 v39, null, 0, v23, vcc_lo
	v_add_co_u32 v40, vcc_lo, v24, v15
	v_add_co_ci_u32_e64 v41, null, 0, v25, vcc_lo
	v_add_co_u32 v42, vcc_lo, v26, v15
	;; [unrolled: 2-line block ×5, first 2 shown]
	v_add_co_ci_u32_e64 v49, null, 0, v33, vcc_lo
	global_load_dwordx2 v[36:37], v[36:37], off offset:2
	s_clause 0x9
	global_load_dwordx2 v[52:53], v[38:39], off offset:4
	global_load_dwordx2 v[38:39], v[38:39], off offset:20
	;; [unrolled: 1-line block ×8, first 2 shown]
	global_load_dword v62, v[24:25], off
	global_load_dword v63, v[22:23], off
	global_load_ushort v64, v[18:19], off
	s_clause 0x7
	global_load_dwordx2 v[18:19], v[46:47], off offset:4
	global_load_dword v65, v[26:27], off
	global_load_dword v66, v[28:29], off
	global_load_dwordx2 v[22:23], v[46:47], off offset:20
	global_load_dword v32, v[32:33], off
	global_load_dword v30, v[30:31], off
	global_load_dwordx2 v[24:25], v[48:49], off offset:4
	global_load_dwordx2 v[26:27], v[48:49], off offset:20
	v_add_nc_u32_e32 v34, s22, v11
	v_mov_b32_e32 v61, 0
	v_mov_b32_e32 v46, 0
	;; [unrolled: 1-line block ×3, first 2 shown]
	v_add_nc_u32_e32 v11, 16, v11
	v_mad_u64_u32 v[34:35], null, v34, 36, s[10:11]
	v_add_co_u32 v50, vcc_lo, v34, v15
	v_add_co_ci_u32_e64 v51, null, 0, v35, vcc_lo
	v_add_co_u32 v2, vcc_lo, 0x240, v2
	v_add_co_ci_u32_e64 v3, null, 0, v3, vcc_lo
	v_cmp_le_u32_e32 vcc_lo, s19, v11
	s_or_b32 s17, vcc_lo, s17
	s_waitcnt vmcnt(22)
	v_cvt_f32_f16_sdwa v48, v60 dst_sel:DWORD dst_unused:UNUSED_PAD src0_sel:WORD_1
	v_mul_f32_e32 v48, 4.0, v48
	s_waitcnt vmcnt(19)
	v_lshrrev_b32_e32 v28, 4, v36
	v_and_b32_e32 v31, 0xf0f0f0f, v36
	v_and_b32_e32 v33, 0xf0f0f0f, v37
	v_lshrrev_b32_e32 v37, 4, v37
	v_and_b32_e32 v36, 0xf0f0f0f, v28
	v_dot4c_i32_i8 v61, v31, v20
	s_waitcnt vmcnt(10)
	v_cvt_f32_f16_sdwa v49, v62 dst_sel:DWORD dst_unused:UNUSED_PAD src0_sel:WORD_1
	v_dot4c_i32_i8 v61, v36, v16
	s_waitcnt vmcnt(7)
	v_dot4c_i32_i8 v46, v31, v18
	s_waitcnt vmcnt(6)
	v_cvt_f32_f16_sdwa v18, v65 dst_sel:DWORD dst_unused:UNUSED_PAD src0_sel:WORD_1
	v_dot4c_i32_i8 v61, v33, v21
	s_clause 0x2
	global_load_dwordx2 v[20:21], v[50:51], off offset:20
	global_load_dwordx2 v[28:29], v[50:51], off offset:4
	global_load_dword v16, v[34:35], off
	v_mov_b32_e32 v34, 0
	v_mov_b32_e32 v35, 0
	s_waitcnt vmcnt(7)
	v_dot4c_i32_i8 v46, v36, v22
	s_waitcnt vmcnt(5)
	v_cvt_f32_f16_sdwa v22, v30 dst_sel:DWORD dst_unused:UNUSED_PAD src0_sel:WORD_1
	v_mul_f32_e32 v18, 4.0, v18
	v_dot4c_i32_i8 v34, v31, v52
	v_dot4c_i32_i8 v35, v31, v54
	;; [unrolled: 1-line block ×3, first 2 shown]
	v_cvt_f32_f16_sdwa v19, v66 dst_sel:DWORD dst_unused:UNUSED_PAD src0_sel:WORD_1
	v_mul_f32_e32 v22, 4.0, v22
	v_dot4c_i32_i8 v34, v36, v38
	v_mov_b32_e32 v38, 0
	v_dot4c_i32_i8 v35, v36, v40
	v_mov_b32_e32 v40, 0
	v_mul_f32_e32 v19, 4.0, v19
	v_dot4c_i32_i8 v34, v33, v53
	v_dot4c_i32_i8 v38, v31, v56
	;; [unrolled: 1-line block ×5, first 2 shown]
	v_mov_b32_e32 v42, 0
	v_dot4c_i32_i8 v40, v36, v44
	v_cvt_f32_f16_sdwa v44, v63 dst_sel:DWORD dst_unused:UNUSED_PAD src0_sel:WORD_1
	v_dot4c_i32_i8 v38, v33, v57
	s_waitcnt vmcnt(4)
	v_dot4c_i32_i8 v42, v31, v24
	v_dot4c_i32_i8 v40, v33, v59
	v_cvt_f32_f16_sdwa v24, v32 dst_sel:DWORD dst_unused:UNUSED_PAD src0_sel:WORD_1
	s_waitcnt vmcnt(3)
	v_dot4c_i32_i8 v42, v36, v26
	v_and_b32_e32 v26, 0xf0f0f0f, v37
	v_mul_f32_e32 v24, 4.0, v24
	v_dot4c_i32_i8 v42, v33, v25
	v_dot4c_i32_i8 v61, v26, v17
	;; [unrolled: 1-line block ×8, first 2 shown]
	v_cvt_f32_i32_e32 v17, v61
	v_cvt_f32_i32_e32 v23, v38
	;; [unrolled: 1-line block ×3, first 2 shown]
	v_fma_mix_f32 v17, v17, v60, -v48 op_sel_hi:[0,1,0]
	v_fma_mix_f32 v18, v23, v65, -v18 op_sel_hi:[0,1,0]
	;; [unrolled: 1-line block ×3, first 2 shown]
	v_fma_mix_f32 v12, v17, v64, v12 op_sel_hi:[0,1,0]
	v_fma_mix_f32 v8, v18, v64, v8 op_sel_hi:[0,1,0]
	;; [unrolled: 1-line block ×3, first 2 shown]
	s_waitcnt vmcnt(1)
	v_dot4c_i32_i8 v47, v31, v28
	s_waitcnt vmcnt(0)
	v_cvt_f32_f16_sdwa v25, v16 dst_sel:DWORD dst_unused:UNUSED_PAD src0_sel:WORD_1
	v_mul_f32_e32 v28, 4.0, v44
	v_mul_f32_e32 v31, 4.0, v49
	v_dot4c_i32_i8 v47, v36, v20
	v_mul_f32_e32 v25, 4.0, v25
	v_cvt_f32_i32_e32 v20, v34
	v_dot4c_i32_i8 v47, v33, v29
	v_cvt_f32_i32_e32 v29, v42
	v_fma_mix_f32 v20, v20, v63, -v28 op_sel_hi:[0,1,0]
	v_dot4c_i32_i8 v47, v26, v21
	v_cvt_f32_i32_e32 v21, v35
	v_cvt_f32_i32_e32 v26, v40
	v_fma_mix_f32 v23, v29, v32, -v24 op_sel_hi:[0,1,0]
	v_fma_mix_f32 v10, v20, v64, v10 op_sel_hi:[0,1,0]
	v_cvt_f32_i32_e32 v33, v47
	v_fma_mix_f32 v21, v21, v62, -v31 op_sel_hi:[0,1,0]
	v_fma_mix_f32 v19, v26, v66, -v19 op_sel_hi:[0,1,0]
	v_fma_mix_f32 v5, v23, v64, v5 op_sel_hi:[0,1,0]
	v_fma_mix_f32 v16, v33, v16, -v25 op_sel_hi:[0,1,0]
	v_fma_mix_f32 v9, v21, v64, v9 op_sel_hi:[0,1,0]
	v_fma_mix_f32 v7, v19, v64, v7 op_sel_hi:[0,1,0]
	v_fma_mix_f32 v4, v16, v64, v4 op_sel_hi:[0,1,0]
	s_andn2_b32 exec_lo, exec_lo, s17
	s_cbranch_execnz .LBB23_2
; %bb.3:
	s_or_b32 exec_lo, exec_lo, s17
.LBB23_4:
	s_or_b32 exec_lo, exec_lo, s9
	s_mov_b32 s1, 0
	; wave barrier
	buffer_gl0_inv
	s_mov_b32 s0, exec_lo
	v_cmpx_eq_u32_e32 0, v1
	s_cbranch_execz .LBB23_21
; %bb.5:
	v_mbcnt_lo_u32_b32 v13, -1, 0
	s_load_dwordx2 s[4:5], s[4:5], 0x38
	s_mul_i32 s0, s14, s7
	s_mul_i32 s3, s18, s8
	s_add_i32 s0, s0, s6
	v_xor_b32_e32 v1, 16, v13
	v_xor_b32_e32 v2, 8, v13
	s_add_i32 s0, s0, s3
	s_lshl_b64 s[0:1], s[0:1], 2
	v_cmp_gt_i32_e32 vcc_lo, 32, v1
	v_cndmask_b32_e32 v1, v13, v1, vcc_lo
	v_cmp_gt_i32_e32 vcc_lo, 32, v2
	v_lshlrev_b32_e32 v1, 2, v1
	v_cndmask_b32_e32 v2, v13, v2, vcc_lo
	s_waitcnt lgkmcnt(0)
	s_add_u32 s0, s4, s0
	s_addc_u32 s1, s5, s1
	ds_bpermute_b32 v3, v1, v12
	v_lshlrev_b32_e32 v2, 2, v2
	s_waitcnt lgkmcnt(0)
	v_add_f32_e32 v11, v12, v3
	v_xor_b32_e32 v3, 4, v13
	ds_bpermute_b32 v12, v2, v11
	v_cmp_gt_i32_e32 vcc_lo, 32, v3
	v_cndmask_b32_e32 v3, v13, v3, vcc_lo
	v_lshlrev_b32_e32 v3, 2, v3
	s_waitcnt lgkmcnt(0)
	v_add_f32_e32 v12, v11, v12
	v_xor_b32_e32 v11, 2, v13
	ds_bpermute_b32 v14, v3, v12
	v_cmp_gt_i32_e32 vcc_lo, 32, v11
	v_cndmask_b32_e32 v11, v13, v11, vcc_lo
	;; [unrolled: 7-line block ×3, first 2 shown]
	v_cmp_eq_u32_e32 vcc_lo, 0, v0
	v_lshlrev_b32_e32 v12, 2, v12
	s_waitcnt lgkmcnt(0)
	v_add_f32_e32 v13, v14, v15
	ds_bpermute_b32 v14, v12, v13
	s_and_saveexec_b32 s3, vcc_lo
	s_cbranch_execz .LBB23_7
; %bb.6:
	s_waitcnt lgkmcnt(0)
	v_add_f32_e32 v0, v13, v14
	v_mov_b32_e32 v13, 0
	global_store_dword v13, v0, s[0:1]
.LBB23_7:
	s_or_b32 exec_lo, exec_lo, s3
	ds_bpermute_b32 v0, v1, v10
	s_waitcnt lgkmcnt(0)
	v_add_f32_e32 v0, v10, v0
	ds_bpermute_b32 v10, v2, v0
	s_waitcnt lgkmcnt(0)
	v_add_f32_e32 v0, v0, v10
	;; [unrolled: 3-line block ×4, first 2 shown]
	ds_bpermute_b32 v10, v12, v0
	s_and_saveexec_b32 s4, vcc_lo
	s_cbranch_execz .LBB23_9
; %bb.8:
	s_mov_b32 s3, 0
	s_waitcnt lgkmcnt(0)
	v_add_f32_e32 v0, v0, v10
	s_lshl_b64 s[6:7], s[2:3], 2
	v_mov_b32_e32 v10, 0
	s_add_u32 s6, s0, s6
	s_addc_u32 s7, s1, s7
	global_store_dword v10, v0, s[6:7]
.LBB23_9:
	s_or_b32 exec_lo, exec_lo, s4
	ds_bpermute_b32 v0, v1, v9
	s_waitcnt lgkmcnt(0)
	v_add_f32_e32 v0, v9, v0
	ds_bpermute_b32 v9, v2, v0
	s_waitcnt lgkmcnt(0)
	v_add_f32_e32 v0, v0, v9
	;; [unrolled: 3-line block ×4, first 2 shown]
	ds_bpermute_b32 v9, v12, v0
	s_and_saveexec_b32 s3, vcc_lo
	s_cbranch_execz .LBB23_11
; %bb.10:
	s_lshl_b32 s4, s2, 1
	s_mov_b32 s5, 0
	s_waitcnt lgkmcnt(0)
	v_add_f32_e32 v0, v0, v9
	s_lshl_b64 s[4:5], s[4:5], 2
	v_mov_b32_e32 v9, 0
	s_add_u32 s4, s0, s4
	s_addc_u32 s5, s1, s5
	global_store_dword v9, v0, s[4:5]
.LBB23_11:
	s_or_b32 exec_lo, exec_lo, s3
	ds_bpermute_b32 v0, v1, v8
	s_waitcnt lgkmcnt(0)
	v_add_f32_e32 v0, v8, v0
	ds_bpermute_b32 v8, v2, v0
	s_waitcnt lgkmcnt(0)
	v_add_f32_e32 v0, v0, v8
	;; [unrolled: 3-line block ×4, first 2 shown]
	ds_bpermute_b32 v8, v12, v0
	s_and_saveexec_b32 s3, vcc_lo
	s_cbranch_execz .LBB23_13
; %bb.12:
	s_mul_i32 s4, s2, 3
	s_mov_b32 s5, 0
	s_waitcnt lgkmcnt(0)
	v_add_f32_e32 v0, v0, v8
	s_lshl_b64 s[4:5], s[4:5], 2
	v_mov_b32_e32 v8, 0
	s_add_u32 s4, s0, s4
	s_addc_u32 s5, s1, s5
	global_store_dword v8, v0, s[4:5]
.LBB23_13:
	s_or_b32 exec_lo, exec_lo, s3
	ds_bpermute_b32 v0, v1, v7
	s_waitcnt lgkmcnt(0)
	v_add_f32_e32 v0, v7, v0
	ds_bpermute_b32 v7, v2, v0
	s_waitcnt lgkmcnt(0)
	v_add_f32_e32 v0, v0, v7
	;; [unrolled: 3-line block ×4, first 2 shown]
	ds_bpermute_b32 v7, v12, v0
	s_and_saveexec_b32 s3, vcc_lo
	s_cbranch_execz .LBB23_15
; %bb.14:
	s_lshl_b32 s4, s2, 2
	s_mov_b32 s5, 0
	s_waitcnt lgkmcnt(0)
	v_add_f32_e32 v0, v0, v7
	s_lshl_b64 s[4:5], s[4:5], 2
	v_mov_b32_e32 v7, 0
	s_add_u32 s4, s0, s4
	s_addc_u32 s5, s1, s5
	global_store_dword v7, v0, s[4:5]
.LBB23_15:
	s_or_b32 exec_lo, exec_lo, s3
	ds_bpermute_b32 v0, v1, v6
	s_waitcnt lgkmcnt(0)
	v_add_f32_e32 v0, v6, v0
	ds_bpermute_b32 v6, v2, v0
	s_waitcnt lgkmcnt(0)
	v_add_f32_e32 v0, v0, v6
	;; [unrolled: 3-line block ×4, first 2 shown]
	ds_bpermute_b32 v6, v12, v0
	s_and_saveexec_b32 s3, vcc_lo
	s_cbranch_execz .LBB23_17
; %bb.16:
	s_mul_i32 s4, s2, 5
	s_mov_b32 s5, 0
	s_waitcnt lgkmcnt(0)
	v_add_f32_e32 v0, v0, v6
	s_lshl_b64 s[4:5], s[4:5], 2
	v_mov_b32_e32 v6, 0
	s_add_u32 s4, s0, s4
	s_addc_u32 s5, s1, s5
	global_store_dword v6, v0, s[4:5]
.LBB23_17:
	s_or_b32 exec_lo, exec_lo, s3
	ds_bpermute_b32 v0, v1, v5
	s_waitcnt lgkmcnt(0)
	v_add_f32_e32 v0, v5, v0
	ds_bpermute_b32 v5, v2, v0
	s_waitcnt lgkmcnt(0)
	v_add_f32_e32 v0, v0, v5
	;; [unrolled: 3-line block ×4, first 2 shown]
	ds_bpermute_b32 v5, v12, v0
	s_and_saveexec_b32 s3, vcc_lo
	s_cbranch_execz .LBB23_19
; %bb.18:
	s_mul_i32 s4, s2, 6
	s_mov_b32 s5, 0
	s_waitcnt lgkmcnt(0)
	v_add_f32_e32 v0, v0, v5
	s_lshl_b64 s[4:5], s[4:5], 2
	v_mov_b32_e32 v5, 0
	s_add_u32 s4, s0, s4
	s_addc_u32 s5, s1, s5
	global_store_dword v5, v0, s[4:5]
.LBB23_19:
	s_or_b32 exec_lo, exec_lo, s3
	ds_bpermute_b32 v0, v1, v4
	s_waitcnt lgkmcnt(0)
	v_add_f32_e32 v0, v4, v0
	ds_bpermute_b32 v1, v2, v0
	s_waitcnt lgkmcnt(0)
	v_add_f32_e32 v0, v0, v1
	ds_bpermute_b32 v1, v3, v0
	s_waitcnt lgkmcnt(0)
	v_add_f32_e32 v0, v0, v1
	ds_bpermute_b32 v1, v11, v0
	s_waitcnt lgkmcnt(0)
	v_add_f32_e32 v0, v0, v1
	ds_bpermute_b32 v1, v12, v0
	s_and_b32 exec_lo, exec_lo, vcc_lo
	s_cbranch_execz .LBB23_21
; %bb.20:
	s_mul_i32 s2, s2, 7
	s_mov_b32 s3, 0
	s_waitcnt lgkmcnt(0)
	v_add_f32_e32 v0, v0, v1
	s_lshl_b64 s[2:3], s[2:3], 2
	v_mov_b32_e32 v1, 0
	s_add_u32 s0, s0, s2
	s_addc_u32 s1, s1, s3
	global_store_dword v1, v0, s[0:1]
.LBB23_21:
	s_endpgm
	.section	.rodata,"a",@progbits
	.p2align	6, 0x0
	.amdhsa_kernel _ZL13mul_mat_vec_qIL9ggml_type2ELi8ELb0ELb0EEvPKvS2_PKi31ggml_cuda_mm_fusion_args_devicePfj15HIP_vector_typeIjLj3EEjjjS8_jjjS8_jjjj
		.amdhsa_group_segment_fixed_size 0
		.amdhsa_private_segment_fixed_size 0
		.amdhsa_kernarg_size 144
		.amdhsa_user_sgpr_count 6
		.amdhsa_user_sgpr_private_segment_buffer 1
		.amdhsa_user_sgpr_dispatch_ptr 0
		.amdhsa_user_sgpr_queue_ptr 0
		.amdhsa_user_sgpr_kernarg_segment_ptr 1
		.amdhsa_user_sgpr_dispatch_id 0
		.amdhsa_user_sgpr_flat_scratch_init 0
		.amdhsa_user_sgpr_private_segment_size 0
		.amdhsa_wavefront_size32 1
		.amdhsa_uses_dynamic_stack 0
		.amdhsa_system_sgpr_private_segment_wavefront_offset 0
		.amdhsa_system_sgpr_workgroup_id_x 1
		.amdhsa_system_sgpr_workgroup_id_y 1
		.amdhsa_system_sgpr_workgroup_id_z 1
		.amdhsa_system_sgpr_workgroup_info 0
		.amdhsa_system_vgpr_workitem_id 1
		.amdhsa_next_free_vgpr 67
		.amdhsa_next_free_sgpr 26
		.amdhsa_reserve_vcc 1
		.amdhsa_reserve_flat_scratch 0
		.amdhsa_float_round_mode_32 0
		.amdhsa_float_round_mode_16_64 0
		.amdhsa_float_denorm_mode_32 3
		.amdhsa_float_denorm_mode_16_64 3
		.amdhsa_dx10_clamp 1
		.amdhsa_ieee_mode 1
		.amdhsa_fp16_overflow 0
		.amdhsa_workgroup_processor_mode 1
		.amdhsa_memory_ordered 1
		.amdhsa_forward_progress 1
		.amdhsa_shared_vgpr_count 0
		.amdhsa_exception_fp_ieee_invalid_op 0
		.amdhsa_exception_fp_denorm_src 0
		.amdhsa_exception_fp_ieee_div_zero 0
		.amdhsa_exception_fp_ieee_overflow 0
		.amdhsa_exception_fp_ieee_underflow 0
		.amdhsa_exception_fp_ieee_inexact 0
		.amdhsa_exception_int_div_zero 0
	.end_amdhsa_kernel
	.section	.text._ZL13mul_mat_vec_qIL9ggml_type2ELi8ELb0ELb0EEvPKvS2_PKi31ggml_cuda_mm_fusion_args_devicePfj15HIP_vector_typeIjLj3EEjjjS8_jjjS8_jjjj,"axG",@progbits,_ZL13mul_mat_vec_qIL9ggml_type2ELi8ELb0ELb0EEvPKvS2_PKi31ggml_cuda_mm_fusion_args_devicePfj15HIP_vector_typeIjLj3EEjjjS8_jjjS8_jjjj,comdat
.Lfunc_end23:
	.size	_ZL13mul_mat_vec_qIL9ggml_type2ELi8ELb0ELb0EEvPKvS2_PKi31ggml_cuda_mm_fusion_args_devicePfj15HIP_vector_typeIjLj3EEjjjS8_jjjS8_jjjj, .Lfunc_end23-_ZL13mul_mat_vec_qIL9ggml_type2ELi8ELb0ELb0EEvPKvS2_PKi31ggml_cuda_mm_fusion_args_devicePfj15HIP_vector_typeIjLj3EEjjjS8_jjjS8_jjjj
                                        ; -- End function
	.set _ZL13mul_mat_vec_qIL9ggml_type2ELi8ELb0ELb0EEvPKvS2_PKi31ggml_cuda_mm_fusion_args_devicePfj15HIP_vector_typeIjLj3EEjjjS8_jjjS8_jjjj.num_vgpr, 67
	.set _ZL13mul_mat_vec_qIL9ggml_type2ELi8ELb0ELb0EEvPKvS2_PKi31ggml_cuda_mm_fusion_args_devicePfj15HIP_vector_typeIjLj3EEjjjS8_jjjS8_jjjj.num_agpr, 0
	.set _ZL13mul_mat_vec_qIL9ggml_type2ELi8ELb0ELb0EEvPKvS2_PKi31ggml_cuda_mm_fusion_args_devicePfj15HIP_vector_typeIjLj3EEjjjS8_jjjS8_jjjj.numbered_sgpr, 26
	.set _ZL13mul_mat_vec_qIL9ggml_type2ELi8ELb0ELb0EEvPKvS2_PKi31ggml_cuda_mm_fusion_args_devicePfj15HIP_vector_typeIjLj3EEjjjS8_jjjS8_jjjj.num_named_barrier, 0
	.set _ZL13mul_mat_vec_qIL9ggml_type2ELi8ELb0ELb0EEvPKvS2_PKi31ggml_cuda_mm_fusion_args_devicePfj15HIP_vector_typeIjLj3EEjjjS8_jjjS8_jjjj.private_seg_size, 0
	.set _ZL13mul_mat_vec_qIL9ggml_type2ELi8ELb0ELb0EEvPKvS2_PKi31ggml_cuda_mm_fusion_args_devicePfj15HIP_vector_typeIjLj3EEjjjS8_jjjS8_jjjj.uses_vcc, 1
	.set _ZL13mul_mat_vec_qIL9ggml_type2ELi8ELb0ELb0EEvPKvS2_PKi31ggml_cuda_mm_fusion_args_devicePfj15HIP_vector_typeIjLj3EEjjjS8_jjjS8_jjjj.uses_flat_scratch, 0
	.set _ZL13mul_mat_vec_qIL9ggml_type2ELi8ELb0ELb0EEvPKvS2_PKi31ggml_cuda_mm_fusion_args_devicePfj15HIP_vector_typeIjLj3EEjjjS8_jjjS8_jjjj.has_dyn_sized_stack, 0
	.set _ZL13mul_mat_vec_qIL9ggml_type2ELi8ELb0ELb0EEvPKvS2_PKi31ggml_cuda_mm_fusion_args_devicePfj15HIP_vector_typeIjLj3EEjjjS8_jjjS8_jjjj.has_recursion, 0
	.set _ZL13mul_mat_vec_qIL9ggml_type2ELi8ELb0ELb0EEvPKvS2_PKi31ggml_cuda_mm_fusion_args_devicePfj15HIP_vector_typeIjLj3EEjjjS8_jjjS8_jjjj.has_indirect_call, 0
	.section	.AMDGPU.csdata,"",@progbits
; Kernel info:
; codeLenInByte = 2464
; TotalNumSgprs: 28
; NumVgprs: 67
; ScratchSize: 0
; MemoryBound: 0
; FloatMode: 240
; IeeeMode: 1
; LDSByteSize: 0 bytes/workgroup (compile time only)
; SGPRBlocks: 0
; VGPRBlocks: 8
; NumSGPRsForWavesPerEU: 28
; NumVGPRsForWavesPerEU: 67
; Occupancy: 12
; WaveLimiterHint : 0
; COMPUTE_PGM_RSRC2:SCRATCH_EN: 0
; COMPUTE_PGM_RSRC2:USER_SGPR: 6
; COMPUTE_PGM_RSRC2:TRAP_HANDLER: 0
; COMPUTE_PGM_RSRC2:TGID_X_EN: 1
; COMPUTE_PGM_RSRC2:TGID_Y_EN: 1
; COMPUTE_PGM_RSRC2:TGID_Z_EN: 1
; COMPUTE_PGM_RSRC2:TIDIG_COMP_CNT: 1
	.section	.text._ZL17mul_mat_vec_q_moeIL9ggml_type3ELi2EEvPKvS2_PKiPfj15HIP_vector_typeIjLj3EEjjjjjjjjj,"axG",@progbits,_ZL17mul_mat_vec_q_moeIL9ggml_type3ELi2EEvPKvS2_PKiPfj15HIP_vector_typeIjLj3EEjjjjjjjjj,comdat
	.globl	_ZL17mul_mat_vec_q_moeIL9ggml_type3ELi2EEvPKvS2_PKiPfj15HIP_vector_typeIjLj3EEjjjjjjjjj ; -- Begin function _ZL17mul_mat_vec_q_moeIL9ggml_type3ELi2EEvPKvS2_PKiPfj15HIP_vector_typeIjLj3EEjjjjjjjjj
	.p2align	8
	.type	_ZL17mul_mat_vec_q_moeIL9ggml_type3ELi2EEvPKvS2_PKiPfj15HIP_vector_typeIjLj3EEjjjjjjjjj,@function
_ZL17mul_mat_vec_q_moeIL9ggml_type3ELi2EEvPKvS2_PKiPfj15HIP_vector_typeIjLj3EEjjjjjjjjj: ; @_ZL17mul_mat_vec_q_moeIL9ggml_type3ELi2EEvPKvS2_PKiPfj15HIP_vector_typeIjLj3EEjjjjjjjjj
; %bb.0:
	s_load_dwordx8 s[16:23], s[4:5], 0x30
	s_mov_b32 s0, exec_lo
	s_waitcnt lgkmcnt(0)
	v_cmpx_gt_u32_e64 s23, v1
	s_cbranch_execz .LBB24_7
; %bb.1:
	s_clause 0x2
	s_load_dword s1, s[4:5], 0x20
	s_load_dword s0, s[4:5], 0x50
	s_load_dwordx8 s[8:15], s[4:5], 0x0
	v_lshrrev_b32_e32 v8, 1, v0
	v_mov_b32_e32 v2, 0
	v_mov_b32_e32 v3, 0
	s_mov_b32 s2, s7
	s_waitcnt lgkmcnt(0)
	s_lshr_b32 s3, s1, 5
	s_lshl_b32 s1, s6, 1
	s_mov_b32 s6, exec_lo
	v_cmpx_gt_u32_e64 s3, v8
	s_cbranch_execz .LBB24_5
; %bb.2:
	v_mad_u64_u32 v[2:3], null, s0, v1, s[2:3]
	v_mov_b32_e32 v3, 0
	s_load_dwordx4 s[24:27], s[4:5], 0x24
	v_lshrrev_b32_e32 v10, 1, v0
	v_lshlrev_b32_e32 v6, 1, v0
	s_add_i32 s0, s1, 1
	v_and_b32_e32 v7, 1, v0
	v_lshlrev_b64 v[4:5], 2, v[2:3]
	v_and_b32_e32 v12, 2, v6
	v_lshlrev_b32_e32 v9, 3, v7
	v_add_co_u32 v4, vcc_lo, s12, v4
	v_add_co_ci_u32_e64 v5, null, s13, v5, vcc_lo
	global_load_dword v2, v[4:5], off
	v_mul_lo_u32 v4, s18, v1
	s_waitcnt lgkmcnt(0)
	s_mul_hi_u32 s4, s24, s2
	s_add_i32 s4, s2, s4
	s_lshr_b32 s4, s4, s25
	s_mul_i32 s4, s4, s26
	v_mad_u64_u32 v[4:5], null, v4, 36, 0
	s_sub_i32 s4, s2, s4
	s_mul_i32 s4, s4, s21
	s_mul_i32 s5, s4, 36
	s_mul_hi_u32 s4, s4, 36
	v_mad_u64_u32 v[10:11], null, v10, 36, v[4:5]
	s_add_u32 s5, s10, s5
	s_addc_u32 s4, s11, s4
	s_waitcnt vmcnt(0)
	v_mul_lo_u32 v2, v2, s20
	v_mad_u64_u32 v[4:5], null, s1, s17, v[2:3]
	v_mad_u64_u32 v[5:6], null, s17, s0, v[2:3]
	v_add_co_u32 v6, vcc_lo, s5, v10
	v_add_co_ci_u32_e64 v7, null, s4, v11, vcc_lo
	v_lshlrev_b32_e32 v10, 2, v12
	v_mov_b32_e32 v2, v3
	s_mov_b32 s4, 0
.LBB24_3:                               ; =>This Inner Loop Header: Depth=1
	v_add_nc_u32_e32 v13, v4, v8
	v_add_nc_u32_e32 v15, v5, v8
	v_add_co_u32 v11, vcc_lo, v6, v9
	v_add_co_ci_u32_e64 v12, null, 0, v7, vcc_lo
	v_mad_i64_i32 v[13:14], null, v13, 20, s[8:9]
	v_mad_i64_i32 v[15:16], null, v15, 20, s[8:9]
	v_add_nc_u32_e32 v8, 16, v8
	v_add_co_u32 v17, vcc_lo, v13, v10
	v_add_co_ci_u32_e64 v18, null, 0, v14, vcc_lo
	v_add_co_u32 v19, vcc_lo, v15, v10
	v_add_co_ci_u32_e64 v20, null, 0, v16, vcc_lo
	s_clause 0x1
	global_load_dwordx2 v[17:18], v[17:18], off offset:4
	global_load_dwordx2 v[19:20], v[19:20], off offset:4
	s_clause 0x2
	global_load_dword v23, v[6:7], off
	global_load_dwordx2 v[21:22], v[11:12], off offset:4
	global_load_dwordx2 v[11:12], v[11:12], off offset:20
	s_clause 0x1
	global_load_dword v15, v[15:16], off
	global_load_dword v13, v[13:14], off
	v_mov_b32_e32 v14, 0
	v_mov_b32_e32 v16, 0
	v_add_co_u32 v6, vcc_lo, 0x240, v6
	v_cmp_le_u32_e64 s0, s3, v8
	v_add_co_ci_u32_e64 v7, null, 0, v7, vcc_lo
	s_or_b32 s4, s0, s4
	s_waitcnt vmcnt(6)
	v_and_b32_e32 v24, 0xf0f0f0f, v17
	v_lshrrev_b32_e32 v17, 4, v17
	s_waitcnt vmcnt(5)
	v_lshrrev_b32_e32 v26, 4, v19
	v_and_b32_e32 v19, 0xf0f0f0f, v19
	v_and_b32_e32 v25, 0xf0f0f0f, v18
	s_waitcnt vmcnt(3)
	v_dot4c_i32_i8 v14, v24, v21
	v_and_b32_e32 v17, 0xf0f0f0f, v17
	v_and_b32_e32 v24, 0xf0f0f0f, v26
	v_dot4c_i32_i8 v16, v19, v21
	v_lshrrev_b32_e32 v18, 4, v18
	v_and_b32_e32 v19, 0xf0f0f0f, v20
	v_lshrrev_b32_e32 v20, 4, v20
	s_waitcnt vmcnt(2)
	v_dot4c_i32_i8 v14, v17, v11
	v_dot4c_i32_i8 v16, v24, v11
	s_waitcnt vmcnt(0)
	v_pk_mul_f16 v13, v13, v23
	v_pk_mul_f16 v11, v15, v23
	v_and_b32_e32 v15, 0xf0f0f0f, v18
	v_and_b32_e32 v17, 0xf0f0f0f, v20
	v_dot4c_i32_i8 v14, v25, v22
	v_dot4c_i32_i8 v16, v19, v22
	v_cvt_f32_f16_sdwa v18, v13 dst_sel:DWORD dst_unused:UNUSED_PAD src0_sel:WORD_1
	v_cvt_f32_f16_sdwa v19, v11 dst_sel:DWORD dst_unused:UNUSED_PAD src0_sel:WORD_1
	v_dot4c_i32_i8 v14, v15, v12
	v_dot4c_i32_i8 v16, v17, v12
	v_mul_f32_e32 v12, 0.5, v18
	v_mul_f32_e32 v15, 0.5, v19
	v_cvt_f32_i32_e32 v14, v14
	v_cvt_f32_i32_e32 v16, v16
	v_fma_mix_f32 v12, v14, v13, v12 op_sel_hi:[0,1,0]
	v_fma_mix_f32 v11, v16, v11, v15 op_sel_hi:[0,1,0]
	v_add_f32_e32 v3, v3, v12
	v_add_f32_e32 v2, v2, v11
	s_andn2_b32 exec_lo, exec_lo, s4
	s_cbranch_execnz .LBB24_3
; %bb.4:
	s_or_b32 exec_lo, exec_lo, s4
.LBB24_5:
	s_or_b32 exec_lo, exec_lo, s6
	v_mbcnt_lo_u32_b32 v4, -1, 0
	v_xor_b32_e32 v5, 16, v4
	v_xor_b32_e32 v7, 8, v4
	v_cmp_gt_i32_e32 vcc_lo, 32, v5
	v_cndmask_b32_e32 v5, v4, v5, vcc_lo
	v_cmp_gt_i32_e32 vcc_lo, 32, v7
	v_lshlrev_b32_e32 v5, 2, v5
	v_cndmask_b32_e32 v7, v4, v7, vcc_lo
	ds_bpermute_b32 v6, v5, v3
	ds_bpermute_b32 v5, v5, v2
	v_lshlrev_b32_e32 v7, 2, v7
	s_waitcnt lgkmcnt(1)
	v_add_f32_e32 v3, v3, v6
	s_waitcnt lgkmcnt(0)
	v_add_f32_e32 v2, v2, v5
	ds_bpermute_b32 v5, v7, v3
	ds_bpermute_b32 v6, v7, v2
	v_xor_b32_e32 v7, 4, v4
	v_cmp_gt_i32_e32 vcc_lo, 32, v7
	v_cndmask_b32_e32 v7, v4, v7, vcc_lo
	v_lshlrev_b32_e32 v7, 2, v7
	s_waitcnt lgkmcnt(1)
	v_add_f32_e32 v3, v3, v5
	s_waitcnt lgkmcnt(0)
	v_add_f32_e32 v2, v2, v6
	ds_bpermute_b32 v5, v7, v3
	ds_bpermute_b32 v6, v7, v2
	v_xor_b32_e32 v7, 2, v4
	v_cmp_gt_i32_e32 vcc_lo, 32, v7
	v_cndmask_b32_e32 v7, v4, v7, vcc_lo
	v_lshlrev_b32_e32 v7, 2, v7
	s_waitcnt lgkmcnt(1)
	v_add_f32_e32 v3, v3, v5
	s_waitcnt lgkmcnt(0)
	v_add_f32_e32 v5, v2, v6
	ds_bpermute_b32 v2, v7, v3
	ds_bpermute_b32 v6, v7, v5
	v_xor_b32_e32 v7, 1, v4
	v_cmp_gt_i32_e32 vcc_lo, 32, v7
	v_cndmask_b32_e32 v4, v4, v7, vcc_lo
	v_cmp_gt_u32_e32 vcc_lo, 2, v0
	v_lshlrev_b32_e32 v7, 2, v4
	s_waitcnt lgkmcnt(1)
	v_add_f32_e32 v2, v3, v2
	s_waitcnt lgkmcnt(0)
	v_add_f32_e32 v3, v5, v6
	v_add_nc_u32_e32 v6, s1, v0
	ds_bpermute_b32 v4, v7, v2
	ds_bpermute_b32 v5, v7, v3
	v_cmp_gt_u32_e64 s0, s16, v6
	s_and_b32 s0, vcc_lo, s0
	s_and_b32 exec_lo, exec_lo, s0
	s_cbranch_execz .LBB24_7
; %bb.6:
	v_mul_lo_u32 v1, s19, v1
	v_or_b32_e32 v6, s1, v0
	s_mul_i32 s0, s22, s2
	v_mov_b32_e32 v7, 0
	s_waitcnt lgkmcnt(1)
	v_add_f32_e32 v4, v2, v4
	s_waitcnt lgkmcnt(0)
	v_add_f32_e32 v3, v3, v5
	v_cmp_eq_u32_e32 vcc_lo, 1, v0
	v_add3_u32 v6, v6, v1, s0
	v_cndmask_b32_e32 v3, v4, v3, vcc_lo
	v_lshlrev_b64 v[1:2], 2, v[6:7]
	v_add_co_u32 v0, vcc_lo, s14, v1
	v_add_co_ci_u32_e64 v1, null, s15, v2, vcc_lo
	global_store_dword v[0:1], v3, off
.LBB24_7:
	s_endpgm
	.section	.rodata,"a",@progbits
	.p2align	6, 0x0
	.amdhsa_kernel _ZL17mul_mat_vec_q_moeIL9ggml_type3ELi2EEvPKvS2_PKiPfj15HIP_vector_typeIjLj3EEjjjjjjjjj
		.amdhsa_group_segment_fixed_size 0
		.amdhsa_private_segment_fixed_size 0
		.amdhsa_kernarg_size 84
		.amdhsa_user_sgpr_count 6
		.amdhsa_user_sgpr_private_segment_buffer 1
		.amdhsa_user_sgpr_dispatch_ptr 0
		.amdhsa_user_sgpr_queue_ptr 0
		.amdhsa_user_sgpr_kernarg_segment_ptr 1
		.amdhsa_user_sgpr_dispatch_id 0
		.amdhsa_user_sgpr_flat_scratch_init 0
		.amdhsa_user_sgpr_private_segment_size 0
		.amdhsa_wavefront_size32 1
		.amdhsa_uses_dynamic_stack 0
		.amdhsa_system_sgpr_private_segment_wavefront_offset 0
		.amdhsa_system_sgpr_workgroup_id_x 1
		.amdhsa_system_sgpr_workgroup_id_y 1
		.amdhsa_system_sgpr_workgroup_id_z 0
		.amdhsa_system_sgpr_workgroup_info 0
		.amdhsa_system_vgpr_workitem_id 1
		.amdhsa_next_free_vgpr 27
		.amdhsa_next_free_sgpr 28
		.amdhsa_reserve_vcc 1
		.amdhsa_reserve_flat_scratch 0
		.amdhsa_float_round_mode_32 0
		.amdhsa_float_round_mode_16_64 0
		.amdhsa_float_denorm_mode_32 3
		.amdhsa_float_denorm_mode_16_64 3
		.amdhsa_dx10_clamp 1
		.amdhsa_ieee_mode 1
		.amdhsa_fp16_overflow 0
		.amdhsa_workgroup_processor_mode 1
		.amdhsa_memory_ordered 1
		.amdhsa_forward_progress 1
		.amdhsa_shared_vgpr_count 0
		.amdhsa_exception_fp_ieee_invalid_op 0
		.amdhsa_exception_fp_denorm_src 0
		.amdhsa_exception_fp_ieee_div_zero 0
		.amdhsa_exception_fp_ieee_overflow 0
		.amdhsa_exception_fp_ieee_underflow 0
		.amdhsa_exception_fp_ieee_inexact 0
		.amdhsa_exception_int_div_zero 0
	.end_amdhsa_kernel
	.section	.text._ZL17mul_mat_vec_q_moeIL9ggml_type3ELi2EEvPKvS2_PKiPfj15HIP_vector_typeIjLj3EEjjjjjjjjj,"axG",@progbits,_ZL17mul_mat_vec_q_moeIL9ggml_type3ELi2EEvPKvS2_PKiPfj15HIP_vector_typeIjLj3EEjjjjjjjjj,comdat
.Lfunc_end24:
	.size	_ZL17mul_mat_vec_q_moeIL9ggml_type3ELi2EEvPKvS2_PKiPfj15HIP_vector_typeIjLj3EEjjjjjjjjj, .Lfunc_end24-_ZL17mul_mat_vec_q_moeIL9ggml_type3ELi2EEvPKvS2_PKiPfj15HIP_vector_typeIjLj3EEjjjjjjjjj
                                        ; -- End function
	.set _ZL17mul_mat_vec_q_moeIL9ggml_type3ELi2EEvPKvS2_PKiPfj15HIP_vector_typeIjLj3EEjjjjjjjjj.num_vgpr, 27
	.set _ZL17mul_mat_vec_q_moeIL9ggml_type3ELi2EEvPKvS2_PKiPfj15HIP_vector_typeIjLj3EEjjjjjjjjj.num_agpr, 0
	.set _ZL17mul_mat_vec_q_moeIL9ggml_type3ELi2EEvPKvS2_PKiPfj15HIP_vector_typeIjLj3EEjjjjjjjjj.numbered_sgpr, 28
	.set _ZL17mul_mat_vec_q_moeIL9ggml_type3ELi2EEvPKvS2_PKiPfj15HIP_vector_typeIjLj3EEjjjjjjjjj.num_named_barrier, 0
	.set _ZL17mul_mat_vec_q_moeIL9ggml_type3ELi2EEvPKvS2_PKiPfj15HIP_vector_typeIjLj3EEjjjjjjjjj.private_seg_size, 0
	.set _ZL17mul_mat_vec_q_moeIL9ggml_type3ELi2EEvPKvS2_PKiPfj15HIP_vector_typeIjLj3EEjjjjjjjjj.uses_vcc, 1
	.set _ZL17mul_mat_vec_q_moeIL9ggml_type3ELi2EEvPKvS2_PKiPfj15HIP_vector_typeIjLj3EEjjjjjjjjj.uses_flat_scratch, 0
	.set _ZL17mul_mat_vec_q_moeIL9ggml_type3ELi2EEvPKvS2_PKiPfj15HIP_vector_typeIjLj3EEjjjjjjjjj.has_dyn_sized_stack, 0
	.set _ZL17mul_mat_vec_q_moeIL9ggml_type3ELi2EEvPKvS2_PKiPfj15HIP_vector_typeIjLj3EEjjjjjjjjj.has_recursion, 0
	.set _ZL17mul_mat_vec_q_moeIL9ggml_type3ELi2EEvPKvS2_PKiPfj15HIP_vector_typeIjLj3EEjjjjjjjjj.has_indirect_call, 0
	.section	.AMDGPU.csdata,"",@progbits
; Kernel info:
; codeLenInByte = 1052
; TotalNumSgprs: 30
; NumVgprs: 27
; ScratchSize: 0
; MemoryBound: 0
; FloatMode: 240
; IeeeMode: 1
; LDSByteSize: 0 bytes/workgroup (compile time only)
; SGPRBlocks: 0
; VGPRBlocks: 3
; NumSGPRsForWavesPerEU: 30
; NumVGPRsForWavesPerEU: 27
; Occupancy: 16
; WaveLimiterHint : 1
; COMPUTE_PGM_RSRC2:SCRATCH_EN: 0
; COMPUTE_PGM_RSRC2:USER_SGPR: 6
; COMPUTE_PGM_RSRC2:TRAP_HANDLER: 0
; COMPUTE_PGM_RSRC2:TGID_X_EN: 1
; COMPUTE_PGM_RSRC2:TGID_Y_EN: 1
; COMPUTE_PGM_RSRC2:TGID_Z_EN: 0
; COMPUTE_PGM_RSRC2:TIDIG_COMP_CNT: 1
	.section	.text._ZL13mul_mat_vec_qIL9ggml_type3ELi1ELb1ELb1EEvPKvS2_PKi31ggml_cuda_mm_fusion_args_devicePfj15HIP_vector_typeIjLj3EEjjjS8_jjjS8_jjjj,"axG",@progbits,_ZL13mul_mat_vec_qIL9ggml_type3ELi1ELb1ELb1EEvPKvS2_PKi31ggml_cuda_mm_fusion_args_devicePfj15HIP_vector_typeIjLj3EEjjjS8_jjjS8_jjjj,comdat
	.globl	_ZL13mul_mat_vec_qIL9ggml_type3ELi1ELb1ELb1EEvPKvS2_PKi31ggml_cuda_mm_fusion_args_devicePfj15HIP_vector_typeIjLj3EEjjjS8_jjjS8_jjjj ; -- Begin function _ZL13mul_mat_vec_qIL9ggml_type3ELi1ELb1ELb1EEvPKvS2_PKi31ggml_cuda_mm_fusion_args_devicePfj15HIP_vector_typeIjLj3EEjjjS8_jjjS8_jjjj
	.p2align	8
	.type	_ZL13mul_mat_vec_qIL9ggml_type3ELi1ELb1ELb1EEvPKvS2_PKi31ggml_cuda_mm_fusion_args_devicePfj15HIP_vector_typeIjLj3EEjjjS8_jjjS8_jjjj,@function
_ZL13mul_mat_vec_qIL9ggml_type3ELi1ELb1ELb1EEvPKvS2_PKi31ggml_cuda_mm_fusion_args_devicePfj15HIP_vector_typeIjLj3EEjjjS8_jjjS8_jjjj: ; @_ZL13mul_mat_vec_qIL9ggml_type3ELi1ELb1ELb1EEvPKvS2_PKi31ggml_cuda_mm_fusion_args_devicePfj15HIP_vector_typeIjLj3EEjjjS8_jjjS8_jjjj
; %bb.0:
	s_clause 0x3
	s_load_dwordx8 s[12:19], s[4:5], 0x0
	s_load_dwordx4 s[28:31], s[4:5], 0x20
	s_load_dwordx4 s[36:39], s[4:5], 0x40
	;; [unrolled: 1-line block ×3, first 2 shown]
	s_mov_b32 s10, s7
	s_waitcnt lgkmcnt(0)
	s_cmp_lg_u64 s[16:17], 0
	s_cselect_b32 s0, -1, 0
	s_cmp_eq_u64 s[16:17], 0
	s_cbranch_scc1 .LBB25_5
; %bb.1:
	s_mov_b32 s11, 0
	s_lshl_b64 s[2:3], s[10:11], 2
	s_add_u32 s2, s16, s2
	s_addc_u32 s3, s17, s3
	s_load_dword s33, s[2:3], 0x0
	s_clause 0x1
	s_load_dword s34, s[4:5], 0x50
	s_load_dword s35, s[4:5], 0x78
	s_cbranch_execnz .LBB25_3
.LBB25_2:
	s_load_dwordx2 s[2:3], s[4:5], 0x5c
	s_waitcnt lgkmcnt(0)
	s_mul_hi_u32 s1, s2, s10
	s_add_i32 s1, s10, s1
	s_lshr_b32 s33, s1, s3
.LBB25_3:
	s_andn2_b32 vcc_lo, exec_lo, s0
	s_cbranch_vccnz .LBB25_6
; %bb.4:
	s_mul_hi_u32 s0, s37, s10
	s_waitcnt lgkmcnt(0)
	s_mov_b32 s1, s33
	s_add_i32 s0, s10, s0
	s_lshr_b32 s0, s0, s38
	s_mul_i32 s0, s0, s39
	s_sub_i32 s11, s10, s0
	s_branch .LBB25_7
.LBB25_5:
                                        ; implicit-def: $sgpr33
	s_clause 0x1
	s_load_dword s34, s[4:5], 0x50
	s_load_dword s35, s[4:5], 0x78
	s_branch .LBB25_2
.LBB25_6:
	s_mov_b32 s1, s10
	s_mov_b32 s11, s10
.LBB25_7:
	s_load_dwordx4 s[24:27], s[4:5], 0x80
	v_or_b32_e32 v2, v0, v1
	s_cmp_lg_u64 s[18:19], 0
	v_mov_b32_e32 v10, 0
	v_mov_b32_e32 v11, 0
	s_cselect_b32 s0, -1, 0
	v_cmp_eq_u32_e32 vcc_lo, 0, v2
	s_mov_b32 s17, 0
	s_mul_i32 s2, s1, s22
	s_and_b32 s3, s0, vcc_lo
	s_and_saveexec_b32 s1, s3
	s_cbranch_execz .LBB25_9
; %bb.8:
	s_waitcnt lgkmcnt(0)
	s_mul_i32 s16, s26, s8
	s_mov_b32 s3, s17
	s_lshl_b64 s[38:39], s[16:17], 2
	v_lshlrev_b32_e32 v2, 2, v0
	s_add_u32 s7, s18, s38
	s_addc_u32 s9, s19, s39
	s_lshl_b64 s[16:17], s[2:3], 2
	s_add_u32 s3, s7, s16
	s_addc_u32 s9, s9, s17
	s_ashr_i32 s7, s6, 31
	s_lshl_b64 s[16:17], s[6:7], 2
	s_add_u32 s16, s3, s16
	s_addc_u32 s17, s9, s17
	global_load_dword v11, v2, s[16:17]
.LBB25_9:
	s_or_b32 exec_lo, exec_lo, s1
	s_cmp_lg_u64 s[28:29], 0
	s_cselect_b32 s9, -1, 0
	s_cmp_lg_u64 s[30:31], 0
	s_cselect_b32 s1, -1, 0
	s_and_b32 s3, s1, s9
	s_and_b32 s3, s3, vcc_lo
	s_and_saveexec_b32 s16, s3
	s_cbranch_execz .LBB25_11
; %bb.10:
	s_waitcnt lgkmcnt(0)
	s_mul_i32 s18, s26, s8
	s_mov_b32 s19, 0
	v_lshlrev_b32_e32 v2, 2, v0
	s_lshl_b64 s[38:39], s[18:19], 2
	s_mov_b32 s3, s19
	s_add_u32 s7, s30, s38
	s_addc_u32 s17, s31, s39
	s_lshl_b64 s[2:3], s[2:3], 2
	s_add_u32 s18, s7, s2
	s_addc_u32 s17, s17, s3
	s_ashr_i32 s7, s6, 31
	s_lshl_b64 s[2:3], s[6:7], 2
	s_add_u32 s2, s18, s2
	s_addc_u32 s3, s17, s3
	global_load_dword v10, v2, s[2:3]
.LBB25_11:
	s_or_b32 exec_lo, exec_lo, s16
	v_lshl_or_b32 v2, v1, 5, v0
	v_mov_b32_e32 v14, 0
	v_cndmask_b32_e64 v12, 0, 1, s9
	v_mov_b32_e32 v13, 0
	s_lshr_b32 s3, s36, 5
	v_lshrrev_b16 v3, 1, v2
	s_mov_b32 s7, exec_lo
	v_and_b32_e32 v15, 0xffff, v3
	v_cmpx_gt_u32_e64 s3, v15
	s_cbranch_execz .LBB25_17
; %bb.12:
	s_mul_hi_u32 s2, s23, s8
	s_waitcnt lgkmcnt(0)
	s_mul_i32 s34, s34, s6
	s_add_i32 s2, s8, s2
	s_mul_i32 s16, s25, s8
	s_lshr_b32 s2, s2, s35
	s_mul_i32 s17, s11, s21
	s_mul_i32 s2, s2, s24
	s_mul_i32 s11, s33, s20
	s_add_i32 s2, s2, s34
	v_lshlrev_b32_e32 v3, 1, v0
	s_mul_i32 s18, s16, 36
	s_add_i32 s11, s11, s2
	s_mul_hi_u32 s16, s16, 36
	v_lshrrev_b32_e32 v2, 1, v2
	s_mul_hi_u32 s2, s17, 36
	s_mul_i32 s17, s17, 36
	s_add_u32 s14, s14, s18
	s_addc_u32 s15, s15, s16
	s_add_u32 s14, s14, s17
	v_and_b32_e32 v4, 2, v3
	v_and_b32_e32 v5, 1, v0
	s_addc_u32 s15, s15, s2
	v_mov_b32_e32 v14, 0
	v_mad_u64_u32 v[2:3], null, v2, 36, s[14:15]
	v_lshlrev_b32_e32 v16, 3, v5
	v_lshlrev_b32_e32 v17, 2, v4
	v_mov_b32_e32 v13, 0
	s_mov_b32 s14, 0
	s_branch .LBB25_14
.LBB25_13:                              ;   in Loop: Header=BB25_14 Depth=1
	s_waitcnt vmcnt(4)
	v_and_b32_e32 v20, 0xf0f0f0f, v8
	v_lshrrev_b32_e32 v8, 4, v8
	v_mov_b32_e32 v21, 0
	v_add_nc_u32_e32 v15, 16, v15
	v_add_co_u32 v2, s2, 0x240, v2
	v_and_b32_e32 v8, 0xf0f0f0f, v8
	s_waitcnt vmcnt(2)
	v_dot4c_i32_i8 v21, v20, v6
	v_and_b32_e32 v6, 0xf0f0f0f, v9
	v_lshrrev_b32_e32 v9, 4, v9
	v_cmp_le_u32_e32 vcc_lo, s3, v15
	v_add_co_ci_u32_e64 v3, null, 0, v3, s2
	s_waitcnt vmcnt(1)
	v_dot4c_i32_i8 v21, v8, v4
	s_waitcnt vmcnt(0)
	v_pk_mul_f16 v4, v18, v19
	v_and_b32_e32 v8, 0xf0f0f0f, v9
	s_or_b32 s14, vcc_lo, s14
	v_dot4c_i32_i8 v21, v6, v7
	v_cvt_f32_f16_sdwa v6, v4 dst_sel:DWORD dst_unused:UNUSED_PAD src0_sel:WORD_1
	v_dot4c_i32_i8 v21, v8, v5
	v_mul_f32_e32 v5, 0.5, v6
	v_cvt_f32_i32_e32 v6, v21
	v_fma_mix_f32 v4, v6, v4, v5 op_sel_hi:[0,1,0]
	v_add_f32_e32 v14, v14, v4
	s_andn2_b32 exec_lo, exec_lo, s14
	s_cbranch_execz .LBB25_16
.LBB25_14:                              ; =>This Inner Loop Header: Depth=1
	v_add_nc_u32_e32 v20, s11, v15
	v_mad_i64_i32 v[4:5], null, v20, 20, s[12:13]
	v_add_co_u32 v6, vcc_lo, v4, v17
	v_add_co_ci_u32_e64 v7, null, 0, v5, vcc_lo
	v_add_co_u32 v21, vcc_lo, v2, v16
	v_add_co_ci_u32_e64 v22, null, 0, v3, vcc_lo
	s_clause 0x1
	global_load_dwordx2 v[8:9], v[6:7], off offset:4
	global_load_dword v18, v[4:5], off
	s_clause 0x2
	global_load_dwordx2 v[6:7], v[21:22], off offset:4
	global_load_dwordx2 v[4:5], v[21:22], off offset:20
	global_load_dword v19, v[2:3], off
	s_andn2_b32 vcc_lo, exec_lo, s9
	s_cbranch_vccnz .LBB25_13
; %bb.15:                               ;   in Loop: Header=BB25_14 Depth=1
	v_mad_i64_i32 v[20:21], null, v20, 20, s[28:29]
	v_add_co_u32 v22, vcc_lo, v20, v17
	v_add_co_ci_u32_e64 v23, null, 0, v21, vcc_lo
	s_clause 0x1
	global_load_dwordx2 v[22:23], v[22:23], off offset:4
	global_load_dword v20, v[20:21], off
	v_mov_b32_e32 v21, 0
	s_waitcnt vmcnt(1)
	v_lshrrev_b32_e32 v24, 4, v22
	v_and_b32_e32 v22, 0xf0f0f0f, v22
	s_waitcnt vmcnt(0)
	v_pk_mul_f16 v20, v19, v20
	v_and_b32_e32 v24, 0xf0f0f0f, v24
	v_dot4c_i32_i8 v21, v22, v6
	v_and_b32_e32 v22, 0xf0f0f0f, v23
	v_lshrrev_b32_e32 v23, 4, v23
	v_dot4c_i32_i8 v21, v24, v4
	v_and_b32_e32 v23, 0xf0f0f0f, v23
	v_dot4c_i32_i8 v21, v22, v7
	v_cvt_f32_f16_sdwa v22, v20 dst_sel:DWORD dst_unused:UNUSED_PAD src0_sel:WORD_1
	v_dot4c_i32_i8 v21, v23, v5
	v_mul_f32_e32 v22, 0.5, v22
	v_cvt_f32_i32_e32 v21, v21
	v_fma_mix_f32 v20, v21, v20, v22 op_sel_hi:[0,1,0]
	v_add_f32_e32 v13, v13, v20
	s_branch .LBB25_13
.LBB25_16:
	s_or_b32 exec_lo, exec_lo, s14
.LBB25_17:
	s_or_b32 exec_lo, exec_lo, s7
	s_load_dword s2, s[4:5], 0x30
	s_waitcnt vmcnt(0) lgkmcnt(0)
	; wave barrier
	buffer_gl0_inv
	s_mov_b32 s3, exec_lo
	v_cmpx_eq_u32_e32 0, v1
	s_cbranch_execz .LBB25_44
; %bb.18:
	v_mbcnt_lo_u32_b32 v2, -1, 0
	v_xor_b32_e32 v1, 16, v2
	v_xor_b32_e32 v4, 8, v2
	;; [unrolled: 1-line block ×3, first 2 shown]
	v_cmp_gt_i32_e32 vcc_lo, 32, v1
	v_cndmask_b32_e32 v1, v2, v1, vcc_lo
	v_cmp_gt_i32_e32 vcc_lo, 32, v4
	v_lshlrev_b32_e32 v1, 2, v1
	v_cndmask_b32_e32 v4, v2, v4, vcc_lo
	v_cmp_gt_i32_e32 vcc_lo, 32, v5
	ds_bpermute_b32 v3, v1, v14
	v_lshlrev_b32_e32 v4, 2, v4
	v_cndmask_b32_e32 v5, v2, v5, vcc_lo
	v_lshlrev_b32_e32 v5, 2, v5
	s_waitcnt lgkmcnt(0)
	v_add_f32_e32 v3, v14, v3
	ds_bpermute_b32 v6, v4, v3
	s_waitcnt lgkmcnt(0)
	v_add_f32_e32 v3, v3, v6
	v_xor_b32_e32 v6, 2, v2
	ds_bpermute_b32 v7, v5, v3
	v_cmp_gt_i32_e32 vcc_lo, 32, v6
	v_cndmask_b32_e32 v6, v2, v6, vcc_lo
	v_lshlrev_b32_e32 v6, 2, v6
	s_waitcnt lgkmcnt(0)
	v_add_f32_e32 v3, v3, v7
	v_xor_b32_e32 v7, 1, v2
	ds_bpermute_b32 v8, v6, v3
	v_cmp_gt_i32_e32 vcc_lo, 32, v7
	v_cndmask_b32_e32 v2, v2, v7, vcc_lo
	v_cmp_ne_u32_e32 vcc_lo, 1, v12
	v_lshlrev_b32_e32 v7, 2, v2
	s_waitcnt lgkmcnt(0)
	v_add_f32_e32 v2, v3, v8
	ds_bpermute_b32 v3, v7, v2
	s_cbranch_vccnz .LBB25_20
; %bb.19:
	ds_bpermute_b32 v1, v1, v13
	s_waitcnt lgkmcnt(0)
	v_add_f32_e32 v1, v13, v1
	ds_bpermute_b32 v4, v4, v1
	s_waitcnt lgkmcnt(0)
	v_add_f32_e32 v1, v1, v4
	;; [unrolled: 3-line block ×5, first 2 shown]
.LBB25_20:
	v_cmp_eq_u32_e32 vcc_lo, 0, v0
	s_and_b32 exec_lo, exec_lo, vcc_lo
	s_cbranch_execz .LBB25_44
; %bb.21:
	s_waitcnt lgkmcnt(0)
	v_add_f32_e32 v1, v2, v3
	v_cmp_ne_u32_e32 vcc_lo, 1, v12
	v_add_f32_e32 v2, v11, v1
	v_cndmask_b32_e64 v1, v1, v2, s0
	s_cbranch_vccnz .LBB25_43
; %bb.22:
	v_add_f32_e32 v2, v10, v13
	s_cmp_lt_i32 s2, 2
	s_mov_b32 s0, 0
	v_cndmask_b32_e64 v2, v13, v2, s1
	s_cbranch_scc1 .LBB25_26
; %bb.23:
	s_cmp_gt_i32 s2, 2
	s_cbranch_scc0 .LBB25_27
; %bb.24:
	s_cmp_eq_u32 s2, 3
	s_cbranch_scc0 .LBB25_28
; %bb.25:
	v_max_f32_e32 v3, v2, v2
	s_mov_b32 s1, 0
	v_min_f32_e32 v3, 0x40e00000, v3
	v_mul_f32_e32 v4, 0xbfd9db23, v3
	v_mul_f32_e32 v5, 0x3fb8aa3b, v4
	v_cmp_ngt_f32_e32 vcc_lo, 0xc2ce8ed0, v4
	v_fma_f32 v6, 0x3fb8aa3b, v4, -v5
	v_rndne_f32_e32 v7, v5
	v_fmamk_f32 v6, v4, 0x32a5705f, v6
	v_sub_f32_e32 v5, v5, v7
	v_add_f32_e32 v5, v5, v6
	v_cvt_i32_f32_e32 v6, v7
	v_exp_f32_e32 v5, v5
	v_ldexp_f32 v5, v5, v6
	v_cndmask_b32_e32 v5, 0, v5, vcc_lo
	v_cmp_nlt_f32_e32 vcc_lo, 0x42b17218, v4
	v_cndmask_b32_e32 v4, 0x7f800000, v5, vcc_lo
	v_add_f32_e32 v4, 1.0, v4
	v_div_scale_f32 v5, null, v4, v4, v3
	v_div_scale_f32 v8, vcc_lo, v3, v4, v3
	v_rcp_f32_e32 v6, v5
	v_fma_f32 v7, -v5, v6, 1.0
	v_fmac_f32_e32 v6, v7, v6
	v_mul_f32_e32 v7, v8, v6
	v_fma_f32 v9, -v5, v7, v8
	v_fmac_f32_e32 v7, v9, v6
	v_max_f32_e32 v9, v1, v1
	v_fma_f32 v5, -v5, v7, v8
	v_min_f32_e32 v8, 0x40e00000, v9
	v_div_fmas_f32 v5, v5, v6, v7
	v_max_f32_e32 v6, 0xc0e00000, v8
	v_div_fixup_f32 v3, v5, v4, v3
	v_add_f32_e32 v4, 1.0, v6
	v_mul_f32_e32 v3, v4, v3
	s_branch .LBB25_29
.LBB25_26:
	s_mov_b32 s1, 0
                                        ; implicit-def: $vgpr3
	s_cbranch_execnz .LBB25_33
	s_branch .LBB25_34
.LBB25_27:
	s_mov_b32 s3, -1
	s_mov_b32 s1, 0
                                        ; implicit-def: $vgpr3
	s_branch .LBB25_30
.LBB25_28:
	s_mov_b32 s1, -1
                                        ; implicit-def: $vgpr3
.LBB25_29:
	s_mov_b32 s3, 0
.LBB25_30:
	s_and_b32 vcc_lo, exec_lo, s3
	s_cbranch_vccz .LBB25_32
; %bb.31:
	v_mul_f32_e32 v3, 0xbfb8aa3b, v2
	v_cmp_nlt_f32_e32 vcc_lo, 0x42ce8ed0, v2
	v_rndne_f32_e32 v4, v3
	v_fma_f32 v5, 0xbfb8aa3b, v2, -v3
	v_sub_f32_e32 v3, v3, v4
	v_fmamk_f32 v5, v2, 0xb2a5705f, v5
	v_cvt_i32_f32_e32 v4, v4
	v_add_f32_e32 v3, v3, v5
	v_exp_f32_e32 v3, v3
	v_ldexp_f32 v3, v3, v4
	v_cndmask_b32_e32 v3, 0, v3, vcc_lo
	v_cmp_ngt_f32_e32 vcc_lo, 0xc2b17218, v2
	v_cndmask_b32_e32 v3, 0x7f800000, v3, vcc_lo
	v_add_f32_e32 v3, 1.0, v3
	v_div_scale_f32 v4, null, v3, v3, v2
	v_rcp_f32_e32 v5, v4
	v_fma_f32 v6, -v4, v5, 1.0
	v_fmac_f32_e32 v5, v6, v5
	v_div_scale_f32 v6, vcc_lo, v2, v3, v2
	v_mul_f32_e32 v7, v6, v5
	v_fma_f32 v8, -v4, v7, v6
	v_fmac_f32_e32 v7, v8, v5
	v_fma_f32 v4, -v4, v7, v6
	v_div_fmas_f32 v4, v4, v5, v7
	v_div_fixup_f32 v3, v4, v3, v2
	v_mul_f32_e32 v3, v1, v3
.LBB25_32:
	s_branch .LBB25_34
.LBB25_33:
	s_cmp_lg_u32 s2, 1
	s_mov_b32 s0, -1
	s_cselect_b32 s1, -1, 0
.LBB25_34:
	s_andn2_b32 vcc_lo, exec_lo, s1
	s_cbranch_vccz .LBB25_36
; %bb.35:
	s_andn2_b32 vcc_lo, exec_lo, s0
	s_cbranch_vccz .LBB25_37
	s_branch .LBB25_42
.LBB25_36:
	v_mul_f32_e32 v3, v2, v1
	s_cbranch_execnz .LBB25_42
.LBB25_37:
	v_mul_f32_e32 v3, 0x3d372713, v2
	v_mul_f32_e32 v4, 0x3f4c422a, v2
	v_fma_f32 v3, v2, v3, 1.0
	v_mul_f32_e32 v3, v4, v3
                                        ; implicit-def: $vgpr4
	v_cmp_ngt_f32_e64 s0, 0x3f200000, |v3|
	s_and_saveexec_b32 s1, s0
	s_xor_b32 s0, exec_lo, s1
	s_cbranch_execz .LBB25_39
; %bb.38:
	v_add_f32_e64 v4, |v3|, |v3|
	v_mul_f32_e32 v5, 0x3fb8aa3b, v4
	v_cmp_ngt_f32_e32 vcc_lo, 0xc2ce8ed0, v4
	v_rndne_f32_e32 v6, v5
	v_fma_f32 v7, 0x3fb8aa3b, v4, -v5
	v_sub_f32_e32 v5, v5, v6
	v_fmamk_f32 v7, v4, 0x32a5705f, v7
	v_cvt_i32_f32_e32 v6, v6
	v_add_f32_e32 v5, v5, v7
	v_exp_f32_e32 v5, v5
	v_ldexp_f32 v5, v5, v6
	v_cndmask_b32_e32 v5, 0, v5, vcc_lo
	v_cmp_nlt_f32_e32 vcc_lo, 0x42b17218, v4
	v_cndmask_b32_e32 v4, 0x7f800000, v5, vcc_lo
	v_add_f32_e32 v4, 1.0, v4
	v_rcp_f32_e32 v4, v4
	v_fma_f32 v4, v4, -2.0, 1.0
.LBB25_39:
	s_andn2_saveexec_b32 s0, s0
	s_cbranch_execz .LBB25_41
; %bb.40:
	v_mul_f32_e32 v4, v3, v3
	s_mov_b32 s1, 0xbbbac73d
	v_fmaak_f32 v5, s1, v4, 0x3ca908c9
	v_fmaak_f32 v5, v4, v5, 0xbd5c1c4e
	;; [unrolled: 1-line block ×4, first 2 shown]
	v_mul_f32_e64 v5, |v3|, v5
	v_fma_f32 v4, v4, v5, |v3|
.LBB25_41:
	s_or_b32 exec_lo, exec_lo, s0
	v_bfi_b32 v3, 0x7fffffff, v4, v3
	v_mul_f32_e32 v2, 0.5, v2
	v_add_f32_e32 v3, 1.0, v3
	v_mul_f32_e32 v2, v2, v3
	v_mul_f32_e32 v3, v1, v2
.LBB25_42:
	v_mov_b32_e32 v1, v3
.LBB25_43:
	s_load_dwordx2 s[0:1], s[4:5], 0x38
	s_mul_i32 s2, s22, s10
	s_mul_i32 s3, s26, s8
	s_add_i32 s2, s2, s6
	v_lshlrev_b32_e32 v0, 2, v0
	s_add_i32 s2, s2, s3
	s_mov_b32 s3, 0
	s_lshl_b64 s[2:3], s[2:3], 2
	s_waitcnt lgkmcnt(0)
	s_add_u32 s0, s0, s2
	s_addc_u32 s1, s1, s3
	global_store_dword v0, v1, s[0:1]
.LBB25_44:
	s_endpgm
	.section	.rodata,"a",@progbits
	.p2align	6, 0x0
	.amdhsa_kernel _ZL13mul_mat_vec_qIL9ggml_type3ELi1ELb1ELb1EEvPKvS2_PKi31ggml_cuda_mm_fusion_args_devicePfj15HIP_vector_typeIjLj3EEjjjS8_jjjS8_jjjj
		.amdhsa_group_segment_fixed_size 0
		.amdhsa_private_segment_fixed_size 0
		.amdhsa_kernarg_size 144
		.amdhsa_user_sgpr_count 6
		.amdhsa_user_sgpr_private_segment_buffer 1
		.amdhsa_user_sgpr_dispatch_ptr 0
		.amdhsa_user_sgpr_queue_ptr 0
		.amdhsa_user_sgpr_kernarg_segment_ptr 1
		.amdhsa_user_sgpr_dispatch_id 0
		.amdhsa_user_sgpr_flat_scratch_init 0
		.amdhsa_user_sgpr_private_segment_size 0
		.amdhsa_wavefront_size32 1
		.amdhsa_uses_dynamic_stack 0
		.amdhsa_system_sgpr_private_segment_wavefront_offset 0
		.amdhsa_system_sgpr_workgroup_id_x 1
		.amdhsa_system_sgpr_workgroup_id_y 1
		.amdhsa_system_sgpr_workgroup_id_z 1
		.amdhsa_system_sgpr_workgroup_info 0
		.amdhsa_system_vgpr_workitem_id 1
		.amdhsa_next_free_vgpr 25
		.amdhsa_next_free_sgpr 40
		.amdhsa_reserve_vcc 1
		.amdhsa_reserve_flat_scratch 0
		.amdhsa_float_round_mode_32 0
		.amdhsa_float_round_mode_16_64 0
		.amdhsa_float_denorm_mode_32 3
		.amdhsa_float_denorm_mode_16_64 3
		.amdhsa_dx10_clamp 1
		.amdhsa_ieee_mode 1
		.amdhsa_fp16_overflow 0
		.amdhsa_workgroup_processor_mode 1
		.amdhsa_memory_ordered 1
		.amdhsa_forward_progress 1
		.amdhsa_shared_vgpr_count 0
		.amdhsa_exception_fp_ieee_invalid_op 0
		.amdhsa_exception_fp_denorm_src 0
		.amdhsa_exception_fp_ieee_div_zero 0
		.amdhsa_exception_fp_ieee_overflow 0
		.amdhsa_exception_fp_ieee_underflow 0
		.amdhsa_exception_fp_ieee_inexact 0
		.amdhsa_exception_int_div_zero 0
	.end_amdhsa_kernel
	.section	.text._ZL13mul_mat_vec_qIL9ggml_type3ELi1ELb1ELb1EEvPKvS2_PKi31ggml_cuda_mm_fusion_args_devicePfj15HIP_vector_typeIjLj3EEjjjS8_jjjS8_jjjj,"axG",@progbits,_ZL13mul_mat_vec_qIL9ggml_type3ELi1ELb1ELb1EEvPKvS2_PKi31ggml_cuda_mm_fusion_args_devicePfj15HIP_vector_typeIjLj3EEjjjS8_jjjS8_jjjj,comdat
.Lfunc_end25:
	.size	_ZL13mul_mat_vec_qIL9ggml_type3ELi1ELb1ELb1EEvPKvS2_PKi31ggml_cuda_mm_fusion_args_devicePfj15HIP_vector_typeIjLj3EEjjjS8_jjjS8_jjjj, .Lfunc_end25-_ZL13mul_mat_vec_qIL9ggml_type3ELi1ELb1ELb1EEvPKvS2_PKi31ggml_cuda_mm_fusion_args_devicePfj15HIP_vector_typeIjLj3EEjjjS8_jjjS8_jjjj
                                        ; -- End function
	.set _ZL13mul_mat_vec_qIL9ggml_type3ELi1ELb1ELb1EEvPKvS2_PKi31ggml_cuda_mm_fusion_args_devicePfj15HIP_vector_typeIjLj3EEjjjS8_jjjS8_jjjj.num_vgpr, 25
	.set _ZL13mul_mat_vec_qIL9ggml_type3ELi1ELb1ELb1EEvPKvS2_PKi31ggml_cuda_mm_fusion_args_devicePfj15HIP_vector_typeIjLj3EEjjjS8_jjjS8_jjjj.num_agpr, 0
	.set _ZL13mul_mat_vec_qIL9ggml_type3ELi1ELb1ELb1EEvPKvS2_PKi31ggml_cuda_mm_fusion_args_devicePfj15HIP_vector_typeIjLj3EEjjjS8_jjjS8_jjjj.numbered_sgpr, 40
	.set _ZL13mul_mat_vec_qIL9ggml_type3ELi1ELb1ELb1EEvPKvS2_PKi31ggml_cuda_mm_fusion_args_devicePfj15HIP_vector_typeIjLj3EEjjjS8_jjjS8_jjjj.num_named_barrier, 0
	.set _ZL13mul_mat_vec_qIL9ggml_type3ELi1ELb1ELb1EEvPKvS2_PKi31ggml_cuda_mm_fusion_args_devicePfj15HIP_vector_typeIjLj3EEjjjS8_jjjS8_jjjj.private_seg_size, 0
	.set _ZL13mul_mat_vec_qIL9ggml_type3ELi1ELb1ELb1EEvPKvS2_PKi31ggml_cuda_mm_fusion_args_devicePfj15HIP_vector_typeIjLj3EEjjjS8_jjjS8_jjjj.uses_vcc, 1
	.set _ZL13mul_mat_vec_qIL9ggml_type3ELi1ELb1ELb1EEvPKvS2_PKi31ggml_cuda_mm_fusion_args_devicePfj15HIP_vector_typeIjLj3EEjjjS8_jjjS8_jjjj.uses_flat_scratch, 0
	.set _ZL13mul_mat_vec_qIL9ggml_type3ELi1ELb1ELb1EEvPKvS2_PKi31ggml_cuda_mm_fusion_args_devicePfj15HIP_vector_typeIjLj3EEjjjS8_jjjS8_jjjj.has_dyn_sized_stack, 0
	.set _ZL13mul_mat_vec_qIL9ggml_type3ELi1ELb1ELb1EEvPKvS2_PKi31ggml_cuda_mm_fusion_args_devicePfj15HIP_vector_typeIjLj3EEjjjS8_jjjS8_jjjj.has_recursion, 0
	.set _ZL13mul_mat_vec_qIL9ggml_type3ELi1ELb1ELb1EEvPKvS2_PKi31ggml_cuda_mm_fusion_args_devicePfj15HIP_vector_typeIjLj3EEjjjS8_jjjS8_jjjj.has_indirect_call, 0
	.section	.AMDGPU.csdata,"",@progbits
; Kernel info:
; codeLenInByte = 2172
; TotalNumSgprs: 42
; NumVgprs: 25
; ScratchSize: 0
; MemoryBound: 0
; FloatMode: 240
; IeeeMode: 1
; LDSByteSize: 0 bytes/workgroup (compile time only)
; SGPRBlocks: 0
; VGPRBlocks: 3
; NumSGPRsForWavesPerEU: 42
; NumVGPRsForWavesPerEU: 25
; Occupancy: 16
; WaveLimiterHint : 0
; COMPUTE_PGM_RSRC2:SCRATCH_EN: 0
; COMPUTE_PGM_RSRC2:USER_SGPR: 6
; COMPUTE_PGM_RSRC2:TRAP_HANDLER: 0
; COMPUTE_PGM_RSRC2:TGID_X_EN: 1
; COMPUTE_PGM_RSRC2:TGID_Y_EN: 1
; COMPUTE_PGM_RSRC2:TGID_Z_EN: 1
; COMPUTE_PGM_RSRC2:TIDIG_COMP_CNT: 1
	.section	.text._ZL13mul_mat_vec_qIL9ggml_type3ELi1ELb0ELb1EEvPKvS2_PKi31ggml_cuda_mm_fusion_args_devicePfj15HIP_vector_typeIjLj3EEjjjS8_jjjS8_jjjj,"axG",@progbits,_ZL13mul_mat_vec_qIL9ggml_type3ELi1ELb0ELb1EEvPKvS2_PKi31ggml_cuda_mm_fusion_args_devicePfj15HIP_vector_typeIjLj3EEjjjS8_jjjS8_jjjj,comdat
	.globl	_ZL13mul_mat_vec_qIL9ggml_type3ELi1ELb0ELb1EEvPKvS2_PKi31ggml_cuda_mm_fusion_args_devicePfj15HIP_vector_typeIjLj3EEjjjS8_jjjS8_jjjj ; -- Begin function _ZL13mul_mat_vec_qIL9ggml_type3ELi1ELb0ELb1EEvPKvS2_PKi31ggml_cuda_mm_fusion_args_devicePfj15HIP_vector_typeIjLj3EEjjjS8_jjjS8_jjjj
	.p2align	8
	.type	_ZL13mul_mat_vec_qIL9ggml_type3ELi1ELb0ELb1EEvPKvS2_PKi31ggml_cuda_mm_fusion_args_devicePfj15HIP_vector_typeIjLj3EEjjjS8_jjjS8_jjjj,@function
_ZL13mul_mat_vec_qIL9ggml_type3ELi1ELb0ELb1EEvPKvS2_PKi31ggml_cuda_mm_fusion_args_devicePfj15HIP_vector_typeIjLj3EEjjjS8_jjjS8_jjjj: ; @_ZL13mul_mat_vec_qIL9ggml_type3ELi1ELb0ELb1EEvPKvS2_PKi31ggml_cuda_mm_fusion_args_devicePfj15HIP_vector_typeIjLj3EEjjjS8_jjjS8_jjjj
; %bb.0:
	s_clause 0x1
	s_load_dwordx2 s[0:1], s[4:5], 0x10
	s_load_dwordx4 s[16:19], s[4:5], 0x40
	s_mov_b32 s10, s7
	s_waitcnt lgkmcnt(0)
	s_cmp_lg_u64 s[0:1], 0
	s_cselect_b32 s7, -1, 0
	s_cmp_eq_u64 s[0:1], 0
	s_cbranch_scc1 .LBB26_5
; %bb.1:
	s_mov_b32 s11, 0
	s_lshl_b64 s[2:3], s[10:11], 2
	s_add_u32 s0, s0, s2
	s_addc_u32 s1, s1, s3
	s_load_dword s20, s[0:1], 0x0
	s_clause 0x1
	s_load_dwordx4 s[0:3], s[4:5], 0x68
	s_load_dword s21, s[4:5], 0x50
	s_cbranch_execnz .LBB26_3
.LBB26_2:
	s_load_dwordx2 s[12:13], s[4:5], 0x5c
	s_waitcnt lgkmcnt(0)
	s_mul_hi_u32 s9, s12, s10
	s_add_i32 s9, s10, s9
	s_lshr_b32 s20, s9, s13
.LBB26_3:
	s_load_dword s11, s[4:5], 0x78
	s_andn2_b32 vcc_lo, exec_lo, s7
	s_cbranch_vccnz .LBB26_6
; %bb.4:
	s_mul_hi_u32 s7, s17, s10
	s_add_i32 s7, s10, s7
	s_lshr_b32 s7, s7, s18
	s_mul_i32 s7, s7, s19
	s_sub_i32 s22, s10, s7
	s_branch .LBB26_7
.LBB26_5:
                                        ; implicit-def: $sgpr20
	s_clause 0x1
	s_load_dwordx4 s[0:3], s[4:5], 0x68
	s_load_dword s21, s[4:5], 0x50
	s_branch .LBB26_2
.LBB26_6:
	s_mov_b32 s22, s10
.LBB26_7:
	s_load_dwordx4 s[12:15], s[4:5], 0x80
	v_lshl_or_b32 v2, v1, 5, v0
	v_mov_b32_e32 v4, 0
	s_lshr_b32 s9, s16, 5
	s_mov_b32 s7, exec_lo
	v_lshrrev_b16 v3, 1, v2
	v_and_b32_e32 v5, 0xffff, v3
	v_cmpx_gt_u32_e64 s9, v5
	s_cbranch_execz .LBB26_11
; %bb.8:
	s_load_dwordx4 s[16:19], s[4:5], 0x0
	s_waitcnt lgkmcnt(0)
	s_mul_hi_u32 s3, s3, s8
	s_mul_i32 s15, s22, s1
	s_add_i32 s3, s8, s3
	s_mul_i32 s21, s21, s6
	s_lshr_b32 s1, s3, s11
	s_mul_i32 s13, s13, s8
	s_mul_i32 s1, s1, s12
	;; [unrolled: 1-line block ×3, first 2 shown]
	s_add_i32 s1, s1, s21
	v_lshlrev_b32_e32 v3, 1, v0
	s_mul_i32 s3, s13, 36
	s_add_i32 s1, s0, s1
	s_mul_hi_u32 s11, s13, 36
	v_lshrrev_b32_e32 v2, 1, v2
	s_mul_hi_u32 s0, s15, 36
	s_mul_i32 s15, s15, 36
	v_and_b32_e32 v7, 2, v3
	v_and_b32_e32 v6, 1, v0
	v_mov_b32_e32 v4, 0
	s_add_u32 s3, s18, s3
	s_addc_u32 s11, s19, s11
	s_add_u32 s12, s3, s15
	s_addc_u32 s13, s11, s0
	v_lshlrev_b32_e32 v6, 3, v6
	v_mad_u64_u32 v[2:3], null, v2, 36, s[12:13]
	v_lshlrev_b32_e32 v7, 2, v7
	s_mov_b32 s3, 0
.LBB26_9:                               ; =>This Inner Loop Header: Depth=1
	v_add_nc_u32_e32 v8, s1, v5
	v_add_co_u32 v10, vcc_lo, v2, v6
	v_add_co_ci_u32_e64 v11, null, 0, v3, vcc_lo
	v_mad_i64_i32 v[8:9], null, v8, 20, s[16:17]
	v_add_nc_u32_e32 v5, 16, v5
	v_cmp_le_u32_e32 vcc_lo, s9, v5
	v_add_co_u32 v12, s0, v8, v7
	v_add_co_ci_u32_e64 v13, null, 0, v9, s0
	s_or_b32 s3, vcc_lo, s3
	global_load_dwordx2 v[12:13], v[12:13], off offset:4
	s_clause 0x2
	global_load_dwordx2 v[14:15], v[10:11], off offset:4
	global_load_dwordx2 v[10:11], v[10:11], off offset:20
	global_load_dword v16, v[2:3], off
	global_load_dword v8, v[8:9], off
	v_mov_b32_e32 v9, 0
	v_add_co_u32 v2, s0, 0x240, v2
	v_add_co_ci_u32_e64 v3, null, 0, v3, s0
	s_waitcnt vmcnt(4)
	v_lshrrev_b32_e32 v17, 4, v12
	v_and_b32_e32 v12, 0xf0f0f0f, v12
	s_waitcnt vmcnt(0)
	v_pk_mul_f16 v8, v8, v16
	v_and_b32_e32 v17, 0xf0f0f0f, v17
	v_dot4c_i32_i8 v9, v12, v14
	v_and_b32_e32 v12, 0xf0f0f0f, v13
	v_lshrrev_b32_e32 v13, 4, v13
	v_dot4c_i32_i8 v9, v17, v10
	v_and_b32_e32 v10, 0xf0f0f0f, v13
	v_dot4c_i32_i8 v9, v12, v15
	v_cvt_f32_f16_sdwa v12, v8 dst_sel:DWORD dst_unused:UNUSED_PAD src0_sel:WORD_1
	v_dot4c_i32_i8 v9, v10, v11
	v_mul_f32_e32 v10, 0.5, v12
	v_cvt_f32_i32_e32 v9, v9
	v_fma_mix_f32 v8, v9, v8, v10 op_sel_hi:[0,1,0]
	v_add_f32_e32 v4, v4, v8
	s_andn2_b32 exec_lo, exec_lo, s3
	s_cbranch_execnz .LBB26_9
; %bb.10:
	s_or_b32 exec_lo, exec_lo, s3
.LBB26_11:
	s_or_b32 exec_lo, exec_lo, s7
	s_waitcnt lgkmcnt(0)
	; wave barrier
	buffer_gl0_inv
	s_mov_b32 s0, exec_lo
	v_cmpx_eq_u32_e32 0, v1
	s_cbranch_execz .LBB26_14
; %bb.12:
	v_mbcnt_lo_u32_b32 v1, -1, 0
	v_xor_b32_e32 v2, 16, v1
	v_xor_b32_e32 v3, 8, v1
	v_cmp_gt_i32_e32 vcc_lo, 32, v2
	v_cndmask_b32_e32 v2, v1, v2, vcc_lo
	v_cmp_gt_i32_e32 vcc_lo, 32, v3
	v_lshlrev_b32_e32 v2, 2, v2
	v_cndmask_b32_e32 v3, v1, v3, vcc_lo
	ds_bpermute_b32 v2, v2, v4
	v_lshlrev_b32_e32 v3, 2, v3
	s_waitcnt lgkmcnt(0)
	v_add_f32_e32 v2, v4, v2
	v_xor_b32_e32 v4, 4, v1
	ds_bpermute_b32 v3, v3, v2
	v_cmp_gt_i32_e32 vcc_lo, 32, v4
	v_cndmask_b32_e32 v4, v1, v4, vcc_lo
	v_lshlrev_b32_e32 v4, 2, v4
	s_waitcnt lgkmcnt(0)
	v_add_f32_e32 v2, v2, v3
	ds_bpermute_b32 v3, v4, v2
	v_xor_b32_e32 v4, 2, v1
	v_cmp_gt_i32_e32 vcc_lo, 32, v4
	v_cndmask_b32_e32 v4, v1, v4, vcc_lo
	v_lshlrev_b32_e32 v4, 2, v4
	s_waitcnt lgkmcnt(0)
	v_add_f32_e32 v2, v2, v3
	ds_bpermute_b32 v3, v4, v2
	v_xor_b32_e32 v4, 1, v1
	v_cmp_gt_i32_e32 vcc_lo, 32, v4
	v_cndmask_b32_e32 v1, v1, v4, vcc_lo
	v_cmp_eq_u32_e32 vcc_lo, 0, v0
	v_lshlrev_b32_e32 v4, 2, v1
	s_waitcnt lgkmcnt(0)
	v_add_f32_e32 v1, v2, v3
	ds_bpermute_b32 v2, v4, v1
	s_and_b32 exec_lo, exec_lo, vcc_lo
	s_cbranch_execz .LBB26_14
; %bb.13:
	s_load_dwordx2 s[0:1], s[4:5], 0x38
	s_mul_i32 s2, s2, s10
	s_mul_i32 s3, s14, s8
	s_add_i32 s2, s2, s6
	s_waitcnt lgkmcnt(0)
	v_add_f32_e32 v0, v1, v2
	s_add_i32 s2, s2, s3
	s_mov_b32 s3, 0
	v_mov_b32_e32 v1, 0
	s_lshl_b64 s[2:3], s[2:3], 2
	s_add_u32 s0, s0, s2
	s_addc_u32 s1, s1, s3
	global_store_dword v1, v0, s[0:1]
.LBB26_14:
	s_endpgm
	.section	.rodata,"a",@progbits
	.p2align	6, 0x0
	.amdhsa_kernel _ZL13mul_mat_vec_qIL9ggml_type3ELi1ELb0ELb1EEvPKvS2_PKi31ggml_cuda_mm_fusion_args_devicePfj15HIP_vector_typeIjLj3EEjjjS8_jjjS8_jjjj
		.amdhsa_group_segment_fixed_size 0
		.amdhsa_private_segment_fixed_size 0
		.amdhsa_kernarg_size 144
		.amdhsa_user_sgpr_count 6
		.amdhsa_user_sgpr_private_segment_buffer 1
		.amdhsa_user_sgpr_dispatch_ptr 0
		.amdhsa_user_sgpr_queue_ptr 0
		.amdhsa_user_sgpr_kernarg_segment_ptr 1
		.amdhsa_user_sgpr_dispatch_id 0
		.amdhsa_user_sgpr_flat_scratch_init 0
		.amdhsa_user_sgpr_private_segment_size 0
		.amdhsa_wavefront_size32 1
		.amdhsa_uses_dynamic_stack 0
		.amdhsa_system_sgpr_private_segment_wavefront_offset 0
		.amdhsa_system_sgpr_workgroup_id_x 1
		.amdhsa_system_sgpr_workgroup_id_y 1
		.amdhsa_system_sgpr_workgroup_id_z 1
		.amdhsa_system_sgpr_workgroup_info 0
		.amdhsa_system_vgpr_workitem_id 1
		.amdhsa_next_free_vgpr 18
		.amdhsa_next_free_sgpr 23
		.amdhsa_reserve_vcc 1
		.amdhsa_reserve_flat_scratch 0
		.amdhsa_float_round_mode_32 0
		.amdhsa_float_round_mode_16_64 0
		.amdhsa_float_denorm_mode_32 3
		.amdhsa_float_denorm_mode_16_64 3
		.amdhsa_dx10_clamp 1
		.amdhsa_ieee_mode 1
		.amdhsa_fp16_overflow 0
		.amdhsa_workgroup_processor_mode 1
		.amdhsa_memory_ordered 1
		.amdhsa_forward_progress 1
		.amdhsa_shared_vgpr_count 0
		.amdhsa_exception_fp_ieee_invalid_op 0
		.amdhsa_exception_fp_denorm_src 0
		.amdhsa_exception_fp_ieee_div_zero 0
		.amdhsa_exception_fp_ieee_overflow 0
		.amdhsa_exception_fp_ieee_underflow 0
		.amdhsa_exception_fp_ieee_inexact 0
		.amdhsa_exception_int_div_zero 0
	.end_amdhsa_kernel
	.section	.text._ZL13mul_mat_vec_qIL9ggml_type3ELi1ELb0ELb1EEvPKvS2_PKi31ggml_cuda_mm_fusion_args_devicePfj15HIP_vector_typeIjLj3EEjjjS8_jjjS8_jjjj,"axG",@progbits,_ZL13mul_mat_vec_qIL9ggml_type3ELi1ELb0ELb1EEvPKvS2_PKi31ggml_cuda_mm_fusion_args_devicePfj15HIP_vector_typeIjLj3EEjjjS8_jjjS8_jjjj,comdat
.Lfunc_end26:
	.size	_ZL13mul_mat_vec_qIL9ggml_type3ELi1ELb0ELb1EEvPKvS2_PKi31ggml_cuda_mm_fusion_args_devicePfj15HIP_vector_typeIjLj3EEjjjS8_jjjS8_jjjj, .Lfunc_end26-_ZL13mul_mat_vec_qIL9ggml_type3ELi1ELb0ELb1EEvPKvS2_PKi31ggml_cuda_mm_fusion_args_devicePfj15HIP_vector_typeIjLj3EEjjjS8_jjjS8_jjjj
                                        ; -- End function
	.set _ZL13mul_mat_vec_qIL9ggml_type3ELi1ELb0ELb1EEvPKvS2_PKi31ggml_cuda_mm_fusion_args_devicePfj15HIP_vector_typeIjLj3EEjjjS8_jjjS8_jjjj.num_vgpr, 18
	.set _ZL13mul_mat_vec_qIL9ggml_type3ELi1ELb0ELb1EEvPKvS2_PKi31ggml_cuda_mm_fusion_args_devicePfj15HIP_vector_typeIjLj3EEjjjS8_jjjS8_jjjj.num_agpr, 0
	.set _ZL13mul_mat_vec_qIL9ggml_type3ELi1ELb0ELb1EEvPKvS2_PKi31ggml_cuda_mm_fusion_args_devicePfj15HIP_vector_typeIjLj3EEjjjS8_jjjS8_jjjj.numbered_sgpr, 23
	.set _ZL13mul_mat_vec_qIL9ggml_type3ELi1ELb0ELb1EEvPKvS2_PKi31ggml_cuda_mm_fusion_args_devicePfj15HIP_vector_typeIjLj3EEjjjS8_jjjS8_jjjj.num_named_barrier, 0
	.set _ZL13mul_mat_vec_qIL9ggml_type3ELi1ELb0ELb1EEvPKvS2_PKi31ggml_cuda_mm_fusion_args_devicePfj15HIP_vector_typeIjLj3EEjjjS8_jjjS8_jjjj.private_seg_size, 0
	.set _ZL13mul_mat_vec_qIL9ggml_type3ELi1ELb0ELb1EEvPKvS2_PKi31ggml_cuda_mm_fusion_args_devicePfj15HIP_vector_typeIjLj3EEjjjS8_jjjS8_jjjj.uses_vcc, 1
	.set _ZL13mul_mat_vec_qIL9ggml_type3ELi1ELb0ELb1EEvPKvS2_PKi31ggml_cuda_mm_fusion_args_devicePfj15HIP_vector_typeIjLj3EEjjjS8_jjjS8_jjjj.uses_flat_scratch, 0
	.set _ZL13mul_mat_vec_qIL9ggml_type3ELi1ELb0ELb1EEvPKvS2_PKi31ggml_cuda_mm_fusion_args_devicePfj15HIP_vector_typeIjLj3EEjjjS8_jjjS8_jjjj.has_dyn_sized_stack, 0
	.set _ZL13mul_mat_vec_qIL9ggml_type3ELi1ELb0ELb1EEvPKvS2_PKi31ggml_cuda_mm_fusion_args_devicePfj15HIP_vector_typeIjLj3EEjjjS8_jjjS8_jjjj.has_recursion, 0
	.set _ZL13mul_mat_vec_qIL9ggml_type3ELi1ELb0ELb1EEvPKvS2_PKi31ggml_cuda_mm_fusion_args_devicePfj15HIP_vector_typeIjLj3EEjjjS8_jjjS8_jjjj.has_indirect_call, 0
	.section	.AMDGPU.csdata,"",@progbits
; Kernel info:
; codeLenInByte = 864
; TotalNumSgprs: 25
; NumVgprs: 18
; ScratchSize: 0
; MemoryBound: 0
; FloatMode: 240
; IeeeMode: 1
; LDSByteSize: 0 bytes/workgroup (compile time only)
; SGPRBlocks: 0
; VGPRBlocks: 2
; NumSGPRsForWavesPerEU: 25
; NumVGPRsForWavesPerEU: 18
; Occupancy: 16
; WaveLimiterHint : 0
; COMPUTE_PGM_RSRC2:SCRATCH_EN: 0
; COMPUTE_PGM_RSRC2:USER_SGPR: 6
; COMPUTE_PGM_RSRC2:TRAP_HANDLER: 0
; COMPUTE_PGM_RSRC2:TGID_X_EN: 1
; COMPUTE_PGM_RSRC2:TGID_Y_EN: 1
; COMPUTE_PGM_RSRC2:TGID_Z_EN: 1
; COMPUTE_PGM_RSRC2:TIDIG_COMP_CNT: 1
	.section	.text._ZL13mul_mat_vec_qIL9ggml_type3ELi1ELb1ELb0EEvPKvS2_PKi31ggml_cuda_mm_fusion_args_devicePfj15HIP_vector_typeIjLj3EEjjjS8_jjjS8_jjjj,"axG",@progbits,_ZL13mul_mat_vec_qIL9ggml_type3ELi1ELb1ELb0EEvPKvS2_PKi31ggml_cuda_mm_fusion_args_devicePfj15HIP_vector_typeIjLj3EEjjjS8_jjjS8_jjjj,comdat
	.globl	_ZL13mul_mat_vec_qIL9ggml_type3ELi1ELb1ELb0EEvPKvS2_PKi31ggml_cuda_mm_fusion_args_devicePfj15HIP_vector_typeIjLj3EEjjjS8_jjjS8_jjjj ; -- Begin function _ZL13mul_mat_vec_qIL9ggml_type3ELi1ELb1ELb0EEvPKvS2_PKi31ggml_cuda_mm_fusion_args_devicePfj15HIP_vector_typeIjLj3EEjjjS8_jjjS8_jjjj
	.p2align	8
	.type	_ZL13mul_mat_vec_qIL9ggml_type3ELi1ELb1ELb0EEvPKvS2_PKi31ggml_cuda_mm_fusion_args_devicePfj15HIP_vector_typeIjLj3EEjjjS8_jjjS8_jjjj,@function
_ZL13mul_mat_vec_qIL9ggml_type3ELi1ELb1ELb0EEvPKvS2_PKi31ggml_cuda_mm_fusion_args_devicePfj15HIP_vector_typeIjLj3EEjjjS8_jjjS8_jjjj: ; @_ZL13mul_mat_vec_qIL9ggml_type3ELi1ELb1ELb0EEvPKvS2_PKi31ggml_cuda_mm_fusion_args_devicePfj15HIP_vector_typeIjLj3EEjjjS8_jjjS8_jjjj
; %bb.0:
	s_clause 0x3
	s_load_dwordx8 s[12:19], s[4:5], 0x0
	s_load_dwordx4 s[28:31], s[4:5], 0x20
	s_load_dwordx4 s[36:39], s[4:5], 0x40
	;; [unrolled: 1-line block ×3, first 2 shown]
	s_mov_b32 s10, s7
	s_waitcnt lgkmcnt(0)
	s_cmp_lg_u64 s[16:17], 0
	s_cselect_b32 s0, -1, 0
	s_cmp_eq_u64 s[16:17], 0
	s_cbranch_scc1 .LBB27_5
; %bb.1:
	s_mov_b32 s11, 0
	s_lshl_b64 s[2:3], s[10:11], 2
	s_add_u32 s2, s16, s2
	s_addc_u32 s3, s17, s3
	s_load_dword s33, s[2:3], 0x0
	s_clause 0x1
	s_load_dword s34, s[4:5], 0x50
	s_load_dword s35, s[4:5], 0x78
	s_cbranch_execnz .LBB27_3
.LBB27_2:
	s_load_dwordx2 s[2:3], s[4:5], 0x5c
	s_waitcnt lgkmcnt(0)
	s_mul_hi_u32 s1, s2, s10
	s_add_i32 s1, s10, s1
	s_lshr_b32 s33, s1, s3
.LBB27_3:
	s_andn2_b32 vcc_lo, exec_lo, s0
	s_cbranch_vccnz .LBB27_6
; %bb.4:
	s_mul_hi_u32 s0, s37, s10
	s_waitcnt lgkmcnt(0)
	s_mov_b32 s1, s33
	s_add_i32 s0, s10, s0
	s_lshr_b32 s0, s0, s38
	s_mul_i32 s0, s0, s39
	s_sub_i32 s11, s10, s0
	s_branch .LBB27_7
.LBB27_5:
                                        ; implicit-def: $sgpr33
	s_clause 0x1
	s_load_dword s34, s[4:5], 0x50
	s_load_dword s35, s[4:5], 0x78
	s_branch .LBB27_2
.LBB27_6:
	s_mov_b32 s1, s10
	s_mov_b32 s11, s10
.LBB27_7:
	s_load_dwordx4 s[24:27], s[4:5], 0x80
	v_or_b32_e32 v2, v0, v1
	s_cmp_lg_u64 s[18:19], 0
	v_mov_b32_e32 v10, 0
	v_mov_b32_e32 v11, 0
	s_cselect_b32 s0, -1, 0
	v_cmp_eq_u32_e32 vcc_lo, 0, v2
	s_mov_b32 s17, 0
	s_mul_i32 s2, s1, s22
	s_and_b32 s3, s0, vcc_lo
	s_and_saveexec_b32 s1, s3
	s_cbranch_execz .LBB27_9
; %bb.8:
	s_waitcnt lgkmcnt(0)
	s_mul_i32 s16, s26, s8
	s_mov_b32 s3, s17
	s_lshl_b64 s[38:39], s[16:17], 2
	v_lshlrev_b32_e32 v2, 2, v0
	s_add_u32 s7, s18, s38
	s_addc_u32 s9, s19, s39
	s_lshl_b64 s[16:17], s[2:3], 2
	s_add_u32 s3, s7, s16
	s_addc_u32 s9, s9, s17
	s_ashr_i32 s7, s6, 31
	s_lshl_b64 s[16:17], s[6:7], 2
	s_add_u32 s16, s3, s16
	s_addc_u32 s17, s9, s17
	global_load_dword v11, v2, s[16:17]
.LBB27_9:
	s_or_b32 exec_lo, exec_lo, s1
	s_cmp_lg_u64 s[28:29], 0
	s_cselect_b32 s9, -1, 0
	s_cmp_lg_u64 s[30:31], 0
	s_cselect_b32 s1, -1, 0
	s_and_b32 s3, s1, s9
	s_and_b32 s3, s3, vcc_lo
	s_and_saveexec_b32 s16, s3
	s_cbranch_execz .LBB27_11
; %bb.10:
	s_waitcnt lgkmcnt(0)
	s_mul_i32 s18, s26, s8
	s_mov_b32 s19, 0
	v_lshlrev_b32_e32 v2, 2, v0
	s_lshl_b64 s[38:39], s[18:19], 2
	s_mov_b32 s3, s19
	s_add_u32 s7, s30, s38
	s_addc_u32 s17, s31, s39
	s_lshl_b64 s[2:3], s[2:3], 2
	s_add_u32 s18, s7, s2
	s_addc_u32 s17, s17, s3
	s_ashr_i32 s7, s6, 31
	s_lshl_b64 s[2:3], s[6:7], 2
	s_add_u32 s2, s18, s2
	s_addc_u32 s3, s17, s3
	global_load_dword v10, v2, s[2:3]
.LBB27_11:
	s_or_b32 exec_lo, exec_lo, s16
	v_lshl_or_b32 v2, v1, 5, v0
	v_mov_b32_e32 v14, 0
	v_cndmask_b32_e64 v12, 0, 1, s9
	v_mov_b32_e32 v13, 0
	s_lshr_b32 s3, s36, 5
	v_lshrrev_b16 v3, 1, v2
	s_mov_b32 s7, exec_lo
	v_and_b32_e32 v15, 0xffff, v3
	v_cmpx_gt_u32_e64 s3, v15
	s_cbranch_execz .LBB27_17
; %bb.12:
	s_mul_hi_u32 s2, s23, s8
	s_waitcnt lgkmcnt(0)
	s_mul_i32 s34, s34, s6
	s_add_i32 s2, s8, s2
	s_mul_i32 s16, s25, s8
	s_lshr_b32 s2, s2, s35
	s_mul_i32 s17, s11, s21
	s_mul_i32 s2, s2, s24
	;; [unrolled: 1-line block ×3, first 2 shown]
	s_add_i32 s2, s2, s34
	v_lshlrev_b32_e32 v3, 1, v0
	s_mul_i32 s18, s16, 36
	s_add_i32 s11, s11, s2
	s_mul_hi_u32 s16, s16, 36
	v_lshrrev_b32_e32 v2, 1, v2
	s_mul_hi_u32 s2, s17, 36
	s_mul_i32 s17, s17, 36
	s_add_u32 s14, s14, s18
	s_addc_u32 s15, s15, s16
	s_add_u32 s14, s14, s17
	v_and_b32_e32 v4, 2, v3
	v_and_b32_e32 v5, 1, v0
	s_addc_u32 s15, s15, s2
	v_mov_b32_e32 v14, 0
	v_mad_u64_u32 v[2:3], null, v2, 36, s[14:15]
	v_lshlrev_b32_e32 v16, 3, v5
	v_lshlrev_b32_e32 v17, 2, v4
	v_mov_b32_e32 v13, 0
	s_mov_b32 s14, 0
	s_branch .LBB27_14
.LBB27_13:                              ;   in Loop: Header=BB27_14 Depth=1
	s_waitcnt vmcnt(4)
	v_and_b32_e32 v20, 0xf0f0f0f, v8
	v_lshrrev_b32_e32 v8, 4, v8
	v_mov_b32_e32 v21, 0
	v_add_nc_u32_e32 v15, 16, v15
	v_add_co_u32 v2, s2, 0x240, v2
	v_and_b32_e32 v8, 0xf0f0f0f, v8
	s_waitcnt vmcnt(2)
	v_dot4c_i32_i8 v21, v20, v6
	v_and_b32_e32 v6, 0xf0f0f0f, v9
	v_lshrrev_b32_e32 v9, 4, v9
	v_cmp_le_u32_e32 vcc_lo, s3, v15
	v_add_co_ci_u32_e64 v3, null, 0, v3, s2
	s_waitcnt vmcnt(1)
	v_dot4c_i32_i8 v21, v8, v4
	s_waitcnt vmcnt(0)
	v_pk_mul_f16 v4, v18, v19
	v_and_b32_e32 v8, 0xf0f0f0f, v9
	s_or_b32 s14, vcc_lo, s14
	v_dot4c_i32_i8 v21, v6, v7
	v_cvt_f32_f16_sdwa v6, v4 dst_sel:DWORD dst_unused:UNUSED_PAD src0_sel:WORD_1
	v_dot4c_i32_i8 v21, v8, v5
	v_mul_f32_e32 v5, 0.5, v6
	v_cvt_f32_i32_e32 v6, v21
	v_fma_mix_f32 v4, v6, v4, v5 op_sel_hi:[0,1,0]
	v_add_f32_e32 v14, v14, v4
	s_andn2_b32 exec_lo, exec_lo, s14
	s_cbranch_execz .LBB27_16
.LBB27_14:                              ; =>This Inner Loop Header: Depth=1
	v_add_nc_u32_e32 v20, s11, v15
	v_mad_i64_i32 v[4:5], null, v20, 20, s[12:13]
	v_add_co_u32 v6, vcc_lo, v4, v17
	v_add_co_ci_u32_e64 v7, null, 0, v5, vcc_lo
	v_add_co_u32 v21, vcc_lo, v2, v16
	v_add_co_ci_u32_e64 v22, null, 0, v3, vcc_lo
	s_clause 0x1
	global_load_dwordx2 v[8:9], v[6:7], off offset:4
	global_load_dword v18, v[4:5], off
	s_clause 0x2
	global_load_dwordx2 v[6:7], v[21:22], off offset:4
	global_load_dwordx2 v[4:5], v[21:22], off offset:20
	global_load_dword v19, v[2:3], off
	s_andn2_b32 vcc_lo, exec_lo, s9
	s_cbranch_vccnz .LBB27_13
; %bb.15:                               ;   in Loop: Header=BB27_14 Depth=1
	v_mad_i64_i32 v[20:21], null, v20, 20, s[28:29]
	v_add_co_u32 v22, vcc_lo, v20, v17
	v_add_co_ci_u32_e64 v23, null, 0, v21, vcc_lo
	s_clause 0x1
	global_load_dwordx2 v[22:23], v[22:23], off offset:4
	global_load_dword v20, v[20:21], off
	v_mov_b32_e32 v21, 0
	s_waitcnt vmcnt(1)
	v_lshrrev_b32_e32 v24, 4, v22
	v_and_b32_e32 v22, 0xf0f0f0f, v22
	s_waitcnt vmcnt(0)
	v_pk_mul_f16 v20, v19, v20
	v_and_b32_e32 v24, 0xf0f0f0f, v24
	v_dot4c_i32_i8 v21, v22, v6
	v_and_b32_e32 v22, 0xf0f0f0f, v23
	v_lshrrev_b32_e32 v23, 4, v23
	v_dot4c_i32_i8 v21, v24, v4
	v_and_b32_e32 v23, 0xf0f0f0f, v23
	v_dot4c_i32_i8 v21, v22, v7
	v_cvt_f32_f16_sdwa v22, v20 dst_sel:DWORD dst_unused:UNUSED_PAD src0_sel:WORD_1
	v_dot4c_i32_i8 v21, v23, v5
	v_mul_f32_e32 v22, 0.5, v22
	v_cvt_f32_i32_e32 v21, v21
	v_fma_mix_f32 v20, v21, v20, v22 op_sel_hi:[0,1,0]
	v_add_f32_e32 v13, v13, v20
	s_branch .LBB27_13
.LBB27_16:
	s_or_b32 exec_lo, exec_lo, s14
.LBB27_17:
	s_or_b32 exec_lo, exec_lo, s7
	s_load_dword s2, s[4:5], 0x30
	s_waitcnt vmcnt(0) lgkmcnt(0)
	; wave barrier
	buffer_gl0_inv
	s_mov_b32 s3, exec_lo
	v_cmpx_eq_u32_e32 0, v1
	s_cbranch_execz .LBB27_44
; %bb.18:
	v_mbcnt_lo_u32_b32 v2, -1, 0
	v_xor_b32_e32 v1, 16, v2
	v_xor_b32_e32 v4, 8, v2
	;; [unrolled: 1-line block ×3, first 2 shown]
	v_cmp_gt_i32_e32 vcc_lo, 32, v1
	v_cndmask_b32_e32 v1, v2, v1, vcc_lo
	v_cmp_gt_i32_e32 vcc_lo, 32, v4
	v_lshlrev_b32_e32 v1, 2, v1
	v_cndmask_b32_e32 v4, v2, v4, vcc_lo
	v_cmp_gt_i32_e32 vcc_lo, 32, v5
	ds_bpermute_b32 v3, v1, v14
	v_lshlrev_b32_e32 v4, 2, v4
	v_cndmask_b32_e32 v5, v2, v5, vcc_lo
	v_lshlrev_b32_e32 v5, 2, v5
	s_waitcnt lgkmcnt(0)
	v_add_f32_e32 v3, v14, v3
	ds_bpermute_b32 v6, v4, v3
	s_waitcnt lgkmcnt(0)
	v_add_f32_e32 v3, v3, v6
	v_xor_b32_e32 v6, 2, v2
	ds_bpermute_b32 v7, v5, v3
	v_cmp_gt_i32_e32 vcc_lo, 32, v6
	v_cndmask_b32_e32 v6, v2, v6, vcc_lo
	v_lshlrev_b32_e32 v6, 2, v6
	s_waitcnt lgkmcnt(0)
	v_add_f32_e32 v3, v3, v7
	v_xor_b32_e32 v7, 1, v2
	ds_bpermute_b32 v8, v6, v3
	v_cmp_gt_i32_e32 vcc_lo, 32, v7
	v_cndmask_b32_e32 v2, v2, v7, vcc_lo
	v_cmp_ne_u32_e32 vcc_lo, 1, v12
	v_lshlrev_b32_e32 v7, 2, v2
	s_waitcnt lgkmcnt(0)
	v_add_f32_e32 v2, v3, v8
	ds_bpermute_b32 v3, v7, v2
	s_cbranch_vccnz .LBB27_20
; %bb.19:
	ds_bpermute_b32 v1, v1, v13
	s_waitcnt lgkmcnt(0)
	v_add_f32_e32 v1, v13, v1
	ds_bpermute_b32 v4, v4, v1
	s_waitcnt lgkmcnt(0)
	v_add_f32_e32 v1, v1, v4
	ds_bpermute_b32 v4, v5, v1
	s_waitcnt lgkmcnt(0)
	v_add_f32_e32 v1, v1, v4
	ds_bpermute_b32 v4, v6, v1
	s_waitcnt lgkmcnt(0)
	v_add_f32_e32 v1, v1, v4
	ds_bpermute_b32 v4, v7, v1
	s_waitcnt lgkmcnt(0)
	v_add_f32_e32 v13, v1, v4
.LBB27_20:
	v_cmp_eq_u32_e32 vcc_lo, 0, v0
	s_and_b32 exec_lo, exec_lo, vcc_lo
	s_cbranch_execz .LBB27_44
; %bb.21:
	s_waitcnt lgkmcnt(0)
	v_add_f32_e32 v1, v2, v3
	v_cmp_ne_u32_e32 vcc_lo, 1, v12
	v_add_f32_e32 v2, v11, v1
	v_cndmask_b32_e64 v1, v1, v2, s0
	s_cbranch_vccnz .LBB27_43
; %bb.22:
	v_add_f32_e32 v2, v10, v13
	s_cmp_lt_i32 s2, 2
	s_mov_b32 s0, 0
	v_cndmask_b32_e64 v2, v13, v2, s1
	s_cbranch_scc1 .LBB27_26
; %bb.23:
	s_cmp_gt_i32 s2, 2
	s_cbranch_scc0 .LBB27_27
; %bb.24:
	s_cmp_eq_u32 s2, 3
	s_cbranch_scc0 .LBB27_28
; %bb.25:
	v_max_f32_e32 v3, v2, v2
	s_mov_b32 s1, 0
	v_min_f32_e32 v3, 0x40e00000, v3
	v_mul_f32_e32 v4, 0xbfd9db23, v3
	v_mul_f32_e32 v5, 0x3fb8aa3b, v4
	v_cmp_ngt_f32_e32 vcc_lo, 0xc2ce8ed0, v4
	v_fma_f32 v6, 0x3fb8aa3b, v4, -v5
	v_rndne_f32_e32 v7, v5
	v_fmamk_f32 v6, v4, 0x32a5705f, v6
	v_sub_f32_e32 v5, v5, v7
	v_add_f32_e32 v5, v5, v6
	v_cvt_i32_f32_e32 v6, v7
	v_exp_f32_e32 v5, v5
	v_ldexp_f32 v5, v5, v6
	v_cndmask_b32_e32 v5, 0, v5, vcc_lo
	v_cmp_nlt_f32_e32 vcc_lo, 0x42b17218, v4
	v_cndmask_b32_e32 v4, 0x7f800000, v5, vcc_lo
	v_add_f32_e32 v4, 1.0, v4
	v_div_scale_f32 v5, null, v4, v4, v3
	v_div_scale_f32 v8, vcc_lo, v3, v4, v3
	v_rcp_f32_e32 v6, v5
	v_fma_f32 v7, -v5, v6, 1.0
	v_fmac_f32_e32 v6, v7, v6
	v_mul_f32_e32 v7, v8, v6
	v_fma_f32 v9, -v5, v7, v8
	v_fmac_f32_e32 v7, v9, v6
	v_max_f32_e32 v9, v1, v1
	v_fma_f32 v5, -v5, v7, v8
	v_min_f32_e32 v8, 0x40e00000, v9
	v_div_fmas_f32 v5, v5, v6, v7
	v_max_f32_e32 v6, 0xc0e00000, v8
	v_div_fixup_f32 v3, v5, v4, v3
	v_add_f32_e32 v4, 1.0, v6
	v_mul_f32_e32 v3, v4, v3
	s_branch .LBB27_29
.LBB27_26:
	s_mov_b32 s1, 0
                                        ; implicit-def: $vgpr3
	s_cbranch_execnz .LBB27_33
	s_branch .LBB27_34
.LBB27_27:
	s_mov_b32 s3, -1
	s_mov_b32 s1, 0
                                        ; implicit-def: $vgpr3
	s_branch .LBB27_30
.LBB27_28:
	s_mov_b32 s1, -1
                                        ; implicit-def: $vgpr3
.LBB27_29:
	s_mov_b32 s3, 0
.LBB27_30:
	s_and_b32 vcc_lo, exec_lo, s3
	s_cbranch_vccz .LBB27_32
; %bb.31:
	v_mul_f32_e32 v3, 0xbfb8aa3b, v2
	v_cmp_nlt_f32_e32 vcc_lo, 0x42ce8ed0, v2
	v_rndne_f32_e32 v4, v3
	v_fma_f32 v5, 0xbfb8aa3b, v2, -v3
	v_sub_f32_e32 v3, v3, v4
	v_fmamk_f32 v5, v2, 0xb2a5705f, v5
	v_cvt_i32_f32_e32 v4, v4
	v_add_f32_e32 v3, v3, v5
	v_exp_f32_e32 v3, v3
	v_ldexp_f32 v3, v3, v4
	v_cndmask_b32_e32 v3, 0, v3, vcc_lo
	v_cmp_ngt_f32_e32 vcc_lo, 0xc2b17218, v2
	v_cndmask_b32_e32 v3, 0x7f800000, v3, vcc_lo
	v_add_f32_e32 v3, 1.0, v3
	v_div_scale_f32 v4, null, v3, v3, v2
	v_rcp_f32_e32 v5, v4
	v_fma_f32 v6, -v4, v5, 1.0
	v_fmac_f32_e32 v5, v6, v5
	v_div_scale_f32 v6, vcc_lo, v2, v3, v2
	v_mul_f32_e32 v7, v6, v5
	v_fma_f32 v8, -v4, v7, v6
	v_fmac_f32_e32 v7, v8, v5
	v_fma_f32 v4, -v4, v7, v6
	v_div_fmas_f32 v4, v4, v5, v7
	v_div_fixup_f32 v3, v4, v3, v2
	v_mul_f32_e32 v3, v1, v3
.LBB27_32:
	s_branch .LBB27_34
.LBB27_33:
	s_cmp_lg_u32 s2, 1
	s_mov_b32 s0, -1
	s_cselect_b32 s1, -1, 0
.LBB27_34:
	s_andn2_b32 vcc_lo, exec_lo, s1
	s_cbranch_vccz .LBB27_36
; %bb.35:
	s_andn2_b32 vcc_lo, exec_lo, s0
	s_cbranch_vccz .LBB27_37
	s_branch .LBB27_42
.LBB27_36:
	v_mul_f32_e32 v3, v2, v1
	s_cbranch_execnz .LBB27_42
.LBB27_37:
	v_mul_f32_e32 v3, 0x3d372713, v2
	v_mul_f32_e32 v4, 0x3f4c422a, v2
	v_fma_f32 v3, v2, v3, 1.0
	v_mul_f32_e32 v3, v4, v3
                                        ; implicit-def: $vgpr4
	v_cmp_ngt_f32_e64 s0, 0x3f200000, |v3|
	s_and_saveexec_b32 s1, s0
	s_xor_b32 s0, exec_lo, s1
	s_cbranch_execz .LBB27_39
; %bb.38:
	v_add_f32_e64 v4, |v3|, |v3|
	v_mul_f32_e32 v5, 0x3fb8aa3b, v4
	v_cmp_ngt_f32_e32 vcc_lo, 0xc2ce8ed0, v4
	v_rndne_f32_e32 v6, v5
	v_fma_f32 v7, 0x3fb8aa3b, v4, -v5
	v_sub_f32_e32 v5, v5, v6
	v_fmamk_f32 v7, v4, 0x32a5705f, v7
	v_cvt_i32_f32_e32 v6, v6
	v_add_f32_e32 v5, v5, v7
	v_exp_f32_e32 v5, v5
	v_ldexp_f32 v5, v5, v6
	v_cndmask_b32_e32 v5, 0, v5, vcc_lo
	v_cmp_nlt_f32_e32 vcc_lo, 0x42b17218, v4
	v_cndmask_b32_e32 v4, 0x7f800000, v5, vcc_lo
	v_add_f32_e32 v4, 1.0, v4
	v_rcp_f32_e32 v4, v4
	v_fma_f32 v4, v4, -2.0, 1.0
.LBB27_39:
	s_andn2_saveexec_b32 s0, s0
	s_cbranch_execz .LBB27_41
; %bb.40:
	v_mul_f32_e32 v4, v3, v3
	s_mov_b32 s1, 0xbbbac73d
	v_fmaak_f32 v5, s1, v4, 0x3ca908c9
	v_fmaak_f32 v5, v4, v5, 0xbd5c1c4e
	;; [unrolled: 1-line block ×4, first 2 shown]
	v_mul_f32_e64 v5, |v3|, v5
	v_fma_f32 v4, v4, v5, |v3|
.LBB27_41:
	s_or_b32 exec_lo, exec_lo, s0
	v_bfi_b32 v3, 0x7fffffff, v4, v3
	v_mul_f32_e32 v2, 0.5, v2
	v_add_f32_e32 v3, 1.0, v3
	v_mul_f32_e32 v2, v2, v3
	v_mul_f32_e32 v3, v1, v2
.LBB27_42:
	v_mov_b32_e32 v1, v3
.LBB27_43:
	s_load_dwordx2 s[0:1], s[4:5], 0x38
	s_mul_i32 s2, s22, s10
	s_mul_i32 s3, s26, s8
	s_add_i32 s2, s2, s6
	v_lshlrev_b32_e32 v0, 2, v0
	s_add_i32 s2, s2, s3
	s_mov_b32 s3, 0
	s_lshl_b64 s[2:3], s[2:3], 2
	s_waitcnt lgkmcnt(0)
	s_add_u32 s0, s0, s2
	s_addc_u32 s1, s1, s3
	global_store_dword v0, v1, s[0:1]
.LBB27_44:
	s_endpgm
	.section	.rodata,"a",@progbits
	.p2align	6, 0x0
	.amdhsa_kernel _ZL13mul_mat_vec_qIL9ggml_type3ELi1ELb1ELb0EEvPKvS2_PKi31ggml_cuda_mm_fusion_args_devicePfj15HIP_vector_typeIjLj3EEjjjS8_jjjS8_jjjj
		.amdhsa_group_segment_fixed_size 0
		.amdhsa_private_segment_fixed_size 0
		.amdhsa_kernarg_size 144
		.amdhsa_user_sgpr_count 6
		.amdhsa_user_sgpr_private_segment_buffer 1
		.amdhsa_user_sgpr_dispatch_ptr 0
		.amdhsa_user_sgpr_queue_ptr 0
		.amdhsa_user_sgpr_kernarg_segment_ptr 1
		.amdhsa_user_sgpr_dispatch_id 0
		.amdhsa_user_sgpr_flat_scratch_init 0
		.amdhsa_user_sgpr_private_segment_size 0
		.amdhsa_wavefront_size32 1
		.amdhsa_uses_dynamic_stack 0
		.amdhsa_system_sgpr_private_segment_wavefront_offset 0
		.amdhsa_system_sgpr_workgroup_id_x 1
		.amdhsa_system_sgpr_workgroup_id_y 1
		.amdhsa_system_sgpr_workgroup_id_z 1
		.amdhsa_system_sgpr_workgroup_info 0
		.amdhsa_system_vgpr_workitem_id 1
		.amdhsa_next_free_vgpr 25
		.amdhsa_next_free_sgpr 40
		.amdhsa_reserve_vcc 1
		.amdhsa_reserve_flat_scratch 0
		.amdhsa_float_round_mode_32 0
		.amdhsa_float_round_mode_16_64 0
		.amdhsa_float_denorm_mode_32 3
		.amdhsa_float_denorm_mode_16_64 3
		.amdhsa_dx10_clamp 1
		.amdhsa_ieee_mode 1
		.amdhsa_fp16_overflow 0
		.amdhsa_workgroup_processor_mode 1
		.amdhsa_memory_ordered 1
		.amdhsa_forward_progress 1
		.amdhsa_shared_vgpr_count 0
		.amdhsa_exception_fp_ieee_invalid_op 0
		.amdhsa_exception_fp_denorm_src 0
		.amdhsa_exception_fp_ieee_div_zero 0
		.amdhsa_exception_fp_ieee_overflow 0
		.amdhsa_exception_fp_ieee_underflow 0
		.amdhsa_exception_fp_ieee_inexact 0
		.amdhsa_exception_int_div_zero 0
	.end_amdhsa_kernel
	.section	.text._ZL13mul_mat_vec_qIL9ggml_type3ELi1ELb1ELb0EEvPKvS2_PKi31ggml_cuda_mm_fusion_args_devicePfj15HIP_vector_typeIjLj3EEjjjS8_jjjS8_jjjj,"axG",@progbits,_ZL13mul_mat_vec_qIL9ggml_type3ELi1ELb1ELb0EEvPKvS2_PKi31ggml_cuda_mm_fusion_args_devicePfj15HIP_vector_typeIjLj3EEjjjS8_jjjS8_jjjj,comdat
.Lfunc_end27:
	.size	_ZL13mul_mat_vec_qIL9ggml_type3ELi1ELb1ELb0EEvPKvS2_PKi31ggml_cuda_mm_fusion_args_devicePfj15HIP_vector_typeIjLj3EEjjjS8_jjjS8_jjjj, .Lfunc_end27-_ZL13mul_mat_vec_qIL9ggml_type3ELi1ELb1ELb0EEvPKvS2_PKi31ggml_cuda_mm_fusion_args_devicePfj15HIP_vector_typeIjLj3EEjjjS8_jjjS8_jjjj
                                        ; -- End function
	.set _ZL13mul_mat_vec_qIL9ggml_type3ELi1ELb1ELb0EEvPKvS2_PKi31ggml_cuda_mm_fusion_args_devicePfj15HIP_vector_typeIjLj3EEjjjS8_jjjS8_jjjj.num_vgpr, 25
	.set _ZL13mul_mat_vec_qIL9ggml_type3ELi1ELb1ELb0EEvPKvS2_PKi31ggml_cuda_mm_fusion_args_devicePfj15HIP_vector_typeIjLj3EEjjjS8_jjjS8_jjjj.num_agpr, 0
	.set _ZL13mul_mat_vec_qIL9ggml_type3ELi1ELb1ELb0EEvPKvS2_PKi31ggml_cuda_mm_fusion_args_devicePfj15HIP_vector_typeIjLj3EEjjjS8_jjjS8_jjjj.numbered_sgpr, 40
	.set _ZL13mul_mat_vec_qIL9ggml_type3ELi1ELb1ELb0EEvPKvS2_PKi31ggml_cuda_mm_fusion_args_devicePfj15HIP_vector_typeIjLj3EEjjjS8_jjjS8_jjjj.num_named_barrier, 0
	.set _ZL13mul_mat_vec_qIL9ggml_type3ELi1ELb1ELb0EEvPKvS2_PKi31ggml_cuda_mm_fusion_args_devicePfj15HIP_vector_typeIjLj3EEjjjS8_jjjS8_jjjj.private_seg_size, 0
	.set _ZL13mul_mat_vec_qIL9ggml_type3ELi1ELb1ELb0EEvPKvS2_PKi31ggml_cuda_mm_fusion_args_devicePfj15HIP_vector_typeIjLj3EEjjjS8_jjjS8_jjjj.uses_vcc, 1
	.set _ZL13mul_mat_vec_qIL9ggml_type3ELi1ELb1ELb0EEvPKvS2_PKi31ggml_cuda_mm_fusion_args_devicePfj15HIP_vector_typeIjLj3EEjjjS8_jjjS8_jjjj.uses_flat_scratch, 0
	.set _ZL13mul_mat_vec_qIL9ggml_type3ELi1ELb1ELb0EEvPKvS2_PKi31ggml_cuda_mm_fusion_args_devicePfj15HIP_vector_typeIjLj3EEjjjS8_jjjS8_jjjj.has_dyn_sized_stack, 0
	.set _ZL13mul_mat_vec_qIL9ggml_type3ELi1ELb1ELb0EEvPKvS2_PKi31ggml_cuda_mm_fusion_args_devicePfj15HIP_vector_typeIjLj3EEjjjS8_jjjS8_jjjj.has_recursion, 0
	.set _ZL13mul_mat_vec_qIL9ggml_type3ELi1ELb1ELb0EEvPKvS2_PKi31ggml_cuda_mm_fusion_args_devicePfj15HIP_vector_typeIjLj3EEjjjS8_jjjS8_jjjj.has_indirect_call, 0
	.section	.AMDGPU.csdata,"",@progbits
; Kernel info:
; codeLenInByte = 2172
; TotalNumSgprs: 42
; NumVgprs: 25
; ScratchSize: 0
; MemoryBound: 0
; FloatMode: 240
; IeeeMode: 1
; LDSByteSize: 0 bytes/workgroup (compile time only)
; SGPRBlocks: 0
; VGPRBlocks: 3
; NumSGPRsForWavesPerEU: 42
; NumVGPRsForWavesPerEU: 25
; Occupancy: 16
; WaveLimiterHint : 0
; COMPUTE_PGM_RSRC2:SCRATCH_EN: 0
; COMPUTE_PGM_RSRC2:USER_SGPR: 6
; COMPUTE_PGM_RSRC2:TRAP_HANDLER: 0
; COMPUTE_PGM_RSRC2:TGID_X_EN: 1
; COMPUTE_PGM_RSRC2:TGID_Y_EN: 1
; COMPUTE_PGM_RSRC2:TGID_Z_EN: 1
; COMPUTE_PGM_RSRC2:TIDIG_COMP_CNT: 1
	.section	.text._ZL13mul_mat_vec_qIL9ggml_type3ELi1ELb0ELb0EEvPKvS2_PKi31ggml_cuda_mm_fusion_args_devicePfj15HIP_vector_typeIjLj3EEjjjS8_jjjS8_jjjj,"axG",@progbits,_ZL13mul_mat_vec_qIL9ggml_type3ELi1ELb0ELb0EEvPKvS2_PKi31ggml_cuda_mm_fusion_args_devicePfj15HIP_vector_typeIjLj3EEjjjS8_jjjS8_jjjj,comdat
	.globl	_ZL13mul_mat_vec_qIL9ggml_type3ELi1ELb0ELb0EEvPKvS2_PKi31ggml_cuda_mm_fusion_args_devicePfj15HIP_vector_typeIjLj3EEjjjS8_jjjS8_jjjj ; -- Begin function _ZL13mul_mat_vec_qIL9ggml_type3ELi1ELb0ELb0EEvPKvS2_PKi31ggml_cuda_mm_fusion_args_devicePfj15HIP_vector_typeIjLj3EEjjjS8_jjjS8_jjjj
	.p2align	8
	.type	_ZL13mul_mat_vec_qIL9ggml_type3ELi1ELb0ELb0EEvPKvS2_PKi31ggml_cuda_mm_fusion_args_devicePfj15HIP_vector_typeIjLj3EEjjjS8_jjjS8_jjjj,@function
_ZL13mul_mat_vec_qIL9ggml_type3ELi1ELb0ELb0EEvPKvS2_PKi31ggml_cuda_mm_fusion_args_devicePfj15HIP_vector_typeIjLj3EEjjjS8_jjjS8_jjjj: ; @_ZL13mul_mat_vec_qIL9ggml_type3ELi1ELb0ELb0EEvPKvS2_PKi31ggml_cuda_mm_fusion_args_devicePfj15HIP_vector_typeIjLj3EEjjjS8_jjjS8_jjjj
; %bb.0:
	s_clause 0x1
	s_load_dwordx2 s[0:1], s[4:5], 0x10
	s_load_dwordx4 s[16:19], s[4:5], 0x40
	s_mov_b32 s10, s7
	s_waitcnt lgkmcnt(0)
	s_cmp_lg_u64 s[0:1], 0
	s_cselect_b32 s7, -1, 0
	s_cmp_eq_u64 s[0:1], 0
	s_cbranch_scc1 .LBB28_5
; %bb.1:
	s_mov_b32 s11, 0
	s_lshl_b64 s[2:3], s[10:11], 2
	s_add_u32 s0, s0, s2
	s_addc_u32 s1, s1, s3
	s_load_dword s20, s[0:1], 0x0
	s_clause 0x1
	s_load_dwordx4 s[0:3], s[4:5], 0x68
	s_load_dword s21, s[4:5], 0x50
	s_cbranch_execnz .LBB28_3
.LBB28_2:
	s_load_dwordx2 s[12:13], s[4:5], 0x5c
	s_waitcnt lgkmcnt(0)
	s_mul_hi_u32 s9, s12, s10
	s_add_i32 s9, s10, s9
	s_lshr_b32 s20, s9, s13
.LBB28_3:
	s_load_dword s11, s[4:5], 0x78
	s_andn2_b32 vcc_lo, exec_lo, s7
	s_cbranch_vccnz .LBB28_6
; %bb.4:
	s_mul_hi_u32 s7, s17, s10
	s_add_i32 s7, s10, s7
	s_lshr_b32 s7, s7, s18
	s_mul_i32 s7, s7, s19
	s_sub_i32 s22, s10, s7
	s_branch .LBB28_7
.LBB28_5:
                                        ; implicit-def: $sgpr20
	s_clause 0x1
	s_load_dwordx4 s[0:3], s[4:5], 0x68
	s_load_dword s21, s[4:5], 0x50
	s_branch .LBB28_2
.LBB28_6:
	s_mov_b32 s22, s10
.LBB28_7:
	s_load_dwordx4 s[12:15], s[4:5], 0x80
	v_lshl_or_b32 v2, v1, 5, v0
	v_mov_b32_e32 v4, 0
	s_lshr_b32 s9, s16, 5
	s_mov_b32 s7, exec_lo
	v_lshrrev_b16 v3, 1, v2
	v_and_b32_e32 v5, 0xffff, v3
	v_cmpx_gt_u32_e64 s9, v5
	s_cbranch_execz .LBB28_11
; %bb.8:
	s_load_dwordx4 s[16:19], s[4:5], 0x0
	s_waitcnt lgkmcnt(0)
	s_mul_hi_u32 s3, s3, s8
	s_mul_i32 s15, s22, s1
	s_add_i32 s3, s8, s3
	s_mul_i32 s21, s21, s6
	s_lshr_b32 s1, s3, s11
	s_mul_i32 s13, s13, s8
	s_mul_i32 s1, s1, s12
	;; [unrolled: 1-line block ×3, first 2 shown]
	s_add_i32 s1, s1, s21
	v_lshlrev_b32_e32 v3, 1, v0
	s_mul_i32 s3, s13, 36
	s_add_i32 s1, s0, s1
	s_mul_hi_u32 s11, s13, 36
	v_lshrrev_b32_e32 v2, 1, v2
	s_mul_hi_u32 s0, s15, 36
	s_mul_i32 s15, s15, 36
	v_and_b32_e32 v7, 2, v3
	v_and_b32_e32 v6, 1, v0
	v_mov_b32_e32 v4, 0
	s_add_u32 s3, s18, s3
	s_addc_u32 s11, s19, s11
	s_add_u32 s12, s3, s15
	s_addc_u32 s13, s11, s0
	v_lshlrev_b32_e32 v6, 3, v6
	v_mad_u64_u32 v[2:3], null, v2, 36, s[12:13]
	v_lshlrev_b32_e32 v7, 2, v7
	s_mov_b32 s3, 0
.LBB28_9:                               ; =>This Inner Loop Header: Depth=1
	v_add_nc_u32_e32 v8, s1, v5
	v_add_co_u32 v10, vcc_lo, v2, v6
	v_add_co_ci_u32_e64 v11, null, 0, v3, vcc_lo
	v_mad_i64_i32 v[8:9], null, v8, 20, s[16:17]
	v_add_nc_u32_e32 v5, 16, v5
	v_cmp_le_u32_e32 vcc_lo, s9, v5
	v_add_co_u32 v12, s0, v8, v7
	v_add_co_ci_u32_e64 v13, null, 0, v9, s0
	s_or_b32 s3, vcc_lo, s3
	global_load_dwordx2 v[12:13], v[12:13], off offset:4
	s_clause 0x2
	global_load_dwordx2 v[14:15], v[10:11], off offset:4
	global_load_dwordx2 v[10:11], v[10:11], off offset:20
	global_load_dword v16, v[2:3], off
	global_load_dword v8, v[8:9], off
	v_mov_b32_e32 v9, 0
	v_add_co_u32 v2, s0, 0x240, v2
	v_add_co_ci_u32_e64 v3, null, 0, v3, s0
	s_waitcnt vmcnt(4)
	v_lshrrev_b32_e32 v17, 4, v12
	v_and_b32_e32 v12, 0xf0f0f0f, v12
	s_waitcnt vmcnt(0)
	v_pk_mul_f16 v8, v8, v16
	v_and_b32_e32 v17, 0xf0f0f0f, v17
	v_dot4c_i32_i8 v9, v12, v14
	v_and_b32_e32 v12, 0xf0f0f0f, v13
	v_lshrrev_b32_e32 v13, 4, v13
	v_dot4c_i32_i8 v9, v17, v10
	v_and_b32_e32 v10, 0xf0f0f0f, v13
	v_dot4c_i32_i8 v9, v12, v15
	v_cvt_f32_f16_sdwa v12, v8 dst_sel:DWORD dst_unused:UNUSED_PAD src0_sel:WORD_1
	v_dot4c_i32_i8 v9, v10, v11
	v_mul_f32_e32 v10, 0.5, v12
	v_cvt_f32_i32_e32 v9, v9
	v_fma_mix_f32 v8, v9, v8, v10 op_sel_hi:[0,1,0]
	v_add_f32_e32 v4, v4, v8
	s_andn2_b32 exec_lo, exec_lo, s3
	s_cbranch_execnz .LBB28_9
; %bb.10:
	s_or_b32 exec_lo, exec_lo, s3
.LBB28_11:
	s_or_b32 exec_lo, exec_lo, s7
	s_waitcnt lgkmcnt(0)
	; wave barrier
	buffer_gl0_inv
	s_mov_b32 s0, exec_lo
	v_cmpx_eq_u32_e32 0, v1
	s_cbranch_execz .LBB28_14
; %bb.12:
	v_mbcnt_lo_u32_b32 v1, -1, 0
	v_xor_b32_e32 v2, 16, v1
	v_xor_b32_e32 v3, 8, v1
	v_cmp_gt_i32_e32 vcc_lo, 32, v2
	v_cndmask_b32_e32 v2, v1, v2, vcc_lo
	v_cmp_gt_i32_e32 vcc_lo, 32, v3
	v_lshlrev_b32_e32 v2, 2, v2
	v_cndmask_b32_e32 v3, v1, v3, vcc_lo
	ds_bpermute_b32 v2, v2, v4
	v_lshlrev_b32_e32 v3, 2, v3
	s_waitcnt lgkmcnt(0)
	v_add_f32_e32 v2, v4, v2
	v_xor_b32_e32 v4, 4, v1
	ds_bpermute_b32 v3, v3, v2
	v_cmp_gt_i32_e32 vcc_lo, 32, v4
	v_cndmask_b32_e32 v4, v1, v4, vcc_lo
	v_lshlrev_b32_e32 v4, 2, v4
	s_waitcnt lgkmcnt(0)
	v_add_f32_e32 v2, v2, v3
	ds_bpermute_b32 v3, v4, v2
	v_xor_b32_e32 v4, 2, v1
	v_cmp_gt_i32_e32 vcc_lo, 32, v4
	v_cndmask_b32_e32 v4, v1, v4, vcc_lo
	v_lshlrev_b32_e32 v4, 2, v4
	s_waitcnt lgkmcnt(0)
	v_add_f32_e32 v2, v2, v3
	ds_bpermute_b32 v3, v4, v2
	v_xor_b32_e32 v4, 1, v1
	v_cmp_gt_i32_e32 vcc_lo, 32, v4
	v_cndmask_b32_e32 v1, v1, v4, vcc_lo
	v_cmp_eq_u32_e32 vcc_lo, 0, v0
	v_lshlrev_b32_e32 v4, 2, v1
	s_waitcnt lgkmcnt(0)
	v_add_f32_e32 v1, v2, v3
	ds_bpermute_b32 v2, v4, v1
	s_and_b32 exec_lo, exec_lo, vcc_lo
	s_cbranch_execz .LBB28_14
; %bb.13:
	s_load_dwordx2 s[0:1], s[4:5], 0x38
	s_mul_i32 s2, s2, s10
	s_mul_i32 s3, s14, s8
	s_add_i32 s2, s2, s6
	s_waitcnt lgkmcnt(0)
	v_add_f32_e32 v0, v1, v2
	s_add_i32 s2, s2, s3
	s_mov_b32 s3, 0
	v_mov_b32_e32 v1, 0
	s_lshl_b64 s[2:3], s[2:3], 2
	s_add_u32 s0, s0, s2
	s_addc_u32 s1, s1, s3
	global_store_dword v1, v0, s[0:1]
.LBB28_14:
	s_endpgm
	.section	.rodata,"a",@progbits
	.p2align	6, 0x0
	.amdhsa_kernel _ZL13mul_mat_vec_qIL9ggml_type3ELi1ELb0ELb0EEvPKvS2_PKi31ggml_cuda_mm_fusion_args_devicePfj15HIP_vector_typeIjLj3EEjjjS8_jjjS8_jjjj
		.amdhsa_group_segment_fixed_size 0
		.amdhsa_private_segment_fixed_size 0
		.amdhsa_kernarg_size 144
		.amdhsa_user_sgpr_count 6
		.amdhsa_user_sgpr_private_segment_buffer 1
		.amdhsa_user_sgpr_dispatch_ptr 0
		.amdhsa_user_sgpr_queue_ptr 0
		.amdhsa_user_sgpr_kernarg_segment_ptr 1
		.amdhsa_user_sgpr_dispatch_id 0
		.amdhsa_user_sgpr_flat_scratch_init 0
		.amdhsa_user_sgpr_private_segment_size 0
		.amdhsa_wavefront_size32 1
		.amdhsa_uses_dynamic_stack 0
		.amdhsa_system_sgpr_private_segment_wavefront_offset 0
		.amdhsa_system_sgpr_workgroup_id_x 1
		.amdhsa_system_sgpr_workgroup_id_y 1
		.amdhsa_system_sgpr_workgroup_id_z 1
		.amdhsa_system_sgpr_workgroup_info 0
		.amdhsa_system_vgpr_workitem_id 1
		.amdhsa_next_free_vgpr 18
		.amdhsa_next_free_sgpr 23
		.amdhsa_reserve_vcc 1
		.amdhsa_reserve_flat_scratch 0
		.amdhsa_float_round_mode_32 0
		.amdhsa_float_round_mode_16_64 0
		.amdhsa_float_denorm_mode_32 3
		.amdhsa_float_denorm_mode_16_64 3
		.amdhsa_dx10_clamp 1
		.amdhsa_ieee_mode 1
		.amdhsa_fp16_overflow 0
		.amdhsa_workgroup_processor_mode 1
		.amdhsa_memory_ordered 1
		.amdhsa_forward_progress 1
		.amdhsa_shared_vgpr_count 0
		.amdhsa_exception_fp_ieee_invalid_op 0
		.amdhsa_exception_fp_denorm_src 0
		.amdhsa_exception_fp_ieee_div_zero 0
		.amdhsa_exception_fp_ieee_overflow 0
		.amdhsa_exception_fp_ieee_underflow 0
		.amdhsa_exception_fp_ieee_inexact 0
		.amdhsa_exception_int_div_zero 0
	.end_amdhsa_kernel
	.section	.text._ZL13mul_mat_vec_qIL9ggml_type3ELi1ELb0ELb0EEvPKvS2_PKi31ggml_cuda_mm_fusion_args_devicePfj15HIP_vector_typeIjLj3EEjjjS8_jjjS8_jjjj,"axG",@progbits,_ZL13mul_mat_vec_qIL9ggml_type3ELi1ELb0ELb0EEvPKvS2_PKi31ggml_cuda_mm_fusion_args_devicePfj15HIP_vector_typeIjLj3EEjjjS8_jjjS8_jjjj,comdat
.Lfunc_end28:
	.size	_ZL13mul_mat_vec_qIL9ggml_type3ELi1ELb0ELb0EEvPKvS2_PKi31ggml_cuda_mm_fusion_args_devicePfj15HIP_vector_typeIjLj3EEjjjS8_jjjS8_jjjj, .Lfunc_end28-_ZL13mul_mat_vec_qIL9ggml_type3ELi1ELb0ELb0EEvPKvS2_PKi31ggml_cuda_mm_fusion_args_devicePfj15HIP_vector_typeIjLj3EEjjjS8_jjjS8_jjjj
                                        ; -- End function
	.set _ZL13mul_mat_vec_qIL9ggml_type3ELi1ELb0ELb0EEvPKvS2_PKi31ggml_cuda_mm_fusion_args_devicePfj15HIP_vector_typeIjLj3EEjjjS8_jjjS8_jjjj.num_vgpr, 18
	.set _ZL13mul_mat_vec_qIL9ggml_type3ELi1ELb0ELb0EEvPKvS2_PKi31ggml_cuda_mm_fusion_args_devicePfj15HIP_vector_typeIjLj3EEjjjS8_jjjS8_jjjj.num_agpr, 0
	.set _ZL13mul_mat_vec_qIL9ggml_type3ELi1ELb0ELb0EEvPKvS2_PKi31ggml_cuda_mm_fusion_args_devicePfj15HIP_vector_typeIjLj3EEjjjS8_jjjS8_jjjj.numbered_sgpr, 23
	.set _ZL13mul_mat_vec_qIL9ggml_type3ELi1ELb0ELb0EEvPKvS2_PKi31ggml_cuda_mm_fusion_args_devicePfj15HIP_vector_typeIjLj3EEjjjS8_jjjS8_jjjj.num_named_barrier, 0
	.set _ZL13mul_mat_vec_qIL9ggml_type3ELi1ELb0ELb0EEvPKvS2_PKi31ggml_cuda_mm_fusion_args_devicePfj15HIP_vector_typeIjLj3EEjjjS8_jjjS8_jjjj.private_seg_size, 0
	.set _ZL13mul_mat_vec_qIL9ggml_type3ELi1ELb0ELb0EEvPKvS2_PKi31ggml_cuda_mm_fusion_args_devicePfj15HIP_vector_typeIjLj3EEjjjS8_jjjS8_jjjj.uses_vcc, 1
	.set _ZL13mul_mat_vec_qIL9ggml_type3ELi1ELb0ELb0EEvPKvS2_PKi31ggml_cuda_mm_fusion_args_devicePfj15HIP_vector_typeIjLj3EEjjjS8_jjjS8_jjjj.uses_flat_scratch, 0
	.set _ZL13mul_mat_vec_qIL9ggml_type3ELi1ELb0ELb0EEvPKvS2_PKi31ggml_cuda_mm_fusion_args_devicePfj15HIP_vector_typeIjLj3EEjjjS8_jjjS8_jjjj.has_dyn_sized_stack, 0
	.set _ZL13mul_mat_vec_qIL9ggml_type3ELi1ELb0ELb0EEvPKvS2_PKi31ggml_cuda_mm_fusion_args_devicePfj15HIP_vector_typeIjLj3EEjjjS8_jjjS8_jjjj.has_recursion, 0
	.set _ZL13mul_mat_vec_qIL9ggml_type3ELi1ELb0ELb0EEvPKvS2_PKi31ggml_cuda_mm_fusion_args_devicePfj15HIP_vector_typeIjLj3EEjjjS8_jjjS8_jjjj.has_indirect_call, 0
	.section	.AMDGPU.csdata,"",@progbits
; Kernel info:
; codeLenInByte = 864
; TotalNumSgprs: 25
; NumVgprs: 18
; ScratchSize: 0
; MemoryBound: 0
; FloatMode: 240
; IeeeMode: 1
; LDSByteSize: 0 bytes/workgroup (compile time only)
; SGPRBlocks: 0
; VGPRBlocks: 2
; NumSGPRsForWavesPerEU: 25
; NumVGPRsForWavesPerEU: 18
; Occupancy: 16
; WaveLimiterHint : 0
; COMPUTE_PGM_RSRC2:SCRATCH_EN: 0
; COMPUTE_PGM_RSRC2:USER_SGPR: 6
; COMPUTE_PGM_RSRC2:TRAP_HANDLER: 0
; COMPUTE_PGM_RSRC2:TGID_X_EN: 1
; COMPUTE_PGM_RSRC2:TGID_Y_EN: 1
; COMPUTE_PGM_RSRC2:TGID_Z_EN: 1
; COMPUTE_PGM_RSRC2:TIDIG_COMP_CNT: 1
	.section	.text._ZL13mul_mat_vec_qIL9ggml_type3ELi2ELb0ELb0EEvPKvS2_PKi31ggml_cuda_mm_fusion_args_devicePfj15HIP_vector_typeIjLj3EEjjjS8_jjjS8_jjjj,"axG",@progbits,_ZL13mul_mat_vec_qIL9ggml_type3ELi2ELb0ELb0EEvPKvS2_PKi31ggml_cuda_mm_fusion_args_devicePfj15HIP_vector_typeIjLj3EEjjjS8_jjjS8_jjjj,comdat
	.globl	_ZL13mul_mat_vec_qIL9ggml_type3ELi2ELb0ELb0EEvPKvS2_PKi31ggml_cuda_mm_fusion_args_devicePfj15HIP_vector_typeIjLj3EEjjjS8_jjjS8_jjjj ; -- Begin function _ZL13mul_mat_vec_qIL9ggml_type3ELi2ELb0ELb0EEvPKvS2_PKi31ggml_cuda_mm_fusion_args_devicePfj15HIP_vector_typeIjLj3EEjjjS8_jjjS8_jjjj
	.p2align	8
	.type	_ZL13mul_mat_vec_qIL9ggml_type3ELi2ELb0ELb0EEvPKvS2_PKi31ggml_cuda_mm_fusion_args_devicePfj15HIP_vector_typeIjLj3EEjjjS8_jjjS8_jjjj,@function
_ZL13mul_mat_vec_qIL9ggml_type3ELi2ELb0ELb0EEvPKvS2_PKi31ggml_cuda_mm_fusion_args_devicePfj15HIP_vector_typeIjLj3EEjjjS8_jjjS8_jjjj: ; @_ZL13mul_mat_vec_qIL9ggml_type3ELi2ELb0ELb0EEvPKvS2_PKi31ggml_cuda_mm_fusion_args_devicePfj15HIP_vector_typeIjLj3EEjjjS8_jjjS8_jjjj
; %bb.0:
	s_clause 0x5
	s_load_dwordx4 s[16:19], s[4:5], 0x80
	s_load_dword s9, s[4:5], 0x40
	s_load_dwordx4 s[0:3], s[4:5], 0x50
	s_load_dword s24, s[4:5], 0x60
	;; [unrolled: 2-line block ×3, first 2 shown]
	v_lshl_or_b32 v2, v1, 5, v0
	v_mov_b32_e32 v4, 0
	v_mov_b32_e32 v6, 0
	v_lshrrev_b16 v3, 1, v2
	v_and_b32_e32 v5, 0xffff, v3
	s_waitcnt lgkmcnt(0)
	s_lshr_b32 s19, s9, 5
	s_mov_b32 s9, exec_lo
	v_cmpx_gt_u32_e64 s19, v5
	s_cbranch_execz .LBB29_4
; %bb.1:
	s_load_dwordx4 s[20:23], s[4:5], 0x0
	s_mul_i32 s10, s17, s8
	s_mul_i32 s11, s13, s7
	s_mul_hi_u32 s13, s15, s8
	v_lshlrev_b32_e32 v3, 1, v0
	s_mul_hi_u32 s15, s10, 36
	s_mul_i32 s10, s10, 36
	v_lshrrev_b32_e32 v2, 1, v2
	s_mul_hi_u32 s17, s11, 36
	s_mul_i32 s11, s11, 36
	s_mul_hi_u32 s3, s3, s7
	v_and_b32_e32 v6, 1, v0
	v_and_b32_e32 v8, 2, v3
	s_mul_i32 s0, s0, s6
	v_mov_b32_e32 v4, 0
	v_lshlrev_b32_e32 v7, 3, v6
	v_lshlrev_b32_e32 v8, 2, v8
	v_mov_b32_e32 v6, 0
	s_waitcnt lgkmcnt(0)
	s_add_u32 s10, s22, s10
	s_addc_u32 s15, s23, s15
	s_add_u32 s10, s10, s11
	s_addc_u32 s11, s15, s17
	s_add_i32 s3, s7, s3
	s_add_i32 s13, s8, s13
	s_lshr_b32 s3, s3, s24
	v_mad_u64_u32 v[2:3], null, v2, 36, s[10:11]
	s_lshr_b32 s13, s13, s25
	s_mul_i32 s3, s3, s12
	s_mul_i32 s12, s13, s16
	s_add_i32 s3, s3, s0
	s_add_i32 s12, s12, s3
	s_mov_b32 s3, 0
.LBB29_2:                               ; =>This Inner Loop Header: Depth=1
	v_add_nc_u32_e32 v11, s12, v5
	v_add_nc_u32_e32 v13, s1, v5
	v_add_co_u32 v9, vcc_lo, v2, v7
	v_add_co_ci_u32_e64 v10, null, 0, v3, vcc_lo
	v_mad_i64_i32 v[11:12], null, v11, 20, s[20:21]
	v_mad_u64_u32 v[13:14], null, v13, 36, s[10:11]
	v_add_nc_u32_e32 v5, 16, v5
	v_add_co_u32 v15, vcc_lo, v11, v8
	v_add_co_ci_u32_e64 v16, null, 0, v12, vcc_lo
	v_add_co_u32 v17, vcc_lo, v13, v8
	v_add_co_ci_u32_e64 v18, null, 0, v14, vcc_lo
	global_load_dwordx2 v[15:16], v[15:16], off offset:4
	global_load_dwordx2 v[19:20], v[9:10], off offset:4
	;; [unrolled: 1-line block ×3, first 2 shown]
	s_clause 0x1
	global_load_dword v23, v[2:3], off
	global_load_dwordx2 v[9:10], v[9:10], off offset:20
	global_load_dwordx2 v[17:18], v[17:18], off offset:20
	global_load_dword v11, v[11:12], off
	global_load_dword v12, v[13:14], off
	v_mov_b32_e32 v13, 0
	v_mov_b32_e32 v14, 0
	v_add_co_u32 v2, vcc_lo, 0x240, v2
	v_cmp_le_u32_e64 s0, s19, v5
	v_add_co_ci_u32_e64 v3, null, 0, v3, vcc_lo
	s_or_b32 s3, s0, s3
	s_waitcnt vmcnt(7)
	v_lshrrev_b32_e32 v24, 4, v15
	v_and_b32_e32 v15, 0xf0f0f0f, v15
	v_and_b32_e32 v24, 0xf0f0f0f, v24
	s_waitcnt vmcnt(6)
	v_dot4c_i32_i8 v13, v15, v19
	s_waitcnt vmcnt(5)
	v_dot4c_i32_i8 v14, v15, v21
	v_and_b32_e32 v15, 0xf0f0f0f, v16
	v_lshrrev_b32_e32 v16, 4, v16
	s_waitcnt vmcnt(3)
	v_dot4c_i32_i8 v13, v24, v9
	s_waitcnt vmcnt(2)
	v_dot4c_i32_i8 v14, v24, v17
	s_waitcnt vmcnt(1)
	v_pk_mul_f16 v9, v11, v23
	s_waitcnt vmcnt(0)
	v_pk_mul_f16 v11, v11, v12
	v_and_b32_e32 v12, 0xf0f0f0f, v16
	v_dot4c_i32_i8 v13, v15, v20
	v_dot4c_i32_i8 v14, v15, v22
	v_cvt_f32_f16_sdwa v15, v9 dst_sel:DWORD dst_unused:UNUSED_PAD src0_sel:WORD_1
	v_cvt_f32_f16_sdwa v16, v11 dst_sel:DWORD dst_unused:UNUSED_PAD src0_sel:WORD_1
	v_dot4c_i32_i8 v13, v12, v10
	v_dot4c_i32_i8 v14, v12, v18
	v_mul_f32_e32 v10, 0.5, v15
	v_mul_f32_e32 v12, 0.5, v16
	v_cvt_f32_i32_e32 v13, v13
	v_cvt_f32_i32_e32 v14, v14
	v_fma_mix_f32 v9, v13, v9, v10 op_sel_hi:[0,1,0]
	v_fma_mix_f32 v10, v14, v11, v12 op_sel_hi:[0,1,0]
	v_add_f32_e32 v6, v6, v9
	v_add_f32_e32 v4, v4, v10
	s_andn2_b32 exec_lo, exec_lo, s3
	s_cbranch_execnz .LBB29_2
; %bb.3:
	s_or_b32 exec_lo, exec_lo, s3
.LBB29_4:
	s_or_b32 exec_lo, exec_lo, s9
	s_mov_b32 s1, 0
	; wave barrier
	buffer_gl0_inv
	s_mov_b32 s0, exec_lo
	v_cmpx_eq_u32_e32 0, v1
	s_cbranch_execz .LBB29_9
; %bb.5:
	v_mbcnt_lo_u32_b32 v7, -1, 0
	s_load_dwordx2 s[4:5], s[4:5], 0x38
	s_mul_i32 s0, s14, s7
	s_mul_i32 s3, s18, s8
	s_add_i32 s0, s0, s6
	v_xor_b32_e32 v1, 16, v7
	v_xor_b32_e32 v2, 8, v7
	s_add_i32 s0, s0, s3
	s_lshl_b64 s[0:1], s[0:1], 2
	v_cmp_gt_i32_e32 vcc_lo, 32, v1
	v_cndmask_b32_e32 v1, v7, v1, vcc_lo
	v_cmp_gt_i32_e32 vcc_lo, 32, v2
	v_lshlrev_b32_e32 v1, 2, v1
	v_cndmask_b32_e32 v2, v7, v2, vcc_lo
	s_waitcnt lgkmcnt(0)
	s_add_u32 s0, s4, s0
	s_addc_u32 s1, s5, s1
	ds_bpermute_b32 v3, v1, v6
	v_lshlrev_b32_e32 v2, 2, v2
	s_waitcnt lgkmcnt(0)
	v_add_f32_e32 v5, v6, v3
	v_xor_b32_e32 v3, 4, v7
	ds_bpermute_b32 v6, v2, v5
	v_cmp_gt_i32_e32 vcc_lo, 32, v3
	v_cndmask_b32_e32 v3, v7, v3, vcc_lo
	v_lshlrev_b32_e32 v3, 2, v3
	s_waitcnt lgkmcnt(0)
	v_add_f32_e32 v6, v5, v6
	v_xor_b32_e32 v5, 2, v7
	ds_bpermute_b32 v8, v3, v6
	v_cmp_gt_i32_e32 vcc_lo, 32, v5
	v_cndmask_b32_e32 v5, v7, v5, vcc_lo
	;; [unrolled: 7-line block ×3, first 2 shown]
	v_cmp_eq_u32_e32 vcc_lo, 0, v0
	v_lshlrev_b32_e32 v6, 2, v6
	s_waitcnt lgkmcnt(0)
	v_add_f32_e32 v7, v8, v9
	ds_bpermute_b32 v8, v6, v7
	s_and_saveexec_b32 s3, vcc_lo
	s_cbranch_execz .LBB29_7
; %bb.6:
	s_waitcnt lgkmcnt(0)
	v_add_f32_e32 v0, v7, v8
	v_mov_b32_e32 v7, 0
	global_store_dword v7, v0, s[0:1]
.LBB29_7:
	s_or_b32 exec_lo, exec_lo, s3
	ds_bpermute_b32 v0, v1, v4
	s_waitcnt lgkmcnt(0)
	v_add_f32_e32 v0, v4, v0
	ds_bpermute_b32 v1, v2, v0
	s_waitcnt lgkmcnt(0)
	v_add_f32_e32 v0, v0, v1
	;; [unrolled: 3-line block ×4, first 2 shown]
	ds_bpermute_b32 v1, v6, v0
	s_and_b32 exec_lo, exec_lo, vcc_lo
	s_cbranch_execz .LBB29_9
; %bb.8:
	s_mov_b32 s3, 0
	s_waitcnt lgkmcnt(0)
	v_add_f32_e32 v0, v0, v1
	s_lshl_b64 s[2:3], s[2:3], 2
	v_mov_b32_e32 v1, 0
	s_add_u32 s0, s0, s2
	s_addc_u32 s1, s1, s3
	global_store_dword v1, v0, s[0:1]
.LBB29_9:
	s_endpgm
	.section	.rodata,"a",@progbits
	.p2align	6, 0x0
	.amdhsa_kernel _ZL13mul_mat_vec_qIL9ggml_type3ELi2ELb0ELb0EEvPKvS2_PKi31ggml_cuda_mm_fusion_args_devicePfj15HIP_vector_typeIjLj3EEjjjS8_jjjS8_jjjj
		.amdhsa_group_segment_fixed_size 0
		.amdhsa_private_segment_fixed_size 0
		.amdhsa_kernarg_size 144
		.amdhsa_user_sgpr_count 6
		.amdhsa_user_sgpr_private_segment_buffer 1
		.amdhsa_user_sgpr_dispatch_ptr 0
		.amdhsa_user_sgpr_queue_ptr 0
		.amdhsa_user_sgpr_kernarg_segment_ptr 1
		.amdhsa_user_sgpr_dispatch_id 0
		.amdhsa_user_sgpr_flat_scratch_init 0
		.amdhsa_user_sgpr_private_segment_size 0
		.amdhsa_wavefront_size32 1
		.amdhsa_uses_dynamic_stack 0
		.amdhsa_system_sgpr_private_segment_wavefront_offset 0
		.amdhsa_system_sgpr_workgroup_id_x 1
		.amdhsa_system_sgpr_workgroup_id_y 1
		.amdhsa_system_sgpr_workgroup_id_z 1
		.amdhsa_system_sgpr_workgroup_info 0
		.amdhsa_system_vgpr_workitem_id 1
		.amdhsa_next_free_vgpr 25
		.amdhsa_next_free_sgpr 26
		.amdhsa_reserve_vcc 1
		.amdhsa_reserve_flat_scratch 0
		.amdhsa_float_round_mode_32 0
		.amdhsa_float_round_mode_16_64 0
		.amdhsa_float_denorm_mode_32 3
		.amdhsa_float_denorm_mode_16_64 3
		.amdhsa_dx10_clamp 1
		.amdhsa_ieee_mode 1
		.amdhsa_fp16_overflow 0
		.amdhsa_workgroup_processor_mode 1
		.amdhsa_memory_ordered 1
		.amdhsa_forward_progress 1
		.amdhsa_shared_vgpr_count 0
		.amdhsa_exception_fp_ieee_invalid_op 0
		.amdhsa_exception_fp_denorm_src 0
		.amdhsa_exception_fp_ieee_div_zero 0
		.amdhsa_exception_fp_ieee_overflow 0
		.amdhsa_exception_fp_ieee_underflow 0
		.amdhsa_exception_fp_ieee_inexact 0
		.amdhsa_exception_int_div_zero 0
	.end_amdhsa_kernel
	.section	.text._ZL13mul_mat_vec_qIL9ggml_type3ELi2ELb0ELb0EEvPKvS2_PKi31ggml_cuda_mm_fusion_args_devicePfj15HIP_vector_typeIjLj3EEjjjS8_jjjS8_jjjj,"axG",@progbits,_ZL13mul_mat_vec_qIL9ggml_type3ELi2ELb0ELb0EEvPKvS2_PKi31ggml_cuda_mm_fusion_args_devicePfj15HIP_vector_typeIjLj3EEjjjS8_jjjS8_jjjj,comdat
.Lfunc_end29:
	.size	_ZL13mul_mat_vec_qIL9ggml_type3ELi2ELb0ELb0EEvPKvS2_PKi31ggml_cuda_mm_fusion_args_devicePfj15HIP_vector_typeIjLj3EEjjjS8_jjjS8_jjjj, .Lfunc_end29-_ZL13mul_mat_vec_qIL9ggml_type3ELi2ELb0ELb0EEvPKvS2_PKi31ggml_cuda_mm_fusion_args_devicePfj15HIP_vector_typeIjLj3EEjjjS8_jjjS8_jjjj
                                        ; -- End function
	.set _ZL13mul_mat_vec_qIL9ggml_type3ELi2ELb0ELb0EEvPKvS2_PKi31ggml_cuda_mm_fusion_args_devicePfj15HIP_vector_typeIjLj3EEjjjS8_jjjS8_jjjj.num_vgpr, 25
	.set _ZL13mul_mat_vec_qIL9ggml_type3ELi2ELb0ELb0EEvPKvS2_PKi31ggml_cuda_mm_fusion_args_devicePfj15HIP_vector_typeIjLj3EEjjjS8_jjjS8_jjjj.num_agpr, 0
	.set _ZL13mul_mat_vec_qIL9ggml_type3ELi2ELb0ELb0EEvPKvS2_PKi31ggml_cuda_mm_fusion_args_devicePfj15HIP_vector_typeIjLj3EEjjjS8_jjjS8_jjjj.numbered_sgpr, 26
	.set _ZL13mul_mat_vec_qIL9ggml_type3ELi2ELb0ELb0EEvPKvS2_PKi31ggml_cuda_mm_fusion_args_devicePfj15HIP_vector_typeIjLj3EEjjjS8_jjjS8_jjjj.num_named_barrier, 0
	.set _ZL13mul_mat_vec_qIL9ggml_type3ELi2ELb0ELb0EEvPKvS2_PKi31ggml_cuda_mm_fusion_args_devicePfj15HIP_vector_typeIjLj3EEjjjS8_jjjS8_jjjj.private_seg_size, 0
	.set _ZL13mul_mat_vec_qIL9ggml_type3ELi2ELb0ELb0EEvPKvS2_PKi31ggml_cuda_mm_fusion_args_devicePfj15HIP_vector_typeIjLj3EEjjjS8_jjjS8_jjjj.uses_vcc, 1
	.set _ZL13mul_mat_vec_qIL9ggml_type3ELi2ELb0ELb0EEvPKvS2_PKi31ggml_cuda_mm_fusion_args_devicePfj15HIP_vector_typeIjLj3EEjjjS8_jjjS8_jjjj.uses_flat_scratch, 0
	.set _ZL13mul_mat_vec_qIL9ggml_type3ELi2ELb0ELb0EEvPKvS2_PKi31ggml_cuda_mm_fusion_args_devicePfj15HIP_vector_typeIjLj3EEjjjS8_jjjS8_jjjj.has_dyn_sized_stack, 0
	.set _ZL13mul_mat_vec_qIL9ggml_type3ELi2ELb0ELb0EEvPKvS2_PKi31ggml_cuda_mm_fusion_args_devicePfj15HIP_vector_typeIjLj3EEjjjS8_jjjS8_jjjj.has_recursion, 0
	.set _ZL13mul_mat_vec_qIL9ggml_type3ELi2ELb0ELb0EEvPKvS2_PKi31ggml_cuda_mm_fusion_args_devicePfj15HIP_vector_typeIjLj3EEjjjS8_jjjS8_jjjj.has_indirect_call, 0
	.section	.AMDGPU.csdata,"",@progbits
; Kernel info:
; codeLenInByte = 1000
; TotalNumSgprs: 28
; NumVgprs: 25
; ScratchSize: 0
; MemoryBound: 0
; FloatMode: 240
; IeeeMode: 1
; LDSByteSize: 0 bytes/workgroup (compile time only)
; SGPRBlocks: 0
; VGPRBlocks: 3
; NumSGPRsForWavesPerEU: 28
; NumVGPRsForWavesPerEU: 25
; Occupancy: 16
; WaveLimiterHint : 0
; COMPUTE_PGM_RSRC2:SCRATCH_EN: 0
; COMPUTE_PGM_RSRC2:USER_SGPR: 6
; COMPUTE_PGM_RSRC2:TRAP_HANDLER: 0
; COMPUTE_PGM_RSRC2:TGID_X_EN: 1
; COMPUTE_PGM_RSRC2:TGID_Y_EN: 1
; COMPUTE_PGM_RSRC2:TGID_Z_EN: 1
; COMPUTE_PGM_RSRC2:TIDIG_COMP_CNT: 1
	.section	.text._ZL13mul_mat_vec_qIL9ggml_type3ELi3ELb0ELb0EEvPKvS2_PKi31ggml_cuda_mm_fusion_args_devicePfj15HIP_vector_typeIjLj3EEjjjS8_jjjS8_jjjj,"axG",@progbits,_ZL13mul_mat_vec_qIL9ggml_type3ELi3ELb0ELb0EEvPKvS2_PKi31ggml_cuda_mm_fusion_args_devicePfj15HIP_vector_typeIjLj3EEjjjS8_jjjS8_jjjj,comdat
	.globl	_ZL13mul_mat_vec_qIL9ggml_type3ELi3ELb0ELb0EEvPKvS2_PKi31ggml_cuda_mm_fusion_args_devicePfj15HIP_vector_typeIjLj3EEjjjS8_jjjS8_jjjj ; -- Begin function _ZL13mul_mat_vec_qIL9ggml_type3ELi3ELb0ELb0EEvPKvS2_PKi31ggml_cuda_mm_fusion_args_devicePfj15HIP_vector_typeIjLj3EEjjjS8_jjjS8_jjjj
	.p2align	8
	.type	_ZL13mul_mat_vec_qIL9ggml_type3ELi3ELb0ELb0EEvPKvS2_PKi31ggml_cuda_mm_fusion_args_devicePfj15HIP_vector_typeIjLj3EEjjjS8_jjjS8_jjjj,@function
_ZL13mul_mat_vec_qIL9ggml_type3ELi3ELb0ELb0EEvPKvS2_PKi31ggml_cuda_mm_fusion_args_devicePfj15HIP_vector_typeIjLj3EEjjjS8_jjjS8_jjjj: ; @_ZL13mul_mat_vec_qIL9ggml_type3ELi3ELb0ELb0EEvPKvS2_PKi31ggml_cuda_mm_fusion_args_devicePfj15HIP_vector_typeIjLj3EEjjjS8_jjjS8_jjjj
; %bb.0:
	s_clause 0x5
	s_load_dwordx4 s[16:19], s[4:5], 0x80
	s_load_dword s9, s[4:5], 0x40
	s_load_dwordx4 s[0:3], s[4:5], 0x50
	s_load_dword s24, s[4:5], 0x60
	;; [unrolled: 2-line block ×3, first 2 shown]
	v_lshl_or_b32 v2, v1, 5, v0
	v_mov_b32_e32 v4, 0
	v_mov_b32_e32 v5, 0
	;; [unrolled: 1-line block ×3, first 2 shown]
	v_lshrrev_b16 v3, 1, v2
	v_and_b32_e32 v6, 0xffff, v3
	s_waitcnt lgkmcnt(0)
	s_lshr_b32 s19, s9, 5
	s_mov_b32 s9, exec_lo
	v_cmpx_gt_u32_e64 s19, v6
	s_cbranch_execz .LBB30_4
; %bb.1:
	s_load_dwordx4 s[20:23], s[4:5], 0x0
	v_lshlrev_b32_e32 v3, 1, v0
	s_mul_i32 s10, s17, s8
	s_mul_i32 s11, s13, s7
	s_mul_hi_u32 s13, s15, s8
	s_mul_hi_u32 s15, s10, 36
	s_mul_i32 s10, s10, 36
	v_lshrrev_b32_e32 v2, 1, v2
	v_and_b32_e32 v3, 2, v3
	s_mul_hi_u32 s17, s11, 36
	s_mul_i32 s11, s11, 36
	s_mul_hi_u32 s3, s3, s7
	v_and_b32_e32 v5, 1, v0
	v_lshlrev_b32_e32 v9, 2, v3
	s_mul_i32 s0, s0, s6
	v_mov_b32_e32 v4, 0
	v_mov_b32_e32 v7, 0
	v_lshlrev_b32_e32 v8, 3, v5
	v_mov_b32_e32 v5, 0
	s_waitcnt lgkmcnt(0)
	s_add_u32 s10, s22, s10
	s_addc_u32 s15, s23, s15
	s_add_u32 s10, s10, s11
	s_addc_u32 s11, s15, s17
	s_add_i32 s3, s7, s3
	s_add_i32 s13, s8, s13
	s_lshr_b32 s3, s3, s24
	v_mad_u64_u32 v[2:3], null, v2, 36, s[10:11]
	s_lshr_b32 s13, s13, s25
	s_mul_i32 s3, s3, s12
	s_mul_i32 s12, s13, s16
	s_add_i32 s3, s3, s0
	s_add_i32 s0, s12, s3
	s_lshl_b32 s12, s1, 1
	s_mov_b32 s3, 0
.LBB30_2:                               ; =>This Inner Loop Header: Depth=1
	v_add_nc_u32_e32 v12, s0, v6
	v_add_nc_u32_e32 v16, s12, v6
	;; [unrolled: 1-line block ×3, first 2 shown]
	v_add_co_u32 v10, vcc_lo, v2, v8
	v_mad_i64_i32 v[12:13], null, v12, 20, s[20:21]
	v_mad_u64_u32 v[16:17], null, v16, 36, s[10:11]
	v_mad_u64_u32 v[18:19], null, v18, 36, s[10:11]
	v_add_co_ci_u32_e64 v11, null, 0, v3, vcc_lo
	v_add_co_u32 v20, vcc_lo, v12, v9
	v_add_co_ci_u32_e64 v21, null, 0, v13, vcc_lo
	v_add_co_u32 v22, vcc_lo, v16, v9
	v_add_co_ci_u32_e64 v23, null, 0, v17, vcc_lo
	v_add_co_u32 v24, vcc_lo, v18, v9
	s_clause 0x2
	global_load_dword v28, v[2:3], off
	global_load_dwordx2 v[14:15], v[10:11], off offset:4
	global_load_dwordx2 v[10:11], v[10:11], off offset:20
	v_add_co_ci_u32_e64 v25, null, 0, v19, vcc_lo
	s_clause 0x1
	global_load_dwordx2 v[20:21], v[20:21], off offset:4
	global_load_dword v29, v[12:13], off
	s_clause 0x5
	global_load_dwordx2 v[12:13], v[22:23], off offset:4
	global_load_dwordx2 v[22:23], v[22:23], off offset:20
	;; [unrolled: 1-line block ×4, first 2 shown]
	global_load_dword v16, v[16:17], off
	global_load_dword v17, v[18:19], off
	v_mov_b32_e32 v18, 0
	v_mov_b32_e32 v19, 0
	;; [unrolled: 1-line block ×3, first 2 shown]
	v_add_nc_u32_e32 v6, 16, v6
	v_add_co_u32 v2, vcc_lo, 0x240, v2
	v_add_co_ci_u32_e64 v3, null, 0, v3, vcc_lo
	v_cmp_le_u32_e32 vcc_lo, s19, v6
	s_or_b32 s3, vcc_lo, s3
	s_waitcnt vmcnt(7)
	v_and_b32_e32 v31, 0xf0f0f0f, v20
	v_lshrrev_b32_e32 v20, 4, v20
	v_and_b32_e32 v32, 0xf0f0f0f, v21
	v_lshrrev_b32_e32 v21, 4, v21
	s_waitcnt vmcnt(6)
	v_pk_mul_f16 v28, v29, v28
	v_dot4c_i32_i8 v18, v31, v14
	v_and_b32_e32 v20, 0xf0f0f0f, v20
	s_waitcnt vmcnt(3)
	v_dot4c_i32_i8 v19, v31, v26
	v_dot4c_i32_i8 v30, v31, v12
	s_waitcnt vmcnt(0)
	v_pk_mul_f16 v17, v29, v17
	v_pk_mul_f16 v16, v29, v16
	v_dot4c_i32_i8 v18, v20, v10
	v_dot4c_i32_i8 v19, v20, v24
	;; [unrolled: 1-line block ×3, first 2 shown]
	v_and_b32_e32 v21, 0xf0f0f0f, v21
	v_cvt_f32_f16_sdwa v14, v28 dst_sel:DWORD dst_unused:UNUSED_PAD src0_sel:WORD_1
	v_dot4c_i32_i8 v18, v32, v15
	v_dot4c_i32_i8 v19, v32, v27
	;; [unrolled: 1-line block ×3, first 2 shown]
	v_cvt_f32_f16_sdwa v12, v17 dst_sel:DWORD dst_unused:UNUSED_PAD src0_sel:WORD_1
	v_cvt_f32_f16_sdwa v26, v16 dst_sel:DWORD dst_unused:UNUSED_PAD src0_sel:WORD_1
	v_dot4c_i32_i8 v18, v21, v11
	v_dot4c_i32_i8 v19, v21, v25
	;; [unrolled: 1-line block ×3, first 2 shown]
	v_mul_f32_e32 v10, 0.5, v14
	v_mul_f32_e32 v12, 0.5, v12
	;; [unrolled: 1-line block ×3, first 2 shown]
	v_cvt_f32_i32_e32 v13, v18
	v_cvt_f32_i32_e32 v14, v19
	;; [unrolled: 1-line block ×3, first 2 shown]
	v_fma_mix_f32 v10, v13, v28, v10 op_sel_hi:[0,1,0]
	v_fma_mix_f32 v12, v14, v17, v12 op_sel_hi:[0,1,0]
	;; [unrolled: 1-line block ×3, first 2 shown]
	v_add_f32_e32 v7, v7, v10
	v_add_f32_e32 v5, v5, v12
	;; [unrolled: 1-line block ×3, first 2 shown]
	s_andn2_b32 exec_lo, exec_lo, s3
	s_cbranch_execnz .LBB30_2
; %bb.3:
	s_or_b32 exec_lo, exec_lo, s3
.LBB30_4:
	s_or_b32 exec_lo, exec_lo, s9
	s_mov_b32 s1, 0
	; wave barrier
	buffer_gl0_inv
	s_mov_b32 s0, exec_lo
	v_cmpx_eq_u32_e32 0, v1
	s_cbranch_execz .LBB30_11
; %bb.5:
	v_mbcnt_lo_u32_b32 v8, -1, 0
	s_load_dwordx2 s[4:5], s[4:5], 0x38
	s_mul_i32 s0, s14, s7
	s_mul_i32 s3, s18, s8
	s_add_i32 s0, s0, s6
	v_xor_b32_e32 v1, 16, v8
	v_xor_b32_e32 v2, 8, v8
	s_add_i32 s0, s0, s3
	s_lshl_b64 s[0:1], s[0:1], 2
	v_cmp_gt_i32_e32 vcc_lo, 32, v1
	v_cndmask_b32_e32 v1, v8, v1, vcc_lo
	v_cmp_gt_i32_e32 vcc_lo, 32, v2
	v_lshlrev_b32_e32 v1, 2, v1
	v_cndmask_b32_e32 v2, v8, v2, vcc_lo
	s_waitcnt lgkmcnt(0)
	s_add_u32 s0, s4, s0
	s_addc_u32 s1, s5, s1
	ds_bpermute_b32 v3, v1, v7
	v_lshlrev_b32_e32 v2, 2, v2
	s_waitcnt lgkmcnt(0)
	v_add_f32_e32 v6, v7, v3
	v_xor_b32_e32 v3, 4, v8
	ds_bpermute_b32 v7, v2, v6
	v_cmp_gt_i32_e32 vcc_lo, 32, v3
	v_cndmask_b32_e32 v3, v8, v3, vcc_lo
	v_lshlrev_b32_e32 v3, 2, v3
	s_waitcnt lgkmcnt(0)
	v_add_f32_e32 v7, v6, v7
	v_xor_b32_e32 v6, 2, v8
	ds_bpermute_b32 v9, v3, v7
	v_cmp_gt_i32_e32 vcc_lo, 32, v6
	v_cndmask_b32_e32 v6, v8, v6, vcc_lo
	;; [unrolled: 7-line block ×3, first 2 shown]
	v_cmp_eq_u32_e32 vcc_lo, 0, v0
	v_lshlrev_b32_e32 v7, 2, v7
	s_waitcnt lgkmcnt(0)
	v_add_f32_e32 v8, v9, v10
	ds_bpermute_b32 v9, v7, v8
	s_and_saveexec_b32 s3, vcc_lo
	s_cbranch_execz .LBB30_7
; %bb.6:
	s_waitcnt lgkmcnt(0)
	v_add_f32_e32 v0, v8, v9
	v_mov_b32_e32 v8, 0
	global_store_dword v8, v0, s[0:1]
.LBB30_7:
	s_or_b32 exec_lo, exec_lo, s3
	ds_bpermute_b32 v0, v1, v5
	s_waitcnt lgkmcnt(0)
	v_add_f32_e32 v0, v5, v0
	ds_bpermute_b32 v5, v2, v0
	s_waitcnt lgkmcnt(0)
	v_add_f32_e32 v0, v0, v5
	;; [unrolled: 3-line block ×4, first 2 shown]
	ds_bpermute_b32 v5, v7, v0
	s_and_saveexec_b32 s4, vcc_lo
	s_cbranch_execz .LBB30_9
; %bb.8:
	s_mov_b32 s3, 0
	s_waitcnt lgkmcnt(0)
	v_add_f32_e32 v0, v0, v5
	s_lshl_b64 s[6:7], s[2:3], 2
	v_mov_b32_e32 v5, 0
	s_add_u32 s6, s0, s6
	s_addc_u32 s7, s1, s7
	global_store_dword v5, v0, s[6:7]
.LBB30_9:
	s_or_b32 exec_lo, exec_lo, s4
	ds_bpermute_b32 v0, v1, v4
	s_waitcnt lgkmcnt(0)
	v_add_f32_e32 v0, v4, v0
	ds_bpermute_b32 v1, v2, v0
	s_waitcnt lgkmcnt(0)
	v_add_f32_e32 v0, v0, v1
	;; [unrolled: 3-line block ×4, first 2 shown]
	ds_bpermute_b32 v1, v7, v0
	s_and_b32 exec_lo, exec_lo, vcc_lo
	s_cbranch_execz .LBB30_11
; %bb.10:
	s_lshl_b32 s2, s2, 1
	s_mov_b32 s3, 0
	s_waitcnt lgkmcnt(0)
	v_add_f32_e32 v0, v0, v1
	s_lshl_b64 s[2:3], s[2:3], 2
	v_mov_b32_e32 v1, 0
	s_add_u32 s0, s0, s2
	s_addc_u32 s1, s1, s3
	global_store_dword v1, v0, s[0:1]
.LBB30_11:
	s_endpgm
	.section	.rodata,"a",@progbits
	.p2align	6, 0x0
	.amdhsa_kernel _ZL13mul_mat_vec_qIL9ggml_type3ELi3ELb0ELb0EEvPKvS2_PKi31ggml_cuda_mm_fusion_args_devicePfj15HIP_vector_typeIjLj3EEjjjS8_jjjS8_jjjj
		.amdhsa_group_segment_fixed_size 0
		.amdhsa_private_segment_fixed_size 0
		.amdhsa_kernarg_size 144
		.amdhsa_user_sgpr_count 6
		.amdhsa_user_sgpr_private_segment_buffer 1
		.amdhsa_user_sgpr_dispatch_ptr 0
		.amdhsa_user_sgpr_queue_ptr 0
		.amdhsa_user_sgpr_kernarg_segment_ptr 1
		.amdhsa_user_sgpr_dispatch_id 0
		.amdhsa_user_sgpr_flat_scratch_init 0
		.amdhsa_user_sgpr_private_segment_size 0
		.amdhsa_wavefront_size32 1
		.amdhsa_uses_dynamic_stack 0
		.amdhsa_system_sgpr_private_segment_wavefront_offset 0
		.amdhsa_system_sgpr_workgroup_id_x 1
		.amdhsa_system_sgpr_workgroup_id_y 1
		.amdhsa_system_sgpr_workgroup_id_z 1
		.amdhsa_system_sgpr_workgroup_info 0
		.amdhsa_system_vgpr_workitem_id 1
		.amdhsa_next_free_vgpr 33
		.amdhsa_next_free_sgpr 26
		.amdhsa_reserve_vcc 1
		.amdhsa_reserve_flat_scratch 0
		.amdhsa_float_round_mode_32 0
		.amdhsa_float_round_mode_16_64 0
		.amdhsa_float_denorm_mode_32 3
		.amdhsa_float_denorm_mode_16_64 3
		.amdhsa_dx10_clamp 1
		.amdhsa_ieee_mode 1
		.amdhsa_fp16_overflow 0
		.amdhsa_workgroup_processor_mode 1
		.amdhsa_memory_ordered 1
		.amdhsa_forward_progress 1
		.amdhsa_shared_vgpr_count 0
		.amdhsa_exception_fp_ieee_invalid_op 0
		.amdhsa_exception_fp_denorm_src 0
		.amdhsa_exception_fp_ieee_div_zero 0
		.amdhsa_exception_fp_ieee_overflow 0
		.amdhsa_exception_fp_ieee_underflow 0
		.amdhsa_exception_fp_ieee_inexact 0
		.amdhsa_exception_int_div_zero 0
	.end_amdhsa_kernel
	.section	.text._ZL13mul_mat_vec_qIL9ggml_type3ELi3ELb0ELb0EEvPKvS2_PKi31ggml_cuda_mm_fusion_args_devicePfj15HIP_vector_typeIjLj3EEjjjS8_jjjS8_jjjj,"axG",@progbits,_ZL13mul_mat_vec_qIL9ggml_type3ELi3ELb0ELb0EEvPKvS2_PKi31ggml_cuda_mm_fusion_args_devicePfj15HIP_vector_typeIjLj3EEjjjS8_jjjS8_jjjj,comdat
.Lfunc_end30:
	.size	_ZL13mul_mat_vec_qIL9ggml_type3ELi3ELb0ELb0EEvPKvS2_PKi31ggml_cuda_mm_fusion_args_devicePfj15HIP_vector_typeIjLj3EEjjjS8_jjjS8_jjjj, .Lfunc_end30-_ZL13mul_mat_vec_qIL9ggml_type3ELi3ELb0ELb0EEvPKvS2_PKi31ggml_cuda_mm_fusion_args_devicePfj15HIP_vector_typeIjLj3EEjjjS8_jjjS8_jjjj
                                        ; -- End function
	.set _ZL13mul_mat_vec_qIL9ggml_type3ELi3ELb0ELb0EEvPKvS2_PKi31ggml_cuda_mm_fusion_args_devicePfj15HIP_vector_typeIjLj3EEjjjS8_jjjS8_jjjj.num_vgpr, 33
	.set _ZL13mul_mat_vec_qIL9ggml_type3ELi3ELb0ELb0EEvPKvS2_PKi31ggml_cuda_mm_fusion_args_devicePfj15HIP_vector_typeIjLj3EEjjjS8_jjjS8_jjjj.num_agpr, 0
	.set _ZL13mul_mat_vec_qIL9ggml_type3ELi3ELb0ELb0EEvPKvS2_PKi31ggml_cuda_mm_fusion_args_devicePfj15HIP_vector_typeIjLj3EEjjjS8_jjjS8_jjjj.numbered_sgpr, 26
	.set _ZL13mul_mat_vec_qIL9ggml_type3ELi3ELb0ELb0EEvPKvS2_PKi31ggml_cuda_mm_fusion_args_devicePfj15HIP_vector_typeIjLj3EEjjjS8_jjjS8_jjjj.num_named_barrier, 0
	.set _ZL13mul_mat_vec_qIL9ggml_type3ELi3ELb0ELb0EEvPKvS2_PKi31ggml_cuda_mm_fusion_args_devicePfj15HIP_vector_typeIjLj3EEjjjS8_jjjS8_jjjj.private_seg_size, 0
	.set _ZL13mul_mat_vec_qIL9ggml_type3ELi3ELb0ELb0EEvPKvS2_PKi31ggml_cuda_mm_fusion_args_devicePfj15HIP_vector_typeIjLj3EEjjjS8_jjjS8_jjjj.uses_vcc, 1
	.set _ZL13mul_mat_vec_qIL9ggml_type3ELi3ELb0ELb0EEvPKvS2_PKi31ggml_cuda_mm_fusion_args_devicePfj15HIP_vector_typeIjLj3EEjjjS8_jjjS8_jjjj.uses_flat_scratch, 0
	.set _ZL13mul_mat_vec_qIL9ggml_type3ELi3ELb0ELb0EEvPKvS2_PKi31ggml_cuda_mm_fusion_args_devicePfj15HIP_vector_typeIjLj3EEjjjS8_jjjS8_jjjj.has_dyn_sized_stack, 0
	.set _ZL13mul_mat_vec_qIL9ggml_type3ELi3ELb0ELb0EEvPKvS2_PKi31ggml_cuda_mm_fusion_args_devicePfj15HIP_vector_typeIjLj3EEjjjS8_jjjS8_jjjj.has_recursion, 0
	.set _ZL13mul_mat_vec_qIL9ggml_type3ELi3ELb0ELb0EEvPKvS2_PKi31ggml_cuda_mm_fusion_args_devicePfj15HIP_vector_typeIjLj3EEjjjS8_jjjS8_jjjj.has_indirect_call, 0
	.section	.AMDGPU.csdata,"",@progbits
; Kernel info:
; codeLenInByte = 1236
; TotalNumSgprs: 28
; NumVgprs: 33
; ScratchSize: 0
; MemoryBound: 0
; FloatMode: 240
; IeeeMode: 1
; LDSByteSize: 0 bytes/workgroup (compile time only)
; SGPRBlocks: 0
; VGPRBlocks: 4
; NumSGPRsForWavesPerEU: 28
; NumVGPRsForWavesPerEU: 33
; Occupancy: 16
; WaveLimiterHint : 0
; COMPUTE_PGM_RSRC2:SCRATCH_EN: 0
; COMPUTE_PGM_RSRC2:USER_SGPR: 6
; COMPUTE_PGM_RSRC2:TRAP_HANDLER: 0
; COMPUTE_PGM_RSRC2:TGID_X_EN: 1
; COMPUTE_PGM_RSRC2:TGID_Y_EN: 1
; COMPUTE_PGM_RSRC2:TGID_Z_EN: 1
; COMPUTE_PGM_RSRC2:TIDIG_COMP_CNT: 1
	.section	.text._ZL13mul_mat_vec_qIL9ggml_type3ELi4ELb0ELb0EEvPKvS2_PKi31ggml_cuda_mm_fusion_args_devicePfj15HIP_vector_typeIjLj3EEjjjS8_jjjS8_jjjj,"axG",@progbits,_ZL13mul_mat_vec_qIL9ggml_type3ELi4ELb0ELb0EEvPKvS2_PKi31ggml_cuda_mm_fusion_args_devicePfj15HIP_vector_typeIjLj3EEjjjS8_jjjS8_jjjj,comdat
	.globl	_ZL13mul_mat_vec_qIL9ggml_type3ELi4ELb0ELb0EEvPKvS2_PKi31ggml_cuda_mm_fusion_args_devicePfj15HIP_vector_typeIjLj3EEjjjS8_jjjS8_jjjj ; -- Begin function _ZL13mul_mat_vec_qIL9ggml_type3ELi4ELb0ELb0EEvPKvS2_PKi31ggml_cuda_mm_fusion_args_devicePfj15HIP_vector_typeIjLj3EEjjjS8_jjjS8_jjjj
	.p2align	8
	.type	_ZL13mul_mat_vec_qIL9ggml_type3ELi4ELb0ELb0EEvPKvS2_PKi31ggml_cuda_mm_fusion_args_devicePfj15HIP_vector_typeIjLj3EEjjjS8_jjjS8_jjjj,@function
_ZL13mul_mat_vec_qIL9ggml_type3ELi4ELb0ELb0EEvPKvS2_PKi31ggml_cuda_mm_fusion_args_devicePfj15HIP_vector_typeIjLj3EEjjjS8_jjjS8_jjjj: ; @_ZL13mul_mat_vec_qIL9ggml_type3ELi4ELb0ELb0EEvPKvS2_PKi31ggml_cuda_mm_fusion_args_devicePfj15HIP_vector_typeIjLj3EEjjjS8_jjjS8_jjjj
; %bb.0:
	s_clause 0x5
	s_load_dwordx4 s[16:19], s[4:5], 0x80
	s_load_dword s9, s[4:5], 0x40
	s_load_dwordx4 s[0:3], s[4:5], 0x50
	s_load_dword s24, s[4:5], 0x60
	;; [unrolled: 2-line block ×3, first 2 shown]
	v_lshl_or_b32 v2, v1, 5, v0
	v_mov_b32_e32 v4, 0
	v_mov_b32_e32 v5, 0
	;; [unrolled: 1-line block ×4, first 2 shown]
	v_lshrrev_b16 v3, 1, v2
	v_and_b32_e32 v7, 0xffff, v3
	s_waitcnt lgkmcnt(0)
	s_lshr_b32 s19, s9, 5
	s_mov_b32 s9, exec_lo
	v_cmpx_gt_u32_e64 s19, v7
	s_cbranch_execz .LBB31_4
; %bb.1:
	s_load_dwordx4 s[20:23], s[4:5], 0x0
	v_lshlrev_b32_e32 v3, 1, v0
	s_mul_i32 s10, s17, s8
	s_mul_i32 s11, s13, s7
	s_mul_hi_u32 s13, s15, s8
	s_mul_hi_u32 s15, s10, 36
	s_mul_i32 s10, s10, 36
	v_lshrrev_b32_e32 v2, 1, v2
	v_and_b32_e32 v3, 2, v3
	s_mul_hi_u32 s17, s11, 36
	s_mul_i32 s11, s11, 36
	s_mul_hi_u32 s3, s3, s7
	v_and_b32_e32 v6, 1, v0
	v_lshlrev_b32_e32 v10, 2, v3
	s_mul_i32 s0, s0, s6
	v_mov_b32_e32 v4, 0
	v_mov_b32_e32 v5, 0
	v_lshlrev_b32_e32 v9, 3, v6
	v_mov_b32_e32 v8, 0
	v_mov_b32_e32 v6, 0
	s_waitcnt lgkmcnt(0)
	s_add_u32 s10, s22, s10
	s_addc_u32 s15, s23, s15
	s_add_u32 s10, s10, s11
	s_addc_u32 s11, s15, s17
	s_add_i32 s3, s7, s3
	s_add_i32 s13, s8, s13
	s_lshr_b32 s3, s3, s24
	v_mad_u64_u32 v[2:3], null, v2, 36, s[10:11]
	s_lshr_b32 s13, s13, s25
	s_mul_i32 s3, s3, s12
	s_mul_i32 s12, s13, s16
	s_add_i32 s3, s3, s0
	s_mul_i32 s13, s1, 3
	s_add_i32 s0, s12, s3
	s_lshl_b32 s3, s1, 1
	s_mov_b32 s12, 0
.LBB31_2:                               ; =>This Inner Loop Header: Depth=1
	v_add_nc_u32_e32 v13, s0, v7
	v_add_nc_u32_e32 v17, s1, v7
	;; [unrolled: 1-line block ×4, first 2 shown]
	v_add_co_u32 v11, vcc_lo, v2, v9
	v_mad_i64_i32 v[13:14], null, v13, 20, s[20:21]
	v_mad_u64_u32 v[17:18], null, v17, 36, s[10:11]
	v_mad_u64_u32 v[19:20], null, v19, 36, s[10:11]
	;; [unrolled: 1-line block ×3, first 2 shown]
	v_add_co_ci_u32_e64 v12, null, 0, v3, vcc_lo
	v_add_co_u32 v23, vcc_lo, v13, v10
	v_add_co_ci_u32_e64 v24, null, 0, v14, vcc_lo
	v_add_co_u32 v25, vcc_lo, v17, v10
	;; [unrolled: 2-line block ×4, first 2 shown]
	v_add_co_ci_u32_e64 v30, null, 0, v22, vcc_lo
	s_clause 0x2
	global_load_dword v31, v[2:3], off
	global_load_dwordx2 v[15:16], v[11:12], off offset:4
	global_load_dwordx2 v[11:12], v[11:12], off offset:20
	s_clause 0x1
	global_load_dwordx2 v[23:24], v[23:24], off offset:4
	global_load_dword v32, v[13:14], off
	s_clause 0x8
	global_load_dwordx2 v[13:14], v[25:26], off offset:4
	global_load_dwordx2 v[25:26], v[25:26], off offset:20
	global_load_dword v33, v[19:20], off
	global_load_dword v34, v[17:18], off
	global_load_dwordx2 v[17:18], v[29:30], off offset:20
	global_load_dwordx2 v[19:20], v[27:28], off offset:4
	;; [unrolled: 1-line block ×4, first 2 shown]
	global_load_dword v21, v[21:22], off
	v_mov_b32_e32 v22, 0
	v_mov_b32_e32 v35, 0
	;; [unrolled: 1-line block ×4, first 2 shown]
	v_add_nc_u32_e32 v7, 16, v7
	v_add_co_u32 v2, vcc_lo, 0x240, v2
	v_add_co_ci_u32_e64 v3, null, 0, v3, vcc_lo
	v_cmp_le_u32_e32 vcc_lo, s19, v7
	s_or_b32 s12, vcc_lo, s12
	s_waitcnt vmcnt(10)
	v_and_b32_e32 v38, 0xf0f0f0f, v23
	v_lshrrev_b32_e32 v23, 4, v23
	v_and_b32_e32 v39, 0xf0f0f0f, v24
	v_lshrrev_b32_e32 v24, 4, v24
	s_waitcnt vmcnt(6)
	v_pk_mul_f16 v33, v32, v33
	v_dot4c_i32_i8 v35, v38, v13
	v_and_b32_e32 v23, 0xf0f0f0f, v23
	s_waitcnt vmcnt(3)
	v_dot4c_i32_i8 v36, v38, v19
	v_dot4c_i32_i8 v22, v38, v15
	s_waitcnt vmcnt(1)
	v_dot4c_i32_i8 v37, v38, v29
	v_pk_mul_f16 v31, v32, v31
	v_dot4c_i32_i8 v35, v23, v25
	v_dot4c_i32_i8 v36, v23, v27
	;; [unrolled: 1-line block ×4, first 2 shown]
	v_pk_mul_f16 v34, v32, v34
	s_waitcnt vmcnt(0)
	v_pk_mul_f16 v21, v32, v21
	v_and_b32_e32 v24, 0xf0f0f0f, v24
	v_dot4c_i32_i8 v22, v39, v16
	v_dot4c_i32_i8 v35, v39, v14
	;; [unrolled: 1-line block ×4, first 2 shown]
	v_cvt_f32_f16_sdwa v15, v31 dst_sel:DWORD dst_unused:UNUSED_PAD src0_sel:WORD_1
	v_cvt_f32_f16_sdwa v13, v34 dst_sel:DWORD dst_unused:UNUSED_PAD src0_sel:WORD_1
	;; [unrolled: 1-line block ×4, first 2 shown]
	v_dot4c_i32_i8 v22, v24, v12
	v_dot4c_i32_i8 v35, v24, v26
	;; [unrolled: 1-line block ×4, first 2 shown]
	v_mul_f32_e32 v11, 0.5, v15
	v_mul_f32_e32 v13, 0.5, v13
	;; [unrolled: 1-line block ×4, first 2 shown]
	v_cvt_f32_i32_e32 v12, v22
	v_cvt_f32_i32_e32 v14, v35
	v_cvt_f32_i32_e32 v16, v36
	v_cvt_f32_i32_e32 v18, v37
	v_fma_mix_f32 v11, v12, v31, v11 op_sel_hi:[0,1,0]
	v_fma_mix_f32 v12, v14, v34, v13 op_sel_hi:[0,1,0]
	v_fma_mix_f32 v13, v16, v33, v15 op_sel_hi:[0,1,0]
	v_fma_mix_f32 v14, v18, v21, v17 op_sel_hi:[0,1,0]
	v_add_f32_e32 v8, v8, v11
	v_add_f32_e32 v6, v6, v12
	;; [unrolled: 1-line block ×4, first 2 shown]
	s_andn2_b32 exec_lo, exec_lo, s12
	s_cbranch_execnz .LBB31_2
; %bb.3:
	s_or_b32 exec_lo, exec_lo, s12
.LBB31_4:
	s_or_b32 exec_lo, exec_lo, s9
	s_mov_b32 s1, 0
	; wave barrier
	buffer_gl0_inv
	s_mov_b32 s0, exec_lo
	v_cmpx_eq_u32_e32 0, v1
	s_cbranch_execz .LBB31_13
; %bb.5:
	v_mbcnt_lo_u32_b32 v9, -1, 0
	s_load_dwordx2 s[4:5], s[4:5], 0x38
	s_mul_i32 s0, s14, s7
	s_mul_i32 s3, s18, s8
	s_add_i32 s0, s0, s6
	v_xor_b32_e32 v1, 16, v9
	v_xor_b32_e32 v2, 8, v9
	s_add_i32 s0, s0, s3
	s_lshl_b64 s[0:1], s[0:1], 2
	v_cmp_gt_i32_e32 vcc_lo, 32, v1
	v_cndmask_b32_e32 v1, v9, v1, vcc_lo
	v_cmp_gt_i32_e32 vcc_lo, 32, v2
	v_lshlrev_b32_e32 v1, 2, v1
	v_cndmask_b32_e32 v2, v9, v2, vcc_lo
	s_waitcnt lgkmcnt(0)
	s_add_u32 s0, s4, s0
	s_addc_u32 s1, s5, s1
	ds_bpermute_b32 v3, v1, v8
	v_lshlrev_b32_e32 v2, 2, v2
	s_waitcnt lgkmcnt(0)
	v_add_f32_e32 v7, v8, v3
	v_xor_b32_e32 v3, 4, v9
	ds_bpermute_b32 v8, v2, v7
	v_cmp_gt_i32_e32 vcc_lo, 32, v3
	v_cndmask_b32_e32 v3, v9, v3, vcc_lo
	v_lshlrev_b32_e32 v3, 2, v3
	s_waitcnt lgkmcnt(0)
	v_add_f32_e32 v8, v7, v8
	v_xor_b32_e32 v7, 2, v9
	ds_bpermute_b32 v10, v3, v8
	v_cmp_gt_i32_e32 vcc_lo, 32, v7
	v_cndmask_b32_e32 v7, v9, v7, vcc_lo
	;; [unrolled: 7-line block ×3, first 2 shown]
	v_cmp_eq_u32_e32 vcc_lo, 0, v0
	v_lshlrev_b32_e32 v8, 2, v8
	s_waitcnt lgkmcnt(0)
	v_add_f32_e32 v9, v10, v11
	ds_bpermute_b32 v10, v8, v9
	s_and_saveexec_b32 s3, vcc_lo
	s_cbranch_execz .LBB31_7
; %bb.6:
	s_waitcnt lgkmcnt(0)
	v_add_f32_e32 v0, v9, v10
	v_mov_b32_e32 v9, 0
	global_store_dword v9, v0, s[0:1]
.LBB31_7:
	s_or_b32 exec_lo, exec_lo, s3
	ds_bpermute_b32 v0, v1, v6
	s_waitcnt lgkmcnt(0)
	v_add_f32_e32 v0, v6, v0
	ds_bpermute_b32 v6, v2, v0
	s_waitcnt lgkmcnt(0)
	v_add_f32_e32 v0, v0, v6
	;; [unrolled: 3-line block ×4, first 2 shown]
	ds_bpermute_b32 v6, v8, v0
	s_and_saveexec_b32 s4, vcc_lo
	s_cbranch_execz .LBB31_9
; %bb.8:
	s_mov_b32 s3, 0
	s_waitcnt lgkmcnt(0)
	v_add_f32_e32 v0, v0, v6
	s_lshl_b64 s[6:7], s[2:3], 2
	v_mov_b32_e32 v6, 0
	s_add_u32 s6, s0, s6
	s_addc_u32 s7, s1, s7
	global_store_dword v6, v0, s[6:7]
.LBB31_9:
	s_or_b32 exec_lo, exec_lo, s4
	ds_bpermute_b32 v0, v1, v5
	s_waitcnt lgkmcnt(0)
	v_add_f32_e32 v0, v5, v0
	ds_bpermute_b32 v5, v2, v0
	s_waitcnt lgkmcnt(0)
	v_add_f32_e32 v0, v0, v5
	;; [unrolled: 3-line block ×4, first 2 shown]
	ds_bpermute_b32 v5, v8, v0
	s_and_saveexec_b32 s3, vcc_lo
	s_cbranch_execz .LBB31_11
; %bb.10:
	s_lshl_b32 s4, s2, 1
	s_mov_b32 s5, 0
	s_waitcnt lgkmcnt(0)
	v_add_f32_e32 v0, v0, v5
	s_lshl_b64 s[4:5], s[4:5], 2
	v_mov_b32_e32 v5, 0
	s_add_u32 s4, s0, s4
	s_addc_u32 s5, s1, s5
	global_store_dword v5, v0, s[4:5]
.LBB31_11:
	s_or_b32 exec_lo, exec_lo, s3
	ds_bpermute_b32 v0, v1, v4
	s_waitcnt lgkmcnt(0)
	v_add_f32_e32 v0, v4, v0
	ds_bpermute_b32 v1, v2, v0
	s_waitcnt lgkmcnt(0)
	v_add_f32_e32 v0, v0, v1
	;; [unrolled: 3-line block ×4, first 2 shown]
	ds_bpermute_b32 v1, v8, v0
	s_and_b32 exec_lo, exec_lo, vcc_lo
	s_cbranch_execz .LBB31_13
; %bb.12:
	s_mul_i32 s2, s2, 3
	s_mov_b32 s3, 0
	s_waitcnt lgkmcnt(0)
	v_add_f32_e32 v0, v0, v1
	s_lshl_b64 s[2:3], s[2:3], 2
	v_mov_b32_e32 v1, 0
	s_add_u32 s0, s0, s2
	s_addc_u32 s1, s1, s3
	global_store_dword v1, v0, s[0:1]
.LBB31_13:
	s_endpgm
	.section	.rodata,"a",@progbits
	.p2align	6, 0x0
	.amdhsa_kernel _ZL13mul_mat_vec_qIL9ggml_type3ELi4ELb0ELb0EEvPKvS2_PKi31ggml_cuda_mm_fusion_args_devicePfj15HIP_vector_typeIjLj3EEjjjS8_jjjS8_jjjj
		.amdhsa_group_segment_fixed_size 0
		.amdhsa_private_segment_fixed_size 0
		.amdhsa_kernarg_size 144
		.amdhsa_user_sgpr_count 6
		.amdhsa_user_sgpr_private_segment_buffer 1
		.amdhsa_user_sgpr_dispatch_ptr 0
		.amdhsa_user_sgpr_queue_ptr 0
		.amdhsa_user_sgpr_kernarg_segment_ptr 1
		.amdhsa_user_sgpr_dispatch_id 0
		.amdhsa_user_sgpr_flat_scratch_init 0
		.amdhsa_user_sgpr_private_segment_size 0
		.amdhsa_wavefront_size32 1
		.amdhsa_uses_dynamic_stack 0
		.amdhsa_system_sgpr_private_segment_wavefront_offset 0
		.amdhsa_system_sgpr_workgroup_id_x 1
		.amdhsa_system_sgpr_workgroup_id_y 1
		.amdhsa_system_sgpr_workgroup_id_z 1
		.amdhsa_system_sgpr_workgroup_info 0
		.amdhsa_system_vgpr_workitem_id 1
		.amdhsa_next_free_vgpr 40
		.amdhsa_next_free_sgpr 26
		.amdhsa_reserve_vcc 1
		.amdhsa_reserve_flat_scratch 0
		.amdhsa_float_round_mode_32 0
		.amdhsa_float_round_mode_16_64 0
		.amdhsa_float_denorm_mode_32 3
		.amdhsa_float_denorm_mode_16_64 3
		.amdhsa_dx10_clamp 1
		.amdhsa_ieee_mode 1
		.amdhsa_fp16_overflow 0
		.amdhsa_workgroup_processor_mode 1
		.amdhsa_memory_ordered 1
		.amdhsa_forward_progress 1
		.amdhsa_shared_vgpr_count 0
		.amdhsa_exception_fp_ieee_invalid_op 0
		.amdhsa_exception_fp_denorm_src 0
		.amdhsa_exception_fp_ieee_div_zero 0
		.amdhsa_exception_fp_ieee_overflow 0
		.amdhsa_exception_fp_ieee_underflow 0
		.amdhsa_exception_fp_ieee_inexact 0
		.amdhsa_exception_int_div_zero 0
	.end_amdhsa_kernel
	.section	.text._ZL13mul_mat_vec_qIL9ggml_type3ELi4ELb0ELb0EEvPKvS2_PKi31ggml_cuda_mm_fusion_args_devicePfj15HIP_vector_typeIjLj3EEjjjS8_jjjS8_jjjj,"axG",@progbits,_ZL13mul_mat_vec_qIL9ggml_type3ELi4ELb0ELb0EEvPKvS2_PKi31ggml_cuda_mm_fusion_args_devicePfj15HIP_vector_typeIjLj3EEjjjS8_jjjS8_jjjj,comdat
.Lfunc_end31:
	.size	_ZL13mul_mat_vec_qIL9ggml_type3ELi4ELb0ELb0EEvPKvS2_PKi31ggml_cuda_mm_fusion_args_devicePfj15HIP_vector_typeIjLj3EEjjjS8_jjjS8_jjjj, .Lfunc_end31-_ZL13mul_mat_vec_qIL9ggml_type3ELi4ELb0ELb0EEvPKvS2_PKi31ggml_cuda_mm_fusion_args_devicePfj15HIP_vector_typeIjLj3EEjjjS8_jjjS8_jjjj
                                        ; -- End function
	.set _ZL13mul_mat_vec_qIL9ggml_type3ELi4ELb0ELb0EEvPKvS2_PKi31ggml_cuda_mm_fusion_args_devicePfj15HIP_vector_typeIjLj3EEjjjS8_jjjS8_jjjj.num_vgpr, 40
	.set _ZL13mul_mat_vec_qIL9ggml_type3ELi4ELb0ELb0EEvPKvS2_PKi31ggml_cuda_mm_fusion_args_devicePfj15HIP_vector_typeIjLj3EEjjjS8_jjjS8_jjjj.num_agpr, 0
	.set _ZL13mul_mat_vec_qIL9ggml_type3ELi4ELb0ELb0EEvPKvS2_PKi31ggml_cuda_mm_fusion_args_devicePfj15HIP_vector_typeIjLj3EEjjjS8_jjjS8_jjjj.numbered_sgpr, 26
	.set _ZL13mul_mat_vec_qIL9ggml_type3ELi4ELb0ELb0EEvPKvS2_PKi31ggml_cuda_mm_fusion_args_devicePfj15HIP_vector_typeIjLj3EEjjjS8_jjjS8_jjjj.num_named_barrier, 0
	.set _ZL13mul_mat_vec_qIL9ggml_type3ELi4ELb0ELb0EEvPKvS2_PKi31ggml_cuda_mm_fusion_args_devicePfj15HIP_vector_typeIjLj3EEjjjS8_jjjS8_jjjj.private_seg_size, 0
	.set _ZL13mul_mat_vec_qIL9ggml_type3ELi4ELb0ELb0EEvPKvS2_PKi31ggml_cuda_mm_fusion_args_devicePfj15HIP_vector_typeIjLj3EEjjjS8_jjjS8_jjjj.uses_vcc, 1
	.set _ZL13mul_mat_vec_qIL9ggml_type3ELi4ELb0ELb0EEvPKvS2_PKi31ggml_cuda_mm_fusion_args_devicePfj15HIP_vector_typeIjLj3EEjjjS8_jjjS8_jjjj.uses_flat_scratch, 0
	.set _ZL13mul_mat_vec_qIL9ggml_type3ELi4ELb0ELb0EEvPKvS2_PKi31ggml_cuda_mm_fusion_args_devicePfj15HIP_vector_typeIjLj3EEjjjS8_jjjS8_jjjj.has_dyn_sized_stack, 0
	.set _ZL13mul_mat_vec_qIL9ggml_type3ELi4ELb0ELb0EEvPKvS2_PKi31ggml_cuda_mm_fusion_args_devicePfj15HIP_vector_typeIjLj3EEjjjS8_jjjS8_jjjj.has_recursion, 0
	.set _ZL13mul_mat_vec_qIL9ggml_type3ELi4ELb0ELb0EEvPKvS2_PKi31ggml_cuda_mm_fusion_args_devicePfj15HIP_vector_typeIjLj3EEjjjS8_jjjS8_jjjj.has_indirect_call, 0
	.section	.AMDGPU.csdata,"",@progbits
; Kernel info:
; codeLenInByte = 1484
; TotalNumSgprs: 28
; NumVgprs: 40
; ScratchSize: 0
; MemoryBound: 0
; FloatMode: 240
; IeeeMode: 1
; LDSByteSize: 0 bytes/workgroup (compile time only)
; SGPRBlocks: 0
; VGPRBlocks: 4
; NumSGPRsForWavesPerEU: 28
; NumVGPRsForWavesPerEU: 40
; Occupancy: 16
; WaveLimiterHint : 0
; COMPUTE_PGM_RSRC2:SCRATCH_EN: 0
; COMPUTE_PGM_RSRC2:USER_SGPR: 6
; COMPUTE_PGM_RSRC2:TRAP_HANDLER: 0
; COMPUTE_PGM_RSRC2:TGID_X_EN: 1
; COMPUTE_PGM_RSRC2:TGID_Y_EN: 1
; COMPUTE_PGM_RSRC2:TGID_Z_EN: 1
; COMPUTE_PGM_RSRC2:TIDIG_COMP_CNT: 1
	.section	.text._ZL13mul_mat_vec_qIL9ggml_type3ELi5ELb0ELb0EEvPKvS2_PKi31ggml_cuda_mm_fusion_args_devicePfj15HIP_vector_typeIjLj3EEjjjS8_jjjS8_jjjj,"axG",@progbits,_ZL13mul_mat_vec_qIL9ggml_type3ELi5ELb0ELb0EEvPKvS2_PKi31ggml_cuda_mm_fusion_args_devicePfj15HIP_vector_typeIjLj3EEjjjS8_jjjS8_jjjj,comdat
	.globl	_ZL13mul_mat_vec_qIL9ggml_type3ELi5ELb0ELb0EEvPKvS2_PKi31ggml_cuda_mm_fusion_args_devicePfj15HIP_vector_typeIjLj3EEjjjS8_jjjS8_jjjj ; -- Begin function _ZL13mul_mat_vec_qIL9ggml_type3ELi5ELb0ELb0EEvPKvS2_PKi31ggml_cuda_mm_fusion_args_devicePfj15HIP_vector_typeIjLj3EEjjjS8_jjjS8_jjjj
	.p2align	8
	.type	_ZL13mul_mat_vec_qIL9ggml_type3ELi5ELb0ELb0EEvPKvS2_PKi31ggml_cuda_mm_fusion_args_devicePfj15HIP_vector_typeIjLj3EEjjjS8_jjjS8_jjjj,@function
_ZL13mul_mat_vec_qIL9ggml_type3ELi5ELb0ELb0EEvPKvS2_PKi31ggml_cuda_mm_fusion_args_devicePfj15HIP_vector_typeIjLj3EEjjjS8_jjjS8_jjjj: ; @_ZL13mul_mat_vec_qIL9ggml_type3ELi5ELb0ELb0EEvPKvS2_PKi31ggml_cuda_mm_fusion_args_devicePfj15HIP_vector_typeIjLj3EEjjjS8_jjjS8_jjjj
; %bb.0:
	s_clause 0x5
	s_load_dwordx4 s[16:19], s[4:5], 0x80
	s_load_dword s9, s[4:5], 0x40
	s_load_dwordx4 s[0:3], s[4:5], 0x50
	s_load_dword s24, s[4:5], 0x60
	;; [unrolled: 2-line block ×3, first 2 shown]
	v_lshl_or_b32 v2, v1, 5, v0
	v_mov_b32_e32 v4, 0
	v_mov_b32_e32 v5, 0
	;; [unrolled: 1-line block ×4, first 2 shown]
	v_lshrrev_b16 v3, 1, v2
	v_mov_b32_e32 v9, 0
	v_and_b32_e32 v8, 0xffff, v3
	s_waitcnt lgkmcnt(0)
	s_lshr_b32 s19, s9, 5
	s_mov_b32 s9, exec_lo
	v_cmpx_gt_u32_e64 s19, v8
	s_cbranch_execz .LBB32_4
; %bb.1:
	s_load_dwordx4 s[20:23], s[4:5], 0x0
	v_lshlrev_b32_e32 v3, 1, v0
	s_mul_i32 s10, s17, s8
	s_mul_i32 s11, s13, s7
	;; [unrolled: 1-line block ×3, first 2 shown]
	s_mul_hi_u32 s0, s3, s7
	s_mul_hi_u32 s3, s15, s8
	s_mul_hi_u32 s15, s10, 36
	s_mul_i32 s10, s10, 36
	v_lshrrev_b32_e32 v2, 1, v2
	v_and_b32_e32 v3, 2, v3
	s_mul_hi_u32 s17, s11, 36
	s_mul_i32 s11, s11, 36
	v_and_b32_e32 v5, 1, v0
	v_mov_b32_e32 v4, 0
	v_lshlrev_b32_e32 v11, 2, v3
	v_mov_b32_e32 v6, 0
	v_mov_b32_e32 v7, 0
	v_lshlrev_b32_e32 v10, 3, v5
	v_mov_b32_e32 v5, 0
	s_waitcnt lgkmcnt(0)
	s_add_u32 s10, s22, s10
	s_addc_u32 s15, s23, s15
	s_add_u32 s10, s10, s11
	s_addc_u32 s11, s15, s17
	s_add_i32 s15, s7, s0
	s_add_i32 s3, s8, s3
	s_lshr_b32 s15, s15, s24
	v_mad_u64_u32 v[2:3], null, v2, 36, s[10:11]
	s_lshr_b32 s3, s3, s25
	s_mul_i32 s12, s15, s12
	v_mov_b32_e32 v9, 0
	s_mul_i32 s3, s3, s16
	s_add_i32 s12, s12, s13
	s_lshl_b32 s0, s1, 1
	s_add_i32 s3, s3, s12
	s_mul_i32 s12, s1, 3
	s_lshl_b32 s15, s1, 2
	s_mov_b32 s13, 0
.LBB32_2:                               ; =>This Inner Loop Header: Depth=1
	v_add_nc_u32_e32 v14, s3, v8
	v_add_nc_u32_e32 v18, s1, v8
	;; [unrolled: 1-line block ×5, first 2 shown]
	v_mad_i64_i32 v[14:15], null, v14, 20, s[20:21]
	v_mad_u64_u32 v[18:19], null, v18, 36, s[10:11]
	v_mad_u64_u32 v[20:21], null, v20, 36, s[10:11]
	v_add_co_u32 v12, vcc_lo, v2, v10
	v_mad_u64_u32 v[22:23], null, v22, 36, s[10:11]
	v_add_co_ci_u32_e64 v13, null, 0, v3, vcc_lo
	v_mad_u64_u32 v[24:25], null, v24, 36, s[10:11]
	v_add_co_u32 v26, vcc_lo, v14, v11
	v_add_co_ci_u32_e64 v27, null, 0, v15, vcc_lo
	v_add_co_u32 v28, vcc_lo, v18, v11
	v_add_co_ci_u32_e64 v29, null, 0, v19, vcc_lo
	;; [unrolled: 2-line block ×4, first 2 shown]
	v_add_co_u32 v34, vcc_lo, v24, v11
	s_clause 0x2
	global_load_dword v36, v[2:3], off
	global_load_dwordx2 v[16:17], v[12:13], off offset:4
	global_load_dwordx2 v[12:13], v[12:13], off offset:20
	v_add_co_ci_u32_e64 v35, null, 0, v25, vcc_lo
	s_clause 0x1
	global_load_dwordx2 v[26:27], v[26:27], off offset:4
	global_load_dword v37, v[14:15], off
	s_clause 0xb
	global_load_dwordx2 v[14:15], v[28:29], off offset:4
	global_load_dwordx2 v[28:29], v[28:29], off offset:20
	global_load_dword v38, v[20:21], off
	global_load_dword v39, v[18:19], off
	global_load_dwordx2 v[18:19], v[30:31], off offset:4
	global_load_dwordx2 v[20:21], v[30:31], off offset:20
	;; [unrolled: 1-line block ×3, first 2 shown]
	global_load_dword v40, v[22:23], off
	global_load_dwordx2 v[22:23], v[32:33], off offset:20
	global_load_dwordx2 v[32:33], v[34:35], off offset:4
	;; [unrolled: 1-line block ×3, first 2 shown]
	global_load_dword v24, v[24:25], off
	v_mov_b32_e32 v25, 0
	v_mov_b32_e32 v41, 0
	;; [unrolled: 1-line block ×5, first 2 shown]
	v_add_nc_u32_e32 v8, 16, v8
	v_add_co_u32 v2, vcc_lo, 0x240, v2
	v_add_co_ci_u32_e64 v3, null, 0, v3, vcc_lo
	v_cmp_le_u32_e32 vcc_lo, s19, v8
	s_or_b32 s13, vcc_lo, s13
	s_waitcnt vmcnt(13)
	v_and_b32_e32 v45, 0xf0f0f0f, v26
	v_lshrrev_b32_e32 v26, 4, v26
	v_and_b32_e32 v46, 0xf0f0f0f, v27
	v_lshrrev_b32_e32 v27, 4, v27
	s_waitcnt vmcnt(9)
	v_pk_mul_f16 v38, v37, v38
	v_dot4c_i32_i8 v41, v45, v14
	v_and_b32_e32 v26, 0xf0f0f0f, v26
	s_waitcnt vmcnt(7)
	v_dot4c_i32_i8 v42, v45, v18
	s_waitcnt vmcnt(5)
	v_dot4c_i32_i8 v43, v45, v30
	v_dot4c_i32_i8 v25, v45, v16
	v_pk_mul_f16 v36, v37, v36
	s_waitcnt vmcnt(2)
	v_dot4c_i32_i8 v44, v45, v32
	v_dot4c_i32_i8 v41, v26, v28
	;; [unrolled: 1-line block ×5, first 2 shown]
	s_waitcnt vmcnt(1)
	v_dot4c_i32_i8 v44, v26, v34
	v_pk_mul_f16 v39, v37, v39
	v_pk_mul_f16 v40, v37, v40
	s_waitcnt vmcnt(0)
	v_pk_mul_f16 v24, v37, v24
	v_and_b32_e32 v27, 0xf0f0f0f, v27
	v_dot4c_i32_i8 v25, v46, v17
	v_dot4c_i32_i8 v41, v46, v15
	;; [unrolled: 1-line block ×5, first 2 shown]
	v_cvt_f32_f16_sdwa v16, v36 dst_sel:DWORD dst_unused:UNUSED_PAD src0_sel:WORD_1
	v_cvt_f32_f16_sdwa v14, v39 dst_sel:DWORD dst_unused:UNUSED_PAD src0_sel:WORD_1
	;; [unrolled: 1-line block ×5, first 2 shown]
	v_dot4c_i32_i8 v25, v27, v13
	v_dot4c_i32_i8 v41, v27, v29
	;; [unrolled: 1-line block ×5, first 2 shown]
	v_mul_f32_e32 v12, 0.5, v16
	v_mul_f32_e32 v14, 0.5, v14
	;; [unrolled: 1-line block ×5, first 2 shown]
	v_cvt_f32_i32_e32 v13, v25
	v_cvt_f32_i32_e32 v15, v41
	;; [unrolled: 1-line block ×5, first 2 shown]
	v_fma_mix_f32 v12, v13, v36, v12 op_sel_hi:[0,1,0]
	v_fma_mix_f32 v13, v15, v39, v14 op_sel_hi:[0,1,0]
	;; [unrolled: 1-line block ×5, first 2 shown]
	v_add_f32_e32 v9, v9, v12
	v_add_f32_e32 v7, v7, v13
	;; [unrolled: 1-line block ×5, first 2 shown]
	s_andn2_b32 exec_lo, exec_lo, s13
	s_cbranch_execnz .LBB32_2
; %bb.3:
	s_or_b32 exec_lo, exec_lo, s13
.LBB32_4:
	s_or_b32 exec_lo, exec_lo, s9
	s_mov_b32 s1, 0
	; wave barrier
	buffer_gl0_inv
	s_mov_b32 s0, exec_lo
	v_cmpx_eq_u32_e32 0, v1
	s_cbranch_execz .LBB32_15
; %bb.5:
	v_mbcnt_lo_u32_b32 v10, -1, 0
	s_load_dwordx2 s[4:5], s[4:5], 0x38
	s_mul_i32 s0, s14, s7
	s_mul_i32 s3, s18, s8
	s_add_i32 s0, s0, s6
	v_xor_b32_e32 v1, 16, v10
	v_xor_b32_e32 v2, 8, v10
	s_add_i32 s0, s0, s3
	s_lshl_b64 s[0:1], s[0:1], 2
	v_cmp_gt_i32_e32 vcc_lo, 32, v1
	v_cndmask_b32_e32 v1, v10, v1, vcc_lo
	v_cmp_gt_i32_e32 vcc_lo, 32, v2
	v_lshlrev_b32_e32 v1, 2, v1
	v_cndmask_b32_e32 v2, v10, v2, vcc_lo
	s_waitcnt lgkmcnt(0)
	s_add_u32 s0, s4, s0
	s_addc_u32 s1, s5, s1
	ds_bpermute_b32 v3, v1, v9
	v_lshlrev_b32_e32 v2, 2, v2
	s_waitcnt lgkmcnt(0)
	v_add_f32_e32 v8, v9, v3
	v_xor_b32_e32 v3, 4, v10
	ds_bpermute_b32 v9, v2, v8
	v_cmp_gt_i32_e32 vcc_lo, 32, v3
	v_cndmask_b32_e32 v3, v10, v3, vcc_lo
	v_lshlrev_b32_e32 v3, 2, v3
	s_waitcnt lgkmcnt(0)
	v_add_f32_e32 v9, v8, v9
	v_xor_b32_e32 v8, 2, v10
	ds_bpermute_b32 v11, v3, v9
	v_cmp_gt_i32_e32 vcc_lo, 32, v8
	v_cndmask_b32_e32 v8, v10, v8, vcc_lo
	;; [unrolled: 7-line block ×3, first 2 shown]
	v_cmp_eq_u32_e32 vcc_lo, 0, v0
	v_lshlrev_b32_e32 v9, 2, v9
	s_waitcnt lgkmcnt(0)
	v_add_f32_e32 v10, v11, v12
	ds_bpermute_b32 v11, v9, v10
	s_and_saveexec_b32 s3, vcc_lo
	s_cbranch_execz .LBB32_7
; %bb.6:
	s_waitcnt lgkmcnt(0)
	v_add_f32_e32 v0, v10, v11
	v_mov_b32_e32 v10, 0
	global_store_dword v10, v0, s[0:1]
.LBB32_7:
	s_or_b32 exec_lo, exec_lo, s3
	ds_bpermute_b32 v0, v1, v7
	s_waitcnt lgkmcnt(0)
	v_add_f32_e32 v0, v7, v0
	ds_bpermute_b32 v7, v2, v0
	s_waitcnt lgkmcnt(0)
	v_add_f32_e32 v0, v0, v7
	;; [unrolled: 3-line block ×4, first 2 shown]
	ds_bpermute_b32 v7, v9, v0
	s_and_saveexec_b32 s4, vcc_lo
	s_cbranch_execz .LBB32_9
; %bb.8:
	s_mov_b32 s3, 0
	s_waitcnt lgkmcnt(0)
	v_add_f32_e32 v0, v0, v7
	s_lshl_b64 s[6:7], s[2:3], 2
	v_mov_b32_e32 v7, 0
	s_add_u32 s6, s0, s6
	s_addc_u32 s7, s1, s7
	global_store_dword v7, v0, s[6:7]
.LBB32_9:
	s_or_b32 exec_lo, exec_lo, s4
	ds_bpermute_b32 v0, v1, v6
	s_waitcnt lgkmcnt(0)
	v_add_f32_e32 v0, v6, v0
	ds_bpermute_b32 v6, v2, v0
	s_waitcnt lgkmcnt(0)
	v_add_f32_e32 v0, v0, v6
	ds_bpermute_b32 v6, v3, v0
	s_waitcnt lgkmcnt(0)
	v_add_f32_e32 v0, v0, v6
	ds_bpermute_b32 v6, v8, v0
	s_waitcnt lgkmcnt(0)
	v_add_f32_e32 v0, v0, v6
	ds_bpermute_b32 v6, v9, v0
	s_and_saveexec_b32 s3, vcc_lo
	s_cbranch_execz .LBB32_11
; %bb.10:
	s_lshl_b32 s4, s2, 1
	s_mov_b32 s5, 0
	s_waitcnt lgkmcnt(0)
	v_add_f32_e32 v0, v0, v6
	s_lshl_b64 s[4:5], s[4:5], 2
	v_mov_b32_e32 v6, 0
	s_add_u32 s4, s0, s4
	s_addc_u32 s5, s1, s5
	global_store_dword v6, v0, s[4:5]
.LBB32_11:
	s_or_b32 exec_lo, exec_lo, s3
	ds_bpermute_b32 v0, v1, v5
	s_waitcnt lgkmcnt(0)
	v_add_f32_e32 v0, v5, v0
	ds_bpermute_b32 v5, v2, v0
	s_waitcnt lgkmcnt(0)
	v_add_f32_e32 v0, v0, v5
	;; [unrolled: 3-line block ×4, first 2 shown]
	ds_bpermute_b32 v5, v9, v0
	s_and_saveexec_b32 s3, vcc_lo
	s_cbranch_execz .LBB32_13
; %bb.12:
	s_mul_i32 s4, s2, 3
	s_mov_b32 s5, 0
	s_waitcnt lgkmcnt(0)
	v_add_f32_e32 v0, v0, v5
	s_lshl_b64 s[4:5], s[4:5], 2
	v_mov_b32_e32 v5, 0
	s_add_u32 s4, s0, s4
	s_addc_u32 s5, s1, s5
	global_store_dword v5, v0, s[4:5]
.LBB32_13:
	s_or_b32 exec_lo, exec_lo, s3
	ds_bpermute_b32 v0, v1, v4
	s_waitcnt lgkmcnt(0)
	v_add_f32_e32 v0, v4, v0
	ds_bpermute_b32 v1, v2, v0
	s_waitcnt lgkmcnt(0)
	v_add_f32_e32 v0, v0, v1
	;; [unrolled: 3-line block ×4, first 2 shown]
	ds_bpermute_b32 v1, v9, v0
	s_and_b32 exec_lo, exec_lo, vcc_lo
	s_cbranch_execz .LBB32_15
; %bb.14:
	s_lshl_b32 s2, s2, 2
	s_mov_b32 s3, 0
	s_waitcnt lgkmcnt(0)
	v_add_f32_e32 v0, v0, v1
	s_lshl_b64 s[2:3], s[2:3], 2
	v_mov_b32_e32 v1, 0
	s_add_u32 s0, s0, s2
	s_addc_u32 s1, s1, s3
	global_store_dword v1, v0, s[0:1]
.LBB32_15:
	s_endpgm
	.section	.rodata,"a",@progbits
	.p2align	6, 0x0
	.amdhsa_kernel _ZL13mul_mat_vec_qIL9ggml_type3ELi5ELb0ELb0EEvPKvS2_PKi31ggml_cuda_mm_fusion_args_devicePfj15HIP_vector_typeIjLj3EEjjjS8_jjjS8_jjjj
		.amdhsa_group_segment_fixed_size 0
		.amdhsa_private_segment_fixed_size 0
		.amdhsa_kernarg_size 144
		.amdhsa_user_sgpr_count 6
		.amdhsa_user_sgpr_private_segment_buffer 1
		.amdhsa_user_sgpr_dispatch_ptr 0
		.amdhsa_user_sgpr_queue_ptr 0
		.amdhsa_user_sgpr_kernarg_segment_ptr 1
		.amdhsa_user_sgpr_dispatch_id 0
		.amdhsa_user_sgpr_flat_scratch_init 0
		.amdhsa_user_sgpr_private_segment_size 0
		.amdhsa_wavefront_size32 1
		.amdhsa_uses_dynamic_stack 0
		.amdhsa_system_sgpr_private_segment_wavefront_offset 0
		.amdhsa_system_sgpr_workgroup_id_x 1
		.amdhsa_system_sgpr_workgroup_id_y 1
		.amdhsa_system_sgpr_workgroup_id_z 1
		.amdhsa_system_sgpr_workgroup_info 0
		.amdhsa_system_vgpr_workitem_id 1
		.amdhsa_next_free_vgpr 47
		.amdhsa_next_free_sgpr 26
		.amdhsa_reserve_vcc 1
		.amdhsa_reserve_flat_scratch 0
		.amdhsa_float_round_mode_32 0
		.amdhsa_float_round_mode_16_64 0
		.amdhsa_float_denorm_mode_32 3
		.amdhsa_float_denorm_mode_16_64 3
		.amdhsa_dx10_clamp 1
		.amdhsa_ieee_mode 1
		.amdhsa_fp16_overflow 0
		.amdhsa_workgroup_processor_mode 1
		.amdhsa_memory_ordered 1
		.amdhsa_forward_progress 1
		.amdhsa_shared_vgpr_count 0
		.amdhsa_exception_fp_ieee_invalid_op 0
		.amdhsa_exception_fp_denorm_src 0
		.amdhsa_exception_fp_ieee_div_zero 0
		.amdhsa_exception_fp_ieee_overflow 0
		.amdhsa_exception_fp_ieee_underflow 0
		.amdhsa_exception_fp_ieee_inexact 0
		.amdhsa_exception_int_div_zero 0
	.end_amdhsa_kernel
	.section	.text._ZL13mul_mat_vec_qIL9ggml_type3ELi5ELb0ELb0EEvPKvS2_PKi31ggml_cuda_mm_fusion_args_devicePfj15HIP_vector_typeIjLj3EEjjjS8_jjjS8_jjjj,"axG",@progbits,_ZL13mul_mat_vec_qIL9ggml_type3ELi5ELb0ELb0EEvPKvS2_PKi31ggml_cuda_mm_fusion_args_devicePfj15HIP_vector_typeIjLj3EEjjjS8_jjjS8_jjjj,comdat
.Lfunc_end32:
	.size	_ZL13mul_mat_vec_qIL9ggml_type3ELi5ELb0ELb0EEvPKvS2_PKi31ggml_cuda_mm_fusion_args_devicePfj15HIP_vector_typeIjLj3EEjjjS8_jjjS8_jjjj, .Lfunc_end32-_ZL13mul_mat_vec_qIL9ggml_type3ELi5ELb0ELb0EEvPKvS2_PKi31ggml_cuda_mm_fusion_args_devicePfj15HIP_vector_typeIjLj3EEjjjS8_jjjS8_jjjj
                                        ; -- End function
	.set _ZL13mul_mat_vec_qIL9ggml_type3ELi5ELb0ELb0EEvPKvS2_PKi31ggml_cuda_mm_fusion_args_devicePfj15HIP_vector_typeIjLj3EEjjjS8_jjjS8_jjjj.num_vgpr, 47
	.set _ZL13mul_mat_vec_qIL9ggml_type3ELi5ELb0ELb0EEvPKvS2_PKi31ggml_cuda_mm_fusion_args_devicePfj15HIP_vector_typeIjLj3EEjjjS8_jjjS8_jjjj.num_agpr, 0
	.set _ZL13mul_mat_vec_qIL9ggml_type3ELi5ELb0ELb0EEvPKvS2_PKi31ggml_cuda_mm_fusion_args_devicePfj15HIP_vector_typeIjLj3EEjjjS8_jjjS8_jjjj.numbered_sgpr, 26
	.set _ZL13mul_mat_vec_qIL9ggml_type3ELi5ELb0ELb0EEvPKvS2_PKi31ggml_cuda_mm_fusion_args_devicePfj15HIP_vector_typeIjLj3EEjjjS8_jjjS8_jjjj.num_named_barrier, 0
	.set _ZL13mul_mat_vec_qIL9ggml_type3ELi5ELb0ELb0EEvPKvS2_PKi31ggml_cuda_mm_fusion_args_devicePfj15HIP_vector_typeIjLj3EEjjjS8_jjjS8_jjjj.private_seg_size, 0
	.set _ZL13mul_mat_vec_qIL9ggml_type3ELi5ELb0ELb0EEvPKvS2_PKi31ggml_cuda_mm_fusion_args_devicePfj15HIP_vector_typeIjLj3EEjjjS8_jjjS8_jjjj.uses_vcc, 1
	.set _ZL13mul_mat_vec_qIL9ggml_type3ELi5ELb0ELb0EEvPKvS2_PKi31ggml_cuda_mm_fusion_args_devicePfj15HIP_vector_typeIjLj3EEjjjS8_jjjS8_jjjj.uses_flat_scratch, 0
	.set _ZL13mul_mat_vec_qIL9ggml_type3ELi5ELb0ELb0EEvPKvS2_PKi31ggml_cuda_mm_fusion_args_devicePfj15HIP_vector_typeIjLj3EEjjjS8_jjjS8_jjjj.has_dyn_sized_stack, 0
	.set _ZL13mul_mat_vec_qIL9ggml_type3ELi5ELb0ELb0EEvPKvS2_PKi31ggml_cuda_mm_fusion_args_devicePfj15HIP_vector_typeIjLj3EEjjjS8_jjjS8_jjjj.has_recursion, 0
	.set _ZL13mul_mat_vec_qIL9ggml_type3ELi5ELb0ELb0EEvPKvS2_PKi31ggml_cuda_mm_fusion_args_devicePfj15HIP_vector_typeIjLj3EEjjjS8_jjjS8_jjjj.has_indirect_call, 0
	.section	.AMDGPU.csdata,"",@progbits
; Kernel info:
; codeLenInByte = 1736
; TotalNumSgprs: 28
; NumVgprs: 47
; ScratchSize: 0
; MemoryBound: 0
; FloatMode: 240
; IeeeMode: 1
; LDSByteSize: 0 bytes/workgroup (compile time only)
; SGPRBlocks: 0
; VGPRBlocks: 5
; NumSGPRsForWavesPerEU: 28
; NumVGPRsForWavesPerEU: 47
; Occupancy: 16
; WaveLimiterHint : 0
; COMPUTE_PGM_RSRC2:SCRATCH_EN: 0
; COMPUTE_PGM_RSRC2:USER_SGPR: 6
; COMPUTE_PGM_RSRC2:TRAP_HANDLER: 0
; COMPUTE_PGM_RSRC2:TGID_X_EN: 1
; COMPUTE_PGM_RSRC2:TGID_Y_EN: 1
; COMPUTE_PGM_RSRC2:TGID_Z_EN: 1
; COMPUTE_PGM_RSRC2:TIDIG_COMP_CNT: 1
	.section	.text._ZL13mul_mat_vec_qIL9ggml_type3ELi6ELb0ELb0EEvPKvS2_PKi31ggml_cuda_mm_fusion_args_devicePfj15HIP_vector_typeIjLj3EEjjjS8_jjjS8_jjjj,"axG",@progbits,_ZL13mul_mat_vec_qIL9ggml_type3ELi6ELb0ELb0EEvPKvS2_PKi31ggml_cuda_mm_fusion_args_devicePfj15HIP_vector_typeIjLj3EEjjjS8_jjjS8_jjjj,comdat
	.globl	_ZL13mul_mat_vec_qIL9ggml_type3ELi6ELb0ELb0EEvPKvS2_PKi31ggml_cuda_mm_fusion_args_devicePfj15HIP_vector_typeIjLj3EEjjjS8_jjjS8_jjjj ; -- Begin function _ZL13mul_mat_vec_qIL9ggml_type3ELi6ELb0ELb0EEvPKvS2_PKi31ggml_cuda_mm_fusion_args_devicePfj15HIP_vector_typeIjLj3EEjjjS8_jjjS8_jjjj
	.p2align	8
	.type	_ZL13mul_mat_vec_qIL9ggml_type3ELi6ELb0ELb0EEvPKvS2_PKi31ggml_cuda_mm_fusion_args_devicePfj15HIP_vector_typeIjLj3EEjjjS8_jjjS8_jjjj,@function
_ZL13mul_mat_vec_qIL9ggml_type3ELi6ELb0ELb0EEvPKvS2_PKi31ggml_cuda_mm_fusion_args_devicePfj15HIP_vector_typeIjLj3EEjjjS8_jjjS8_jjjj: ; @_ZL13mul_mat_vec_qIL9ggml_type3ELi6ELb0ELb0EEvPKvS2_PKi31ggml_cuda_mm_fusion_args_devicePfj15HIP_vector_typeIjLj3EEjjjS8_jjjS8_jjjj
; %bb.0:
	s_clause 0x5
	s_load_dwordx4 s[16:19], s[4:5], 0x80
	s_load_dword s9, s[4:5], 0x40
	s_load_dwordx4 s[0:3], s[4:5], 0x50
	s_load_dword s24, s[4:5], 0x60
	s_load_dwordx4 s[12:15], s[4:5], 0x68
	s_load_dword s25, s[4:5], 0x78
	v_lshl_or_b32 v2, v1, 5, v0
	v_mov_b32_e32 v4, 0
	v_mov_b32_e32 v5, 0
	;; [unrolled: 1-line block ×4, first 2 shown]
	v_lshrrev_b16 v3, 1, v2
	v_mov_b32_e32 v8, 0
	v_mov_b32_e32 v10, 0
	v_and_b32_e32 v9, 0xffff, v3
	s_waitcnt lgkmcnt(0)
	s_lshr_b32 s19, s9, 5
	s_mov_b32 s9, exec_lo
	v_cmpx_gt_u32_e64 s19, v9
	s_cbranch_execz .LBB33_4
; %bb.1:
	s_load_dwordx4 s[20:23], s[4:5], 0x0
	s_mul_i32 s10, s17, s8
	s_mul_i32 s11, s13, s7
	v_lshlrev_b32_e32 v3, 1, v0
	s_mul_hi_u32 s17, s10, 36
	s_mul_i32 s10, s10, 36
	v_lshrrev_b32_e32 v2, 1, v2
	s_mul_hi_u32 s26, s11, 36
	s_mul_i32 s11, s11, 36
	s_mul_hi_u32 s3, s3, s7
	s_mul_hi_u32 s15, s15, s8
	v_and_b32_e32 v5, 1, v0
	v_and_b32_e32 v6, 2, v3
	s_mul_i32 s13, s0, s6
	v_mov_b32_e32 v4, 0
	v_mov_b32_e32 v7, 0
	v_lshlrev_b32_e32 v11, 3, v5
	v_lshlrev_b32_e32 v12, 2, v6
	v_mov_b32_e32 v5, 0
	v_mov_b32_e32 v6, 0
	s_waitcnt lgkmcnt(0)
	s_add_u32 s10, s22, s10
	s_addc_u32 s17, s23, s17
	s_add_u32 s10, s10, s11
	s_addc_u32 s11, s17, s26
	s_add_i32 s17, s7, s3
	s_add_i32 s15, s8, s15
	s_lshr_b32 s17, s17, s24
	v_mad_u64_u32 v[2:3], null, v2, 36, s[10:11]
	s_lshr_b32 s15, s15, s25
	s_mul_i32 s12, s17, s12
	v_mov_b32_e32 v8, 0
	v_mov_b32_e32 v10, 0
	s_mul_i32 s15, s15, s16
	s_add_i32 s12, s12, s13
	s_mul_i32 s0, s1, 3
	s_lshl_b32 s3, s1, 1
	s_add_i32 s12, s15, s12
	s_lshl_b32 s13, s1, 2
	s_mul_i32 s16, s1, 5
	s_mov_b32 s15, 0
.LBB33_2:                               ; =>This Inner Loop Header: Depth=1
	v_add_nc_u32_e32 v15, s12, v9
	v_add_nc_u32_e32 v19, s1, v9
	;; [unrolled: 1-line block ×5, first 2 shown]
	v_mad_i64_i32 v[15:16], null, v15, 20, s[20:21]
	v_mad_u64_u32 v[19:20], null, v19, 36, s[10:11]
	v_mad_u64_u32 v[21:22], null, v21, 36, s[10:11]
	v_add_nc_u32_e32 v27, s16, v9
	v_add_co_u32 v13, vcc_lo, v2, v11
	v_mad_u64_u32 v[23:24], null, v23, 36, s[10:11]
	v_add_co_ci_u32_e64 v14, null, 0, v3, vcc_lo
	v_mad_u64_u32 v[25:26], null, v25, 36, s[10:11]
	v_add_co_u32 v29, vcc_lo, v15, v12
	v_mad_u64_u32 v[27:28], null, v27, 36, s[10:11]
	v_add_co_ci_u32_e64 v30, null, 0, v16, vcc_lo
	v_add_co_u32 v31, vcc_lo, v19, v12
	v_add_co_ci_u32_e64 v32, null, 0, v20, vcc_lo
	v_add_co_u32 v33, vcc_lo, v21, v12
	;; [unrolled: 2-line block ×5, first 2 shown]
	s_clause 0x2
	global_load_dword v41, v[2:3], off
	global_load_dwordx2 v[17:18], v[13:14], off offset:4
	global_load_dwordx2 v[13:14], v[13:14], off offset:20
	v_add_co_ci_u32_e64 v40, null, 0, v28, vcc_lo
	s_clause 0x1
	global_load_dwordx2 v[29:30], v[29:30], off offset:4
	global_load_dword v42, v[15:16], off
	s_clause 0xe
	global_load_dwordx2 v[15:16], v[31:32], off offset:4
	global_load_dwordx2 v[31:32], v[31:32], off offset:20
	global_load_dword v43, v[21:22], off
	global_load_dword v44, v[19:20], off
	global_load_dwordx2 v[19:20], v[33:34], off offset:4
	global_load_dwordx2 v[21:22], v[33:34], off offset:20
	;; [unrolled: 1-line block ×3, first 2 shown]
	global_load_dword v45, v[23:24], off
	global_load_dwordx2 v[23:24], v[35:36], off offset:20
	global_load_dwordx2 v[35:36], v[37:38], off offset:4
	;; [unrolled: 1-line block ×3, first 2 shown]
	global_load_dword v46, v[25:26], off
	global_load_dwordx2 v[25:26], v[39:40], off offset:4
	global_load_dwordx2 v[39:40], v[39:40], off offset:20
	global_load_dword v27, v[27:28], off
	v_mov_b32_e32 v28, 0
	v_mov_b32_e32 v47, 0
	;; [unrolled: 1-line block ×6, first 2 shown]
	v_add_nc_u32_e32 v9, 16, v9
	v_add_co_u32 v2, vcc_lo, 0x240, v2
	v_add_co_ci_u32_e64 v3, null, 0, v3, vcc_lo
	v_cmp_le_u32_e32 vcc_lo, s19, v9
	s_or_b32 s15, vcc_lo, s15
	s_waitcnt vmcnt(16)
	v_and_b32_e32 v52, 0xf0f0f0f, v29
	v_lshrrev_b32_e32 v29, 4, v29
	v_and_b32_e32 v53, 0xf0f0f0f, v30
	v_lshrrev_b32_e32 v30, 4, v30
	s_waitcnt vmcnt(12)
	v_pk_mul_f16 v43, v42, v43
	v_dot4c_i32_i8 v47, v52, v15
	v_and_b32_e32 v29, 0xf0f0f0f, v29
	s_waitcnt vmcnt(10)
	v_dot4c_i32_i8 v48, v52, v19
	s_waitcnt vmcnt(8)
	v_dot4c_i32_i8 v49, v52, v33
	v_pk_mul_f16 v44, v42, v44
	s_waitcnt vmcnt(7)
	v_pk_mul_f16 v45, v42, v45
	s_waitcnt vmcnt(5)
	v_dot4c_i32_i8 v50, v52, v35
	v_dot4c_i32_i8 v28, v52, v17
	;; [unrolled: 1-line block ×3, first 2 shown]
	s_waitcnt vmcnt(2)
	v_dot4c_i32_i8 v51, v52, v25
	v_dot4c_i32_i8 v48, v29, v21
	;; [unrolled: 1-line block ×5, first 2 shown]
	s_waitcnt vmcnt(1)
	v_dot4c_i32_i8 v51, v29, v39
	v_pk_mul_f16 v41, v42, v41
	v_pk_mul_f16 v46, v42, v46
	s_waitcnt vmcnt(0)
	v_pk_mul_f16 v27, v42, v27
	v_and_b32_e32 v30, 0xf0f0f0f, v30
	v_dot4c_i32_i8 v28, v53, v18
	v_dot4c_i32_i8 v47, v53, v16
	;; [unrolled: 1-line block ×6, first 2 shown]
	v_cvt_f32_f16_sdwa v17, v41 dst_sel:DWORD dst_unused:UNUSED_PAD src0_sel:WORD_1
	v_cvt_f32_f16_sdwa v15, v44 dst_sel:DWORD dst_unused:UNUSED_PAD src0_sel:WORD_1
	;; [unrolled: 1-line block ×6, first 2 shown]
	v_dot4c_i32_i8 v28, v30, v14
	v_dot4c_i32_i8 v47, v30, v32
	;; [unrolled: 1-line block ×6, first 2 shown]
	v_mul_f32_e32 v13, 0.5, v17
	v_mul_f32_e32 v15, 0.5, v15
	;; [unrolled: 1-line block ×6, first 2 shown]
	v_cvt_f32_i32_e32 v14, v28
	v_cvt_f32_i32_e32 v16, v47
	;; [unrolled: 1-line block ×6, first 2 shown]
	v_fma_mix_f32 v13, v14, v41, v13 op_sel_hi:[0,1,0]
	v_fma_mix_f32 v14, v16, v44, v15 op_sel_hi:[0,1,0]
	;; [unrolled: 1-line block ×6, first 2 shown]
	v_add_f32_e32 v10, v10, v13
	v_add_f32_e32 v8, v8, v14
	;; [unrolled: 1-line block ×6, first 2 shown]
	s_andn2_b32 exec_lo, exec_lo, s15
	s_cbranch_execnz .LBB33_2
; %bb.3:
	s_or_b32 exec_lo, exec_lo, s15
.LBB33_4:
	s_or_b32 exec_lo, exec_lo, s9
	s_mov_b32 s1, 0
	; wave barrier
	buffer_gl0_inv
	s_mov_b32 s0, exec_lo
	v_cmpx_eq_u32_e32 0, v1
	s_cbranch_execz .LBB33_17
; %bb.5:
	v_mbcnt_lo_u32_b32 v11, -1, 0
	s_load_dwordx2 s[4:5], s[4:5], 0x38
	s_mul_i32 s0, s14, s7
	s_mul_i32 s3, s18, s8
	s_add_i32 s0, s0, s6
	v_xor_b32_e32 v1, 16, v11
	v_xor_b32_e32 v2, 8, v11
	s_add_i32 s0, s0, s3
	s_lshl_b64 s[0:1], s[0:1], 2
	v_cmp_gt_i32_e32 vcc_lo, 32, v1
	v_cndmask_b32_e32 v1, v11, v1, vcc_lo
	v_cmp_gt_i32_e32 vcc_lo, 32, v2
	v_lshlrev_b32_e32 v1, 2, v1
	v_cndmask_b32_e32 v2, v11, v2, vcc_lo
	s_waitcnt lgkmcnt(0)
	s_add_u32 s0, s4, s0
	s_addc_u32 s1, s5, s1
	ds_bpermute_b32 v3, v1, v10
	v_lshlrev_b32_e32 v2, 2, v2
	s_waitcnt lgkmcnt(0)
	v_add_f32_e32 v9, v10, v3
	v_xor_b32_e32 v3, 4, v11
	ds_bpermute_b32 v10, v2, v9
	v_cmp_gt_i32_e32 vcc_lo, 32, v3
	v_cndmask_b32_e32 v3, v11, v3, vcc_lo
	v_lshlrev_b32_e32 v3, 2, v3
	s_waitcnt lgkmcnt(0)
	v_add_f32_e32 v10, v9, v10
	v_xor_b32_e32 v9, 2, v11
	ds_bpermute_b32 v12, v3, v10
	v_cmp_gt_i32_e32 vcc_lo, 32, v9
	v_cndmask_b32_e32 v9, v11, v9, vcc_lo
	;; [unrolled: 7-line block ×3, first 2 shown]
	v_cmp_eq_u32_e32 vcc_lo, 0, v0
	v_lshlrev_b32_e32 v10, 2, v10
	s_waitcnt lgkmcnt(0)
	v_add_f32_e32 v11, v12, v13
	ds_bpermute_b32 v12, v10, v11
	s_and_saveexec_b32 s3, vcc_lo
	s_cbranch_execz .LBB33_7
; %bb.6:
	s_waitcnt lgkmcnt(0)
	v_add_f32_e32 v0, v11, v12
	v_mov_b32_e32 v11, 0
	global_store_dword v11, v0, s[0:1]
.LBB33_7:
	s_or_b32 exec_lo, exec_lo, s3
	ds_bpermute_b32 v0, v1, v8
	s_waitcnt lgkmcnt(0)
	v_add_f32_e32 v0, v8, v0
	ds_bpermute_b32 v8, v2, v0
	s_waitcnt lgkmcnt(0)
	v_add_f32_e32 v0, v0, v8
	;; [unrolled: 3-line block ×4, first 2 shown]
	ds_bpermute_b32 v8, v10, v0
	s_and_saveexec_b32 s4, vcc_lo
	s_cbranch_execz .LBB33_9
; %bb.8:
	s_mov_b32 s3, 0
	s_waitcnt lgkmcnt(0)
	v_add_f32_e32 v0, v0, v8
	s_lshl_b64 s[6:7], s[2:3], 2
	v_mov_b32_e32 v8, 0
	s_add_u32 s6, s0, s6
	s_addc_u32 s7, s1, s7
	global_store_dword v8, v0, s[6:7]
.LBB33_9:
	s_or_b32 exec_lo, exec_lo, s4
	ds_bpermute_b32 v0, v1, v7
	s_waitcnt lgkmcnt(0)
	v_add_f32_e32 v0, v7, v0
	ds_bpermute_b32 v7, v2, v0
	s_waitcnt lgkmcnt(0)
	v_add_f32_e32 v0, v0, v7
	ds_bpermute_b32 v7, v3, v0
	s_waitcnt lgkmcnt(0)
	v_add_f32_e32 v0, v0, v7
	ds_bpermute_b32 v7, v9, v0
	s_waitcnt lgkmcnt(0)
	v_add_f32_e32 v0, v0, v7
	ds_bpermute_b32 v7, v10, v0
	s_and_saveexec_b32 s3, vcc_lo
	s_cbranch_execz .LBB33_11
; %bb.10:
	s_lshl_b32 s4, s2, 1
	s_mov_b32 s5, 0
	s_waitcnt lgkmcnt(0)
	v_add_f32_e32 v0, v0, v7
	s_lshl_b64 s[4:5], s[4:5], 2
	v_mov_b32_e32 v7, 0
	s_add_u32 s4, s0, s4
	s_addc_u32 s5, s1, s5
	global_store_dword v7, v0, s[4:5]
.LBB33_11:
	s_or_b32 exec_lo, exec_lo, s3
	ds_bpermute_b32 v0, v1, v6
	s_waitcnt lgkmcnt(0)
	v_add_f32_e32 v0, v6, v0
	ds_bpermute_b32 v6, v2, v0
	s_waitcnt lgkmcnt(0)
	v_add_f32_e32 v0, v0, v6
	;; [unrolled: 3-line block ×4, first 2 shown]
	ds_bpermute_b32 v6, v10, v0
	s_and_saveexec_b32 s3, vcc_lo
	s_cbranch_execz .LBB33_13
; %bb.12:
	s_mul_i32 s4, s2, 3
	s_mov_b32 s5, 0
	s_waitcnt lgkmcnt(0)
	v_add_f32_e32 v0, v0, v6
	s_lshl_b64 s[4:5], s[4:5], 2
	v_mov_b32_e32 v6, 0
	s_add_u32 s4, s0, s4
	s_addc_u32 s5, s1, s5
	global_store_dword v6, v0, s[4:5]
.LBB33_13:
	s_or_b32 exec_lo, exec_lo, s3
	ds_bpermute_b32 v0, v1, v5
	s_waitcnt lgkmcnt(0)
	v_add_f32_e32 v0, v5, v0
	ds_bpermute_b32 v5, v2, v0
	s_waitcnt lgkmcnt(0)
	v_add_f32_e32 v0, v0, v5
	ds_bpermute_b32 v5, v3, v0
	s_waitcnt lgkmcnt(0)
	v_add_f32_e32 v0, v0, v5
	ds_bpermute_b32 v5, v9, v0
	s_waitcnt lgkmcnt(0)
	v_add_f32_e32 v0, v0, v5
	ds_bpermute_b32 v5, v10, v0
	s_and_saveexec_b32 s3, vcc_lo
	s_cbranch_execz .LBB33_15
; %bb.14:
	s_lshl_b32 s4, s2, 2
	s_mov_b32 s5, 0
	s_waitcnt lgkmcnt(0)
	v_add_f32_e32 v0, v0, v5
	s_lshl_b64 s[4:5], s[4:5], 2
	v_mov_b32_e32 v5, 0
	s_add_u32 s4, s0, s4
	s_addc_u32 s5, s1, s5
	global_store_dword v5, v0, s[4:5]
.LBB33_15:
	s_or_b32 exec_lo, exec_lo, s3
	ds_bpermute_b32 v0, v1, v4
	s_waitcnt lgkmcnt(0)
	v_add_f32_e32 v0, v4, v0
	ds_bpermute_b32 v1, v2, v0
	s_waitcnt lgkmcnt(0)
	v_add_f32_e32 v0, v0, v1
	;; [unrolled: 3-line block ×4, first 2 shown]
	ds_bpermute_b32 v1, v10, v0
	s_and_b32 exec_lo, exec_lo, vcc_lo
	s_cbranch_execz .LBB33_17
; %bb.16:
	s_mul_i32 s2, s2, 5
	s_mov_b32 s3, 0
	s_waitcnt lgkmcnt(0)
	v_add_f32_e32 v0, v0, v1
	s_lshl_b64 s[2:3], s[2:3], 2
	v_mov_b32_e32 v1, 0
	s_add_u32 s0, s0, s2
	s_addc_u32 s1, s1, s3
	global_store_dword v1, v0, s[0:1]
.LBB33_17:
	s_endpgm
	.section	.rodata,"a",@progbits
	.p2align	6, 0x0
	.amdhsa_kernel _ZL13mul_mat_vec_qIL9ggml_type3ELi6ELb0ELb0EEvPKvS2_PKi31ggml_cuda_mm_fusion_args_devicePfj15HIP_vector_typeIjLj3EEjjjS8_jjjS8_jjjj
		.amdhsa_group_segment_fixed_size 0
		.amdhsa_private_segment_fixed_size 0
		.amdhsa_kernarg_size 144
		.amdhsa_user_sgpr_count 6
		.amdhsa_user_sgpr_private_segment_buffer 1
		.amdhsa_user_sgpr_dispatch_ptr 0
		.amdhsa_user_sgpr_queue_ptr 0
		.amdhsa_user_sgpr_kernarg_segment_ptr 1
		.amdhsa_user_sgpr_dispatch_id 0
		.amdhsa_user_sgpr_flat_scratch_init 0
		.amdhsa_user_sgpr_private_segment_size 0
		.amdhsa_wavefront_size32 1
		.amdhsa_uses_dynamic_stack 0
		.amdhsa_system_sgpr_private_segment_wavefront_offset 0
		.amdhsa_system_sgpr_workgroup_id_x 1
		.amdhsa_system_sgpr_workgroup_id_y 1
		.amdhsa_system_sgpr_workgroup_id_z 1
		.amdhsa_system_sgpr_workgroup_info 0
		.amdhsa_system_vgpr_workitem_id 1
		.amdhsa_next_free_vgpr 54
		.amdhsa_next_free_sgpr 27
		.amdhsa_reserve_vcc 1
		.amdhsa_reserve_flat_scratch 0
		.amdhsa_float_round_mode_32 0
		.amdhsa_float_round_mode_16_64 0
		.amdhsa_float_denorm_mode_32 3
		.amdhsa_float_denorm_mode_16_64 3
		.amdhsa_dx10_clamp 1
		.amdhsa_ieee_mode 1
		.amdhsa_fp16_overflow 0
		.amdhsa_workgroup_processor_mode 1
		.amdhsa_memory_ordered 1
		.amdhsa_forward_progress 1
		.amdhsa_shared_vgpr_count 0
		.amdhsa_exception_fp_ieee_invalid_op 0
		.amdhsa_exception_fp_denorm_src 0
		.amdhsa_exception_fp_ieee_div_zero 0
		.amdhsa_exception_fp_ieee_overflow 0
		.amdhsa_exception_fp_ieee_underflow 0
		.amdhsa_exception_fp_ieee_inexact 0
		.amdhsa_exception_int_div_zero 0
	.end_amdhsa_kernel
	.section	.text._ZL13mul_mat_vec_qIL9ggml_type3ELi6ELb0ELb0EEvPKvS2_PKi31ggml_cuda_mm_fusion_args_devicePfj15HIP_vector_typeIjLj3EEjjjS8_jjjS8_jjjj,"axG",@progbits,_ZL13mul_mat_vec_qIL9ggml_type3ELi6ELb0ELb0EEvPKvS2_PKi31ggml_cuda_mm_fusion_args_devicePfj15HIP_vector_typeIjLj3EEjjjS8_jjjS8_jjjj,comdat
.Lfunc_end33:
	.size	_ZL13mul_mat_vec_qIL9ggml_type3ELi6ELb0ELb0EEvPKvS2_PKi31ggml_cuda_mm_fusion_args_devicePfj15HIP_vector_typeIjLj3EEjjjS8_jjjS8_jjjj, .Lfunc_end33-_ZL13mul_mat_vec_qIL9ggml_type3ELi6ELb0ELb0EEvPKvS2_PKi31ggml_cuda_mm_fusion_args_devicePfj15HIP_vector_typeIjLj3EEjjjS8_jjjS8_jjjj
                                        ; -- End function
	.set _ZL13mul_mat_vec_qIL9ggml_type3ELi6ELb0ELb0EEvPKvS2_PKi31ggml_cuda_mm_fusion_args_devicePfj15HIP_vector_typeIjLj3EEjjjS8_jjjS8_jjjj.num_vgpr, 54
	.set _ZL13mul_mat_vec_qIL9ggml_type3ELi6ELb0ELb0EEvPKvS2_PKi31ggml_cuda_mm_fusion_args_devicePfj15HIP_vector_typeIjLj3EEjjjS8_jjjS8_jjjj.num_agpr, 0
	.set _ZL13mul_mat_vec_qIL9ggml_type3ELi6ELb0ELb0EEvPKvS2_PKi31ggml_cuda_mm_fusion_args_devicePfj15HIP_vector_typeIjLj3EEjjjS8_jjjS8_jjjj.numbered_sgpr, 27
	.set _ZL13mul_mat_vec_qIL9ggml_type3ELi6ELb0ELb0EEvPKvS2_PKi31ggml_cuda_mm_fusion_args_devicePfj15HIP_vector_typeIjLj3EEjjjS8_jjjS8_jjjj.num_named_barrier, 0
	.set _ZL13mul_mat_vec_qIL9ggml_type3ELi6ELb0ELb0EEvPKvS2_PKi31ggml_cuda_mm_fusion_args_devicePfj15HIP_vector_typeIjLj3EEjjjS8_jjjS8_jjjj.private_seg_size, 0
	.set _ZL13mul_mat_vec_qIL9ggml_type3ELi6ELb0ELb0EEvPKvS2_PKi31ggml_cuda_mm_fusion_args_devicePfj15HIP_vector_typeIjLj3EEjjjS8_jjjS8_jjjj.uses_vcc, 1
	.set _ZL13mul_mat_vec_qIL9ggml_type3ELi6ELb0ELb0EEvPKvS2_PKi31ggml_cuda_mm_fusion_args_devicePfj15HIP_vector_typeIjLj3EEjjjS8_jjjS8_jjjj.uses_flat_scratch, 0
	.set _ZL13mul_mat_vec_qIL9ggml_type3ELi6ELb0ELb0EEvPKvS2_PKi31ggml_cuda_mm_fusion_args_devicePfj15HIP_vector_typeIjLj3EEjjjS8_jjjS8_jjjj.has_dyn_sized_stack, 0
	.set _ZL13mul_mat_vec_qIL9ggml_type3ELi6ELb0ELb0EEvPKvS2_PKi31ggml_cuda_mm_fusion_args_devicePfj15HIP_vector_typeIjLj3EEjjjS8_jjjS8_jjjj.has_recursion, 0
	.set _ZL13mul_mat_vec_qIL9ggml_type3ELi6ELb0ELb0EEvPKvS2_PKi31ggml_cuda_mm_fusion_args_devicePfj15HIP_vector_typeIjLj3EEjjjS8_jjjS8_jjjj.has_indirect_call, 0
	.section	.AMDGPU.csdata,"",@progbits
; Kernel info:
; codeLenInByte = 1988
; TotalNumSgprs: 29
; NumVgprs: 54
; ScratchSize: 0
; MemoryBound: 0
; FloatMode: 240
; IeeeMode: 1
; LDSByteSize: 0 bytes/workgroup (compile time only)
; SGPRBlocks: 0
; VGPRBlocks: 6
; NumSGPRsForWavesPerEU: 29
; NumVGPRsForWavesPerEU: 54
; Occupancy: 16
; WaveLimiterHint : 0
; COMPUTE_PGM_RSRC2:SCRATCH_EN: 0
; COMPUTE_PGM_RSRC2:USER_SGPR: 6
; COMPUTE_PGM_RSRC2:TRAP_HANDLER: 0
; COMPUTE_PGM_RSRC2:TGID_X_EN: 1
; COMPUTE_PGM_RSRC2:TGID_Y_EN: 1
; COMPUTE_PGM_RSRC2:TGID_Z_EN: 1
; COMPUTE_PGM_RSRC2:TIDIG_COMP_CNT: 1
	.section	.text._ZL13mul_mat_vec_qIL9ggml_type3ELi7ELb0ELb0EEvPKvS2_PKi31ggml_cuda_mm_fusion_args_devicePfj15HIP_vector_typeIjLj3EEjjjS8_jjjS8_jjjj,"axG",@progbits,_ZL13mul_mat_vec_qIL9ggml_type3ELi7ELb0ELb0EEvPKvS2_PKi31ggml_cuda_mm_fusion_args_devicePfj15HIP_vector_typeIjLj3EEjjjS8_jjjS8_jjjj,comdat
	.globl	_ZL13mul_mat_vec_qIL9ggml_type3ELi7ELb0ELb0EEvPKvS2_PKi31ggml_cuda_mm_fusion_args_devicePfj15HIP_vector_typeIjLj3EEjjjS8_jjjS8_jjjj ; -- Begin function _ZL13mul_mat_vec_qIL9ggml_type3ELi7ELb0ELb0EEvPKvS2_PKi31ggml_cuda_mm_fusion_args_devicePfj15HIP_vector_typeIjLj3EEjjjS8_jjjS8_jjjj
	.p2align	8
	.type	_ZL13mul_mat_vec_qIL9ggml_type3ELi7ELb0ELb0EEvPKvS2_PKi31ggml_cuda_mm_fusion_args_devicePfj15HIP_vector_typeIjLj3EEjjjS8_jjjS8_jjjj,@function
_ZL13mul_mat_vec_qIL9ggml_type3ELi7ELb0ELb0EEvPKvS2_PKi31ggml_cuda_mm_fusion_args_devicePfj15HIP_vector_typeIjLj3EEjjjS8_jjjS8_jjjj: ; @_ZL13mul_mat_vec_qIL9ggml_type3ELi7ELb0ELb0EEvPKvS2_PKi31ggml_cuda_mm_fusion_args_devicePfj15HIP_vector_typeIjLj3EEjjjS8_jjjS8_jjjj
; %bb.0:
	s_clause 0x5
	s_load_dwordx4 s[16:19], s[4:5], 0x80
	s_load_dword s9, s[4:5], 0x40
	s_load_dwordx4 s[0:3], s[4:5], 0x50
	s_load_dword s24, s[4:5], 0x60
	;; [unrolled: 2-line block ×3, first 2 shown]
	v_lshl_or_b32 v2, v1, 5, v0
	v_mov_b32_e32 v4, 0
	v_mov_b32_e32 v5, 0
	;; [unrolled: 1-line block ×4, first 2 shown]
	v_lshrrev_b16 v3, 1, v2
	v_mov_b32_e32 v8, 0
	v_mov_b32_e32 v9, 0
	;; [unrolled: 1-line block ×3, first 2 shown]
	v_and_b32_e32 v10, 0xffff, v3
	s_waitcnt lgkmcnt(0)
	s_lshr_b32 s19, s9, 5
	s_mov_b32 s9, exec_lo
	v_cmpx_gt_u32_e64 s19, v10
	s_cbranch_execz .LBB34_4
; %bb.1:
	s_load_dwordx4 s[20:23], s[4:5], 0x0
	s_mul_i32 s10, s17, s8
	s_mul_i32 s11, s13, s7
	v_lshlrev_b32_e32 v3, 1, v0
	s_mul_hi_u32 s17, s10, 36
	s_mul_i32 s10, s10, 36
	v_lshrrev_b32_e32 v2, 1, v2
	s_mul_hi_u32 s26, s11, 36
	s_mul_i32 s11, s11, 36
	s_mul_hi_u32 s3, s3, s7
	s_mul_hi_u32 s15, s15, s8
	v_and_b32_e32 v5, 1, v0
	v_and_b32_e32 v6, 2, v3
	s_mul_i32 s13, s0, s6
	v_mov_b32_e32 v4, 0
	v_mov_b32_e32 v7, 0
	v_lshlrev_b32_e32 v12, 3, v5
	v_lshlrev_b32_e32 v13, 2, v6
	v_mov_b32_e32 v5, 0
	v_mov_b32_e32 v6, 0
	s_waitcnt lgkmcnt(0)
	s_add_u32 s10, s22, s10
	s_addc_u32 s17, s23, s17
	s_add_u32 s10, s10, s11
	s_addc_u32 s11, s17, s26
	s_add_i32 s17, s7, s3
	s_add_i32 s15, s8, s15
	s_lshr_b32 s17, s17, s24
	v_mad_u64_u32 v[2:3], null, v2, 36, s[10:11]
	s_lshr_b32 s15, s15, s25
	s_mul_i32 s12, s17, s12
	v_mov_b32_e32 v8, 0
	v_mov_b32_e32 v9, 0
	;; [unrolled: 1-line block ×3, first 2 shown]
	s_mul_i32 s15, s15, s16
	s_add_i32 s12, s12, s13
	s_mul_i32 s0, s1, 3
	s_lshl_b32 s3, s1, 1
	s_add_i32 s12, s15, s12
	s_lshl_b32 s13, s1, 2
	s_mul_i32 s15, s1, 5
	s_mul_i32 s17, s1, 6
	s_mov_b32 s16, 0
.LBB34_2:                               ; =>This Inner Loop Header: Depth=1
	v_add_nc_u32_e32 v16, s12, v10
	v_add_nc_u32_e32 v20, s1, v10
	;; [unrolled: 1-line block ×5, first 2 shown]
	v_mad_i64_i32 v[16:17], null, v16, 20, s[20:21]
	v_mad_u64_u32 v[20:21], null, v20, 36, s[10:11]
	v_mad_u64_u32 v[22:23], null, v22, 36, s[10:11]
	v_add_nc_u32_e32 v28, s15, v10
	v_add_co_u32 v14, vcc_lo, v2, v12
	v_mad_u64_u32 v[24:25], null, v24, 36, s[10:11]
	v_add_nc_u32_e32 v30, s17, v10
	v_add_co_ci_u32_e64 v15, null, 0, v3, vcc_lo
	v_mad_u64_u32 v[26:27], null, v26, 36, s[10:11]
	v_add_co_u32 v32, vcc_lo, v16, v13
	v_mad_u64_u32 v[28:29], null, v28, 36, s[10:11]
	v_add_co_ci_u32_e64 v33, null, 0, v17, vcc_lo
	v_add_co_u32 v34, vcc_lo, v20, v13
	v_mad_u64_u32 v[30:31], null, v30, 36, s[10:11]
	v_add_co_ci_u32_e64 v35, null, 0, v21, vcc_lo
	v_add_co_u32 v36, vcc_lo, v22, v13
	v_add_co_ci_u32_e64 v37, null, 0, v23, vcc_lo
	v_add_co_u32 v38, vcc_lo, v24, v13
	;; [unrolled: 2-line block ×5, first 2 shown]
	s_clause 0x2
	global_load_dword v48, v[2:3], off
	global_load_dwordx2 v[18:19], v[14:15], off offset:4
	global_load_dwordx2 v[14:15], v[14:15], off offset:20
	v_add_co_ci_u32_e64 v45, null, 0, v31, vcc_lo
	s_clause 0x1
	global_load_dwordx2 v[32:33], v[32:33], off offset:4
	global_load_dword v49, v[16:17], off
	s_clause 0x11
	global_load_dwordx2 v[16:17], v[34:35], off offset:4
	global_load_dwordx2 v[34:35], v[34:35], off offset:20
	global_load_dword v50, v[22:23], off
	global_load_dword v51, v[20:21], off
	global_load_dwordx2 v[20:21], v[36:37], off offset:4
	global_load_dwordx2 v[22:23], v[36:37], off offset:20
	global_load_dwordx2 v[36:37], v[38:39], off offset:4
	global_load_dword v52, v[24:25], off
	global_load_dwordx2 v[24:25], v[38:39], off offset:20
	global_load_dwordx2 v[38:39], v[40:41], off offset:4
	global_load_dwordx2 v[40:41], v[40:41], off offset:20
	;; [unrolled: 4-line block ×3, first 2 shown]
	global_load_dwordx2 v[42:43], v[42:43], off offset:20
	global_load_dword v30, v[30:31], off
	global_load_dword v28, v[28:29], off
	v_mov_b32_e32 v29, 0
	v_mov_b32_e32 v31, 0
	;; [unrolled: 1-line block ×7, first 2 shown]
	v_add_nc_u32_e32 v10, 16, v10
	v_add_co_u32 v2, vcc_lo, 0x240, v2
	v_add_co_ci_u32_e64 v3, null, 0, v3, vcc_lo
	v_cmp_le_u32_e32 vcc_lo, s19, v10
	s_or_b32 s16, vcc_lo, s16
	s_waitcnt vmcnt(19)
	v_and_b32_e32 v59, 0xf0f0f0f, v32
	v_lshrrev_b32_e32 v32, 4, v32
	v_and_b32_e32 v60, 0xf0f0f0f, v33
	v_lshrrev_b32_e32 v33, 4, v33
	s_waitcnt vmcnt(15)
	v_pk_mul_f16 v50, v49, v50
	v_dot4c_i32_i8 v31, v59, v16
	v_and_b32_e32 v32, 0xf0f0f0f, v32
	s_waitcnt vmcnt(13)
	v_dot4c_i32_i8 v54, v59, v20
	s_waitcnt vmcnt(11)
	v_dot4c_i32_i8 v55, v59, v36
	v_pk_mul_f16 v51, v49, v51
	s_waitcnt vmcnt(10)
	v_pk_mul_f16 v52, v49, v52
	s_waitcnt vmcnt(8)
	v_dot4c_i32_i8 v56, v59, v38
	v_dot4c_i32_i8 v31, v32, v34
	;; [unrolled: 1-line block ×3, first 2 shown]
	s_waitcnt vmcnt(5)
	v_dot4c_i32_i8 v58, v59, v26
	v_dot4c_i32_i8 v29, v59, v18
	s_waitcnt vmcnt(3)
	v_dot4c_i32_i8 v57, v59, v46
	v_dot4c_i32_i8 v55, v32, v24
	;; [unrolled: 1-line block ×5, first 2 shown]
	s_waitcnt vmcnt(2)
	v_dot4c_i32_i8 v57, v32, v42
	v_pk_mul_f16 v48, v49, v48
	v_pk_mul_f16 v53, v49, v53
	s_waitcnt vmcnt(0)
	v_pk_mul_f16 v28, v49, v28
	v_pk_mul_f16 v30, v49, v30
	v_and_b32_e32 v33, 0xf0f0f0f, v33
	v_dot4c_i32_i8 v29, v60, v19
	v_dot4c_i32_i8 v31, v60, v17
	;; [unrolled: 1-line block ×7, first 2 shown]
	v_cvt_f32_f16_sdwa v18, v48 dst_sel:DWORD dst_unused:UNUSED_PAD src0_sel:WORD_1
	v_cvt_f32_f16_sdwa v16, v51 dst_sel:DWORD dst_unused:UNUSED_PAD src0_sel:WORD_1
	;; [unrolled: 1-line block ×7, first 2 shown]
	v_dot4c_i32_i8 v29, v33, v15
	v_dot4c_i32_i8 v31, v33, v35
	;; [unrolled: 1-line block ×7, first 2 shown]
	v_mul_f32_e32 v18, 0.5, v18
	v_mul_f32_e32 v16, 0.5, v16
	;; [unrolled: 1-line block ×7, first 2 shown]
	v_cvt_f32_i32_e32 v15, v29
	v_cvt_f32_i32_e32 v21, v31
	;; [unrolled: 1-line block ×7, first 2 shown]
	v_fma_mix_f32 v15, v15, v48, v18 op_sel_hi:[0,1,0]
	v_fma_mix_f32 v16, v21, v51, v16 op_sel_hi:[0,1,0]
	;; [unrolled: 1-line block ×7, first 2 shown]
	v_add_f32_e32 v11, v11, v15
	v_add_f32_e32 v9, v9, v16
	;; [unrolled: 1-line block ×7, first 2 shown]
	s_andn2_b32 exec_lo, exec_lo, s16
	s_cbranch_execnz .LBB34_2
; %bb.3:
	s_or_b32 exec_lo, exec_lo, s16
.LBB34_4:
	s_or_b32 exec_lo, exec_lo, s9
	s_mov_b32 s1, 0
	; wave barrier
	buffer_gl0_inv
	s_mov_b32 s0, exec_lo
	v_cmpx_eq_u32_e32 0, v1
	s_cbranch_execz .LBB34_19
; %bb.5:
	v_mbcnt_lo_u32_b32 v12, -1, 0
	s_load_dwordx2 s[4:5], s[4:5], 0x38
	s_mul_i32 s0, s14, s7
	s_mul_i32 s3, s18, s8
	s_add_i32 s0, s0, s6
	v_xor_b32_e32 v1, 16, v12
	v_xor_b32_e32 v2, 8, v12
	s_add_i32 s0, s0, s3
	s_lshl_b64 s[0:1], s[0:1], 2
	v_cmp_gt_i32_e32 vcc_lo, 32, v1
	v_cndmask_b32_e32 v1, v12, v1, vcc_lo
	v_cmp_gt_i32_e32 vcc_lo, 32, v2
	v_lshlrev_b32_e32 v1, 2, v1
	v_cndmask_b32_e32 v2, v12, v2, vcc_lo
	s_waitcnt lgkmcnt(0)
	s_add_u32 s0, s4, s0
	s_addc_u32 s1, s5, s1
	ds_bpermute_b32 v3, v1, v11
	v_lshlrev_b32_e32 v2, 2, v2
	s_waitcnt lgkmcnt(0)
	v_add_f32_e32 v10, v11, v3
	v_xor_b32_e32 v3, 4, v12
	ds_bpermute_b32 v11, v2, v10
	v_cmp_gt_i32_e32 vcc_lo, 32, v3
	v_cndmask_b32_e32 v3, v12, v3, vcc_lo
	v_lshlrev_b32_e32 v3, 2, v3
	s_waitcnt lgkmcnt(0)
	v_add_f32_e32 v11, v10, v11
	v_xor_b32_e32 v10, 2, v12
	ds_bpermute_b32 v13, v3, v11
	v_cmp_gt_i32_e32 vcc_lo, 32, v10
	v_cndmask_b32_e32 v10, v12, v10, vcc_lo
	;; [unrolled: 7-line block ×3, first 2 shown]
	v_cmp_eq_u32_e32 vcc_lo, 0, v0
	v_lshlrev_b32_e32 v11, 2, v11
	s_waitcnt lgkmcnt(0)
	v_add_f32_e32 v12, v13, v14
	ds_bpermute_b32 v13, v11, v12
	s_and_saveexec_b32 s3, vcc_lo
	s_cbranch_execz .LBB34_7
; %bb.6:
	s_waitcnt lgkmcnt(0)
	v_add_f32_e32 v0, v12, v13
	v_mov_b32_e32 v12, 0
	global_store_dword v12, v0, s[0:1]
.LBB34_7:
	s_or_b32 exec_lo, exec_lo, s3
	ds_bpermute_b32 v0, v1, v9
	s_waitcnt lgkmcnt(0)
	v_add_f32_e32 v0, v9, v0
	ds_bpermute_b32 v9, v2, v0
	s_waitcnt lgkmcnt(0)
	v_add_f32_e32 v0, v0, v9
	;; [unrolled: 3-line block ×4, first 2 shown]
	ds_bpermute_b32 v9, v11, v0
	s_and_saveexec_b32 s4, vcc_lo
	s_cbranch_execz .LBB34_9
; %bb.8:
	s_mov_b32 s3, 0
	s_waitcnt lgkmcnt(0)
	v_add_f32_e32 v0, v0, v9
	s_lshl_b64 s[6:7], s[2:3], 2
	v_mov_b32_e32 v9, 0
	s_add_u32 s6, s0, s6
	s_addc_u32 s7, s1, s7
	global_store_dword v9, v0, s[6:7]
.LBB34_9:
	s_or_b32 exec_lo, exec_lo, s4
	ds_bpermute_b32 v0, v1, v8
	s_waitcnt lgkmcnt(0)
	v_add_f32_e32 v0, v8, v0
	ds_bpermute_b32 v8, v2, v0
	s_waitcnt lgkmcnt(0)
	v_add_f32_e32 v0, v0, v8
	;; [unrolled: 3-line block ×4, first 2 shown]
	ds_bpermute_b32 v8, v11, v0
	s_and_saveexec_b32 s3, vcc_lo
	s_cbranch_execz .LBB34_11
; %bb.10:
	s_lshl_b32 s4, s2, 1
	s_mov_b32 s5, 0
	s_waitcnt lgkmcnt(0)
	v_add_f32_e32 v0, v0, v8
	s_lshl_b64 s[4:5], s[4:5], 2
	v_mov_b32_e32 v8, 0
	s_add_u32 s4, s0, s4
	s_addc_u32 s5, s1, s5
	global_store_dword v8, v0, s[4:5]
.LBB34_11:
	s_or_b32 exec_lo, exec_lo, s3
	ds_bpermute_b32 v0, v1, v7
	s_waitcnt lgkmcnt(0)
	v_add_f32_e32 v0, v7, v0
	ds_bpermute_b32 v7, v2, v0
	s_waitcnt lgkmcnt(0)
	v_add_f32_e32 v0, v0, v7
	;; [unrolled: 3-line block ×4, first 2 shown]
	ds_bpermute_b32 v7, v11, v0
	s_and_saveexec_b32 s3, vcc_lo
	s_cbranch_execz .LBB34_13
; %bb.12:
	s_mul_i32 s4, s2, 3
	s_mov_b32 s5, 0
	s_waitcnt lgkmcnt(0)
	v_add_f32_e32 v0, v0, v7
	s_lshl_b64 s[4:5], s[4:5], 2
	v_mov_b32_e32 v7, 0
	s_add_u32 s4, s0, s4
	s_addc_u32 s5, s1, s5
	global_store_dword v7, v0, s[4:5]
.LBB34_13:
	s_or_b32 exec_lo, exec_lo, s3
	ds_bpermute_b32 v0, v1, v6
	s_waitcnt lgkmcnt(0)
	v_add_f32_e32 v0, v6, v0
	ds_bpermute_b32 v6, v2, v0
	s_waitcnt lgkmcnt(0)
	v_add_f32_e32 v0, v0, v6
	;; [unrolled: 3-line block ×4, first 2 shown]
	ds_bpermute_b32 v6, v11, v0
	s_and_saveexec_b32 s3, vcc_lo
	s_cbranch_execz .LBB34_15
; %bb.14:
	s_lshl_b32 s4, s2, 2
	s_mov_b32 s5, 0
	s_waitcnt lgkmcnt(0)
	v_add_f32_e32 v0, v0, v6
	s_lshl_b64 s[4:5], s[4:5], 2
	v_mov_b32_e32 v6, 0
	s_add_u32 s4, s0, s4
	s_addc_u32 s5, s1, s5
	global_store_dword v6, v0, s[4:5]
.LBB34_15:
	s_or_b32 exec_lo, exec_lo, s3
	ds_bpermute_b32 v0, v1, v5
	s_waitcnt lgkmcnt(0)
	v_add_f32_e32 v0, v5, v0
	ds_bpermute_b32 v5, v2, v0
	s_waitcnt lgkmcnt(0)
	v_add_f32_e32 v0, v0, v5
	;; [unrolled: 3-line block ×4, first 2 shown]
	ds_bpermute_b32 v5, v11, v0
	s_and_saveexec_b32 s3, vcc_lo
	s_cbranch_execz .LBB34_17
; %bb.16:
	s_mul_i32 s4, s2, 5
	s_mov_b32 s5, 0
	s_waitcnt lgkmcnt(0)
	v_add_f32_e32 v0, v0, v5
	s_lshl_b64 s[4:5], s[4:5], 2
	v_mov_b32_e32 v5, 0
	s_add_u32 s4, s0, s4
	s_addc_u32 s5, s1, s5
	global_store_dword v5, v0, s[4:5]
.LBB34_17:
	s_or_b32 exec_lo, exec_lo, s3
	ds_bpermute_b32 v0, v1, v4
	s_waitcnt lgkmcnt(0)
	v_add_f32_e32 v0, v4, v0
	ds_bpermute_b32 v1, v2, v0
	s_waitcnt lgkmcnt(0)
	v_add_f32_e32 v0, v0, v1
	;; [unrolled: 3-line block ×4, first 2 shown]
	ds_bpermute_b32 v1, v11, v0
	s_and_b32 exec_lo, exec_lo, vcc_lo
	s_cbranch_execz .LBB34_19
; %bb.18:
	s_mul_i32 s2, s2, 6
	s_mov_b32 s3, 0
	s_waitcnt lgkmcnt(0)
	v_add_f32_e32 v0, v0, v1
	s_lshl_b64 s[2:3], s[2:3], 2
	v_mov_b32_e32 v1, 0
	s_add_u32 s0, s0, s2
	s_addc_u32 s1, s1, s3
	global_store_dword v1, v0, s[0:1]
.LBB34_19:
	s_endpgm
	.section	.rodata,"a",@progbits
	.p2align	6, 0x0
	.amdhsa_kernel _ZL13mul_mat_vec_qIL9ggml_type3ELi7ELb0ELb0EEvPKvS2_PKi31ggml_cuda_mm_fusion_args_devicePfj15HIP_vector_typeIjLj3EEjjjS8_jjjS8_jjjj
		.amdhsa_group_segment_fixed_size 0
		.amdhsa_private_segment_fixed_size 0
		.amdhsa_kernarg_size 144
		.amdhsa_user_sgpr_count 6
		.amdhsa_user_sgpr_private_segment_buffer 1
		.amdhsa_user_sgpr_dispatch_ptr 0
		.amdhsa_user_sgpr_queue_ptr 0
		.amdhsa_user_sgpr_kernarg_segment_ptr 1
		.amdhsa_user_sgpr_dispatch_id 0
		.amdhsa_user_sgpr_flat_scratch_init 0
		.amdhsa_user_sgpr_private_segment_size 0
		.amdhsa_wavefront_size32 1
		.amdhsa_uses_dynamic_stack 0
		.amdhsa_system_sgpr_private_segment_wavefront_offset 0
		.amdhsa_system_sgpr_workgroup_id_x 1
		.amdhsa_system_sgpr_workgroup_id_y 1
		.amdhsa_system_sgpr_workgroup_id_z 1
		.amdhsa_system_sgpr_workgroup_info 0
		.amdhsa_system_vgpr_workitem_id 1
		.amdhsa_next_free_vgpr 61
		.amdhsa_next_free_sgpr 27
		.amdhsa_reserve_vcc 1
		.amdhsa_reserve_flat_scratch 0
		.amdhsa_float_round_mode_32 0
		.amdhsa_float_round_mode_16_64 0
		.amdhsa_float_denorm_mode_32 3
		.amdhsa_float_denorm_mode_16_64 3
		.amdhsa_dx10_clamp 1
		.amdhsa_ieee_mode 1
		.amdhsa_fp16_overflow 0
		.amdhsa_workgroup_processor_mode 1
		.amdhsa_memory_ordered 1
		.amdhsa_forward_progress 1
		.amdhsa_shared_vgpr_count 0
		.amdhsa_exception_fp_ieee_invalid_op 0
		.amdhsa_exception_fp_denorm_src 0
		.amdhsa_exception_fp_ieee_div_zero 0
		.amdhsa_exception_fp_ieee_overflow 0
		.amdhsa_exception_fp_ieee_underflow 0
		.amdhsa_exception_fp_ieee_inexact 0
		.amdhsa_exception_int_div_zero 0
	.end_amdhsa_kernel
	.section	.text._ZL13mul_mat_vec_qIL9ggml_type3ELi7ELb0ELb0EEvPKvS2_PKi31ggml_cuda_mm_fusion_args_devicePfj15HIP_vector_typeIjLj3EEjjjS8_jjjS8_jjjj,"axG",@progbits,_ZL13mul_mat_vec_qIL9ggml_type3ELi7ELb0ELb0EEvPKvS2_PKi31ggml_cuda_mm_fusion_args_devicePfj15HIP_vector_typeIjLj3EEjjjS8_jjjS8_jjjj,comdat
.Lfunc_end34:
	.size	_ZL13mul_mat_vec_qIL9ggml_type3ELi7ELb0ELb0EEvPKvS2_PKi31ggml_cuda_mm_fusion_args_devicePfj15HIP_vector_typeIjLj3EEjjjS8_jjjS8_jjjj, .Lfunc_end34-_ZL13mul_mat_vec_qIL9ggml_type3ELi7ELb0ELb0EEvPKvS2_PKi31ggml_cuda_mm_fusion_args_devicePfj15HIP_vector_typeIjLj3EEjjjS8_jjjS8_jjjj
                                        ; -- End function
	.set _ZL13mul_mat_vec_qIL9ggml_type3ELi7ELb0ELb0EEvPKvS2_PKi31ggml_cuda_mm_fusion_args_devicePfj15HIP_vector_typeIjLj3EEjjjS8_jjjS8_jjjj.num_vgpr, 61
	.set _ZL13mul_mat_vec_qIL9ggml_type3ELi7ELb0ELb0EEvPKvS2_PKi31ggml_cuda_mm_fusion_args_devicePfj15HIP_vector_typeIjLj3EEjjjS8_jjjS8_jjjj.num_agpr, 0
	.set _ZL13mul_mat_vec_qIL9ggml_type3ELi7ELb0ELb0EEvPKvS2_PKi31ggml_cuda_mm_fusion_args_devicePfj15HIP_vector_typeIjLj3EEjjjS8_jjjS8_jjjj.numbered_sgpr, 27
	.set _ZL13mul_mat_vec_qIL9ggml_type3ELi7ELb0ELb0EEvPKvS2_PKi31ggml_cuda_mm_fusion_args_devicePfj15HIP_vector_typeIjLj3EEjjjS8_jjjS8_jjjj.num_named_barrier, 0
	.set _ZL13mul_mat_vec_qIL9ggml_type3ELi7ELb0ELb0EEvPKvS2_PKi31ggml_cuda_mm_fusion_args_devicePfj15HIP_vector_typeIjLj3EEjjjS8_jjjS8_jjjj.private_seg_size, 0
	.set _ZL13mul_mat_vec_qIL9ggml_type3ELi7ELb0ELb0EEvPKvS2_PKi31ggml_cuda_mm_fusion_args_devicePfj15HIP_vector_typeIjLj3EEjjjS8_jjjS8_jjjj.uses_vcc, 1
	.set _ZL13mul_mat_vec_qIL9ggml_type3ELi7ELb0ELb0EEvPKvS2_PKi31ggml_cuda_mm_fusion_args_devicePfj15HIP_vector_typeIjLj3EEjjjS8_jjjS8_jjjj.uses_flat_scratch, 0
	.set _ZL13mul_mat_vec_qIL9ggml_type3ELi7ELb0ELb0EEvPKvS2_PKi31ggml_cuda_mm_fusion_args_devicePfj15HIP_vector_typeIjLj3EEjjjS8_jjjS8_jjjj.has_dyn_sized_stack, 0
	.set _ZL13mul_mat_vec_qIL9ggml_type3ELi7ELb0ELb0EEvPKvS2_PKi31ggml_cuda_mm_fusion_args_devicePfj15HIP_vector_typeIjLj3EEjjjS8_jjjS8_jjjj.has_recursion, 0
	.set _ZL13mul_mat_vec_qIL9ggml_type3ELi7ELb0ELb0EEvPKvS2_PKi31ggml_cuda_mm_fusion_args_devicePfj15HIP_vector_typeIjLj3EEjjjS8_jjjS8_jjjj.has_indirect_call, 0
	.section	.AMDGPU.csdata,"",@progbits
; Kernel info:
; codeLenInByte = 2236
; TotalNumSgprs: 29
; NumVgprs: 61
; ScratchSize: 0
; MemoryBound: 0
; FloatMode: 240
; IeeeMode: 1
; LDSByteSize: 0 bytes/workgroup (compile time only)
; SGPRBlocks: 0
; VGPRBlocks: 7
; NumSGPRsForWavesPerEU: 29
; NumVGPRsForWavesPerEU: 61
; Occupancy: 16
; WaveLimiterHint : 0
; COMPUTE_PGM_RSRC2:SCRATCH_EN: 0
; COMPUTE_PGM_RSRC2:USER_SGPR: 6
; COMPUTE_PGM_RSRC2:TRAP_HANDLER: 0
; COMPUTE_PGM_RSRC2:TGID_X_EN: 1
; COMPUTE_PGM_RSRC2:TGID_Y_EN: 1
; COMPUTE_PGM_RSRC2:TGID_Z_EN: 1
; COMPUTE_PGM_RSRC2:TIDIG_COMP_CNT: 1
	.section	.text._ZL13mul_mat_vec_qIL9ggml_type3ELi8ELb0ELb0EEvPKvS2_PKi31ggml_cuda_mm_fusion_args_devicePfj15HIP_vector_typeIjLj3EEjjjS8_jjjS8_jjjj,"axG",@progbits,_ZL13mul_mat_vec_qIL9ggml_type3ELi8ELb0ELb0EEvPKvS2_PKi31ggml_cuda_mm_fusion_args_devicePfj15HIP_vector_typeIjLj3EEjjjS8_jjjS8_jjjj,comdat
	.globl	_ZL13mul_mat_vec_qIL9ggml_type3ELi8ELb0ELb0EEvPKvS2_PKi31ggml_cuda_mm_fusion_args_devicePfj15HIP_vector_typeIjLj3EEjjjS8_jjjS8_jjjj ; -- Begin function _ZL13mul_mat_vec_qIL9ggml_type3ELi8ELb0ELb0EEvPKvS2_PKi31ggml_cuda_mm_fusion_args_devicePfj15HIP_vector_typeIjLj3EEjjjS8_jjjS8_jjjj
	.p2align	8
	.type	_ZL13mul_mat_vec_qIL9ggml_type3ELi8ELb0ELb0EEvPKvS2_PKi31ggml_cuda_mm_fusion_args_devicePfj15HIP_vector_typeIjLj3EEjjjS8_jjjS8_jjjj,@function
_ZL13mul_mat_vec_qIL9ggml_type3ELi8ELb0ELb0EEvPKvS2_PKi31ggml_cuda_mm_fusion_args_devicePfj15HIP_vector_typeIjLj3EEjjjS8_jjjS8_jjjj: ; @_ZL13mul_mat_vec_qIL9ggml_type3ELi8ELb0ELb0EEvPKvS2_PKi31ggml_cuda_mm_fusion_args_devicePfj15HIP_vector_typeIjLj3EEjjjS8_jjjS8_jjjj
; %bb.0:
	s_clause 0x5
	s_load_dwordx4 s[16:19], s[4:5], 0x80
	s_load_dword s9, s[4:5], 0x40
	s_load_dwordx4 s[0:3], s[4:5], 0x50
	s_load_dword s24, s[4:5], 0x60
	;; [unrolled: 2-line block ×3, first 2 shown]
	v_lshl_or_b32 v2, v1, 5, v0
	v_mov_b32_e32 v4, 0
	v_mov_b32_e32 v5, 0
	;; [unrolled: 1-line block ×4, first 2 shown]
	v_lshrrev_b16 v3, 1, v2
	v_mov_b32_e32 v8, 0
	v_mov_b32_e32 v9, 0
	v_mov_b32_e32 v10, 0
	v_mov_b32_e32 v12, 0
	v_and_b32_e32 v11, 0xffff, v3
	s_waitcnt lgkmcnt(0)
	s_lshr_b32 s19, s9, 5
	s_mov_b32 s9, exec_lo
	v_cmpx_gt_u32_e64 s19, v11
	s_cbranch_execz .LBB35_4
; %bb.1:
	s_load_dwordx4 s[20:23], s[4:5], 0x0
	s_mul_i32 s10, s17, s8
	s_mul_i32 s11, s13, s7
	v_lshlrev_b32_e32 v3, 1, v0
	s_mul_hi_u32 s17, s10, 36
	s_mul_i32 s10, s10, 36
	v_lshrrev_b32_e32 v2, 1, v2
	s_mul_hi_u32 s26, s11, 36
	s_mul_i32 s11, s11, 36
	s_mul_hi_u32 s3, s3, s7
	s_mul_hi_u32 s15, s15, s8
	v_and_b32_e32 v5, 1, v0
	v_and_b32_e32 v6, 2, v3
	s_mul_i32 s13, s0, s6
	v_mov_b32_e32 v4, 0
	v_mov_b32_e32 v7, 0
	v_lshlrev_b32_e32 v13, 3, v5
	v_lshlrev_b32_e32 v14, 2, v6
	v_mov_b32_e32 v5, 0
	v_mov_b32_e32 v6, 0
	s_waitcnt lgkmcnt(0)
	s_add_u32 s10, s22, s10
	s_addc_u32 s17, s23, s17
	s_add_u32 s10, s10, s11
	s_addc_u32 s11, s17, s26
	s_add_i32 s17, s7, s3
	s_add_i32 s15, s8, s15
	s_lshr_b32 s17, s17, s24
	v_mad_u64_u32 v[2:3], null, v2, 36, s[10:11]
	s_lshr_b32 s15, s15, s25
	s_mul_i32 s12, s17, s12
	v_mov_b32_e32 v8, 0
	v_mov_b32_e32 v9, 0
	;; [unrolled: 1-line block ×4, first 2 shown]
	s_mul_i32 s15, s15, s16
	s_add_i32 s12, s12, s13
	s_mul_i32 s0, s1, 3
	s_lshl_b32 s3, s1, 1
	s_add_i32 s12, s15, s12
	s_lshl_b32 s13, s1, 2
	s_mul_i32 s15, s1, 5
	s_mul_i32 s16, s1, 6
	;; [unrolled: 1-line block ×3, first 2 shown]
	s_mov_b32 s17, 0
.LBB35_2:                               ; =>This Inner Loop Header: Depth=1
	v_add_nc_u32_e32 v17, s12, v11
	v_add_nc_u32_e32 v21, s1, v11
	;; [unrolled: 1-line block ×3, first 2 shown]
	v_add_co_u32 v15, vcc_lo, v2, v13
	v_mad_i64_i32 v[17:18], null, v17, 20, s[20:21]
	v_add_nc_u32_e32 v25, s0, v11
	v_mad_u64_u32 v[21:22], null, v21, 36, s[10:11]
	v_add_co_ci_u32_e64 v16, null, 0, v3, vcc_lo
	v_add_nc_u32_e32 v27, s13, v11
	v_mad_u64_u32 v[23:24], null, v23, 36, s[10:11]
	v_add_nc_u32_e32 v29, s15, v11
	v_mad_u64_u32 v[25:26], null, v25, 36, s[10:11]
	v_add_nc_u32_e32 v31, s16, v11
	s_clause 0x2
	global_load_dword v55, v[2:3], off
	global_load_dwordx2 v[19:20], v[15:16], off offset:4
	global_load_dwordx2 v[15:16], v[15:16], off offset:20
	v_mad_u64_u32 v[27:28], null, v27, 36, s[10:11]
	v_add_co_u32 v35, vcc_lo, v17, v14
	v_add_nc_u32_e32 v33, s22, v11
	v_mad_u64_u32 v[29:30], null, v29, 36, s[10:11]
	v_add_co_ci_u32_e64 v36, null, 0, v18, vcc_lo
	v_add_co_u32 v37, vcc_lo, v21, v14
	v_mad_u64_u32 v[31:32], null, v31, 36, s[10:11]
	v_add_co_ci_u32_e64 v38, null, 0, v22, vcc_lo
	v_add_co_u32 v39, vcc_lo, v23, v14
	;; [unrolled: 3-line block ×3, first 2 shown]
	v_add_co_ci_u32_e64 v42, null, 0, v26, vcc_lo
	v_add_co_u32 v43, vcc_lo, v27, v14
	v_add_co_ci_u32_e64 v44, null, 0, v28, vcc_lo
	v_add_co_u32 v45, vcc_lo, v29, v14
	;; [unrolled: 2-line block ×4, first 2 shown]
	v_add_co_ci_u32_e64 v50, null, 0, v34, vcc_lo
	global_load_dwordx2 v[35:36], v[35:36], off offset:4
	s_clause 0x3
	global_load_dwordx2 v[51:52], v[37:38], off offset:4
	global_load_dwordx2 v[37:38], v[37:38], off offset:20
	;; [unrolled: 1-line block ×4, first 2 shown]
	global_load_dword v56, v[17:18], off
	s_clause 0x10
	global_load_dword v57, v[23:24], off
	global_load_dword v58, v[21:22], off
	global_load_dwordx2 v[17:18], v[41:42], off offset:4
	global_load_dword v59, v[25:26], off
	global_load_dwordx2 v[21:22], v[41:42], off offset:20
	global_load_dwordx2 v[23:24], v[43:44], off offset:4
	;; [unrolled: 1-line block ×3, first 2 shown]
	global_load_dword v60, v[27:28], off
	global_load_dwordx2 v[27:28], v[45:46], off offset:4
	global_load_dwordx2 v[41:42], v[45:46], off offset:20
	global_load_dword v61, v[31:32], off
	global_load_dword v62, v[29:30], off
	global_load_dwordx2 v[29:30], v[49:50], off offset:20
	global_load_dwordx2 v[31:32], v[47:48], off offset:4
	;; [unrolled: 1-line block ×4, first 2 shown]
	global_load_dword v33, v[33:34], off
	v_mov_b32_e32 v34, 0
	v_mov_b32_e32 v49, 0
	;; [unrolled: 1-line block ×3, first 2 shown]
	v_add_nc_u32_e32 v11, 16, v11
	v_add_co_u32 v2, vcc_lo, 0x240, v2
	v_add_co_ci_u32_e64 v3, null, 0, v3, vcc_lo
	v_cmp_le_u32_e32 vcc_lo, s19, v11
	s_or_b32 s17, vcc_lo, s17
	s_waitcnt vmcnt(22)
	v_lshrrev_b32_e32 v47, 4, v35
	v_and_b32_e32 v35, 0xf0f0f0f, v35
	v_and_b32_e32 v48, 0xf0f0f0f, v36
	v_lshrrev_b32_e32 v36, 4, v36
	v_and_b32_e32 v47, 0xf0f0f0f, v47
	v_dot4c_i32_i8 v34, v35, v19
	v_mov_b32_e32 v19, 0
	v_dot4c_i32_i8 v34, v47, v15
	v_mov_b32_e32 v15, 0
	s_waitcnt vmcnt(19)
	v_dot4c_i32_i8 v19, v35, v53
	s_waitcnt vmcnt(16)
	v_pk_mul_f16 v53, v56, v57
	v_dot4c_i32_i8 v34, v48, v20
	v_dot4c_i32_i8 v15, v35, v51
	v_mov_b32_e32 v20, 0
	v_dot4c_i32_i8 v19, v47, v39
	v_mov_b32_e32 v39, 0
	s_waitcnt vmcnt(3)
	v_dot4c_i32_i8 v49, v35, v31
	v_dot4c_i32_i8 v15, v47, v37
	v_mov_b32_e32 v37, 0
	v_dot4c_i32_i8 v20, v35, v17
	v_dot4c_i32_i8 v39, v35, v27
	s_waitcnt vmcnt(1)
	v_dot4c_i32_i8 v50, v35, v45
	v_dot4c_i32_i8 v49, v47, v43
	;; [unrolled: 1-line block ×9, first 2 shown]
	v_pk_mul_f16 v51, v56, v55
	v_pk_mul_f16 v52, v56, v58
	v_pk_mul_f16 v54, v56, v59
	v_pk_mul_f16 v55, v56, v60
	v_pk_mul_f16 v57, v56, v62
	v_pk_mul_f16 v58, v56, v61
	s_waitcnt vmcnt(0)
	v_pk_mul_f16 v33, v56, v33
	v_and_b32_e32 v17, 0xf0f0f0f, v36
	v_dot4c_i32_i8 v20, v48, v18
	v_dot4c_i32_i8 v37, v48, v24
	;; [unrolled: 1-line block ×5, first 2 shown]
	v_cvt_f32_f16_sdwa v36, v51 dst_sel:DWORD dst_unused:UNUSED_PAD src0_sel:WORD_1
	v_cvt_f32_f16_sdwa v18, v52 dst_sel:DWORD dst_unused:UNUSED_PAD src0_sel:WORD_1
	;; [unrolled: 1-line block ×8, first 2 shown]
	v_dot4c_i32_i8 v34, v17, v16
	v_dot4c_i32_i8 v15, v17, v38
	;; [unrolled: 1-line block ×8, first 2 shown]
	v_mul_f32_e32 v31, 0.5, v36
	v_mul_f32_e32 v18, 0.5, v18
	;; [unrolled: 1-line block ×8, first 2 shown]
	v_cvt_f32_i32_e32 v16, v34
	v_cvt_f32_i32_e32 v15, v15
	;; [unrolled: 1-line block ×8, first 2 shown]
	v_fma_mix_f32 v16, v16, v51, v31 op_sel_hi:[0,1,0]
	v_fma_mix_f32 v15, v15, v52, v18 op_sel_hi:[0,1,0]
	;; [unrolled: 1-line block ×8, first 2 shown]
	v_add_f32_e32 v12, v12, v16
	v_add_f32_e32 v10, v10, v15
	;; [unrolled: 1-line block ×8, first 2 shown]
	s_andn2_b32 exec_lo, exec_lo, s17
	s_cbranch_execnz .LBB35_2
; %bb.3:
	s_or_b32 exec_lo, exec_lo, s17
.LBB35_4:
	s_or_b32 exec_lo, exec_lo, s9
	s_mov_b32 s1, 0
	; wave barrier
	buffer_gl0_inv
	s_mov_b32 s0, exec_lo
	v_cmpx_eq_u32_e32 0, v1
	s_cbranch_execz .LBB35_21
; %bb.5:
	v_mbcnt_lo_u32_b32 v13, -1, 0
	s_load_dwordx2 s[4:5], s[4:5], 0x38
	s_mul_i32 s0, s14, s7
	s_mul_i32 s3, s18, s8
	s_add_i32 s0, s0, s6
	v_xor_b32_e32 v1, 16, v13
	v_xor_b32_e32 v2, 8, v13
	s_add_i32 s0, s0, s3
	s_lshl_b64 s[0:1], s[0:1], 2
	v_cmp_gt_i32_e32 vcc_lo, 32, v1
	v_cndmask_b32_e32 v1, v13, v1, vcc_lo
	v_cmp_gt_i32_e32 vcc_lo, 32, v2
	v_lshlrev_b32_e32 v1, 2, v1
	v_cndmask_b32_e32 v2, v13, v2, vcc_lo
	s_waitcnt lgkmcnt(0)
	s_add_u32 s0, s4, s0
	s_addc_u32 s1, s5, s1
	ds_bpermute_b32 v3, v1, v12
	v_lshlrev_b32_e32 v2, 2, v2
	s_waitcnt lgkmcnt(0)
	v_add_f32_e32 v11, v12, v3
	v_xor_b32_e32 v3, 4, v13
	ds_bpermute_b32 v12, v2, v11
	v_cmp_gt_i32_e32 vcc_lo, 32, v3
	v_cndmask_b32_e32 v3, v13, v3, vcc_lo
	v_lshlrev_b32_e32 v3, 2, v3
	s_waitcnt lgkmcnt(0)
	v_add_f32_e32 v12, v11, v12
	v_xor_b32_e32 v11, 2, v13
	ds_bpermute_b32 v14, v3, v12
	v_cmp_gt_i32_e32 vcc_lo, 32, v11
	v_cndmask_b32_e32 v11, v13, v11, vcc_lo
	;; [unrolled: 7-line block ×3, first 2 shown]
	v_cmp_eq_u32_e32 vcc_lo, 0, v0
	v_lshlrev_b32_e32 v12, 2, v12
	s_waitcnt lgkmcnt(0)
	v_add_f32_e32 v13, v14, v15
	ds_bpermute_b32 v14, v12, v13
	s_and_saveexec_b32 s3, vcc_lo
	s_cbranch_execz .LBB35_7
; %bb.6:
	s_waitcnt lgkmcnt(0)
	v_add_f32_e32 v0, v13, v14
	v_mov_b32_e32 v13, 0
	global_store_dword v13, v0, s[0:1]
.LBB35_7:
	s_or_b32 exec_lo, exec_lo, s3
	ds_bpermute_b32 v0, v1, v10
	s_waitcnt lgkmcnt(0)
	v_add_f32_e32 v0, v10, v0
	ds_bpermute_b32 v10, v2, v0
	s_waitcnt lgkmcnt(0)
	v_add_f32_e32 v0, v0, v10
	ds_bpermute_b32 v10, v3, v0
	s_waitcnt lgkmcnt(0)
	v_add_f32_e32 v0, v0, v10
	ds_bpermute_b32 v10, v11, v0
	s_waitcnt lgkmcnt(0)
	v_add_f32_e32 v0, v0, v10
	ds_bpermute_b32 v10, v12, v0
	s_and_saveexec_b32 s4, vcc_lo
	s_cbranch_execz .LBB35_9
; %bb.8:
	s_mov_b32 s3, 0
	s_waitcnt lgkmcnt(0)
	v_add_f32_e32 v0, v0, v10
	s_lshl_b64 s[6:7], s[2:3], 2
	v_mov_b32_e32 v10, 0
	s_add_u32 s6, s0, s6
	s_addc_u32 s7, s1, s7
	global_store_dword v10, v0, s[6:7]
.LBB35_9:
	s_or_b32 exec_lo, exec_lo, s4
	ds_bpermute_b32 v0, v1, v9
	s_waitcnt lgkmcnt(0)
	v_add_f32_e32 v0, v9, v0
	ds_bpermute_b32 v9, v2, v0
	s_waitcnt lgkmcnt(0)
	v_add_f32_e32 v0, v0, v9
	ds_bpermute_b32 v9, v3, v0
	s_waitcnt lgkmcnt(0)
	v_add_f32_e32 v0, v0, v9
	ds_bpermute_b32 v9, v11, v0
	s_waitcnt lgkmcnt(0)
	v_add_f32_e32 v0, v0, v9
	ds_bpermute_b32 v9, v12, v0
	s_and_saveexec_b32 s3, vcc_lo
	s_cbranch_execz .LBB35_11
; %bb.10:
	s_lshl_b32 s4, s2, 1
	s_mov_b32 s5, 0
	s_waitcnt lgkmcnt(0)
	v_add_f32_e32 v0, v0, v9
	s_lshl_b64 s[4:5], s[4:5], 2
	v_mov_b32_e32 v9, 0
	s_add_u32 s4, s0, s4
	s_addc_u32 s5, s1, s5
	global_store_dword v9, v0, s[4:5]
.LBB35_11:
	s_or_b32 exec_lo, exec_lo, s3
	ds_bpermute_b32 v0, v1, v8
	s_waitcnt lgkmcnt(0)
	v_add_f32_e32 v0, v8, v0
	ds_bpermute_b32 v8, v2, v0
	s_waitcnt lgkmcnt(0)
	v_add_f32_e32 v0, v0, v8
	;; [unrolled: 3-line block ×4, first 2 shown]
	ds_bpermute_b32 v8, v12, v0
	s_and_saveexec_b32 s3, vcc_lo
	s_cbranch_execz .LBB35_13
; %bb.12:
	s_mul_i32 s4, s2, 3
	s_mov_b32 s5, 0
	s_waitcnt lgkmcnt(0)
	v_add_f32_e32 v0, v0, v8
	s_lshl_b64 s[4:5], s[4:5], 2
	v_mov_b32_e32 v8, 0
	s_add_u32 s4, s0, s4
	s_addc_u32 s5, s1, s5
	global_store_dword v8, v0, s[4:5]
.LBB35_13:
	s_or_b32 exec_lo, exec_lo, s3
	ds_bpermute_b32 v0, v1, v7
	s_waitcnt lgkmcnt(0)
	v_add_f32_e32 v0, v7, v0
	ds_bpermute_b32 v7, v2, v0
	s_waitcnt lgkmcnt(0)
	v_add_f32_e32 v0, v0, v7
	;; [unrolled: 3-line block ×4, first 2 shown]
	ds_bpermute_b32 v7, v12, v0
	s_and_saveexec_b32 s3, vcc_lo
	s_cbranch_execz .LBB35_15
; %bb.14:
	s_lshl_b32 s4, s2, 2
	s_mov_b32 s5, 0
	s_waitcnt lgkmcnt(0)
	v_add_f32_e32 v0, v0, v7
	s_lshl_b64 s[4:5], s[4:5], 2
	v_mov_b32_e32 v7, 0
	s_add_u32 s4, s0, s4
	s_addc_u32 s5, s1, s5
	global_store_dword v7, v0, s[4:5]
.LBB35_15:
	s_or_b32 exec_lo, exec_lo, s3
	ds_bpermute_b32 v0, v1, v6
	s_waitcnt lgkmcnt(0)
	v_add_f32_e32 v0, v6, v0
	ds_bpermute_b32 v6, v2, v0
	s_waitcnt lgkmcnt(0)
	v_add_f32_e32 v0, v0, v6
	;; [unrolled: 3-line block ×4, first 2 shown]
	ds_bpermute_b32 v6, v12, v0
	s_and_saveexec_b32 s3, vcc_lo
	s_cbranch_execz .LBB35_17
; %bb.16:
	s_mul_i32 s4, s2, 5
	s_mov_b32 s5, 0
	s_waitcnt lgkmcnt(0)
	v_add_f32_e32 v0, v0, v6
	s_lshl_b64 s[4:5], s[4:5], 2
	v_mov_b32_e32 v6, 0
	s_add_u32 s4, s0, s4
	s_addc_u32 s5, s1, s5
	global_store_dword v6, v0, s[4:5]
.LBB35_17:
	s_or_b32 exec_lo, exec_lo, s3
	ds_bpermute_b32 v0, v1, v5
	s_waitcnt lgkmcnt(0)
	v_add_f32_e32 v0, v5, v0
	ds_bpermute_b32 v5, v2, v0
	s_waitcnt lgkmcnt(0)
	v_add_f32_e32 v0, v0, v5
	;; [unrolled: 3-line block ×4, first 2 shown]
	ds_bpermute_b32 v5, v12, v0
	s_and_saveexec_b32 s3, vcc_lo
	s_cbranch_execz .LBB35_19
; %bb.18:
	s_mul_i32 s4, s2, 6
	s_mov_b32 s5, 0
	s_waitcnt lgkmcnt(0)
	v_add_f32_e32 v0, v0, v5
	s_lshl_b64 s[4:5], s[4:5], 2
	v_mov_b32_e32 v5, 0
	s_add_u32 s4, s0, s4
	s_addc_u32 s5, s1, s5
	global_store_dword v5, v0, s[4:5]
.LBB35_19:
	s_or_b32 exec_lo, exec_lo, s3
	ds_bpermute_b32 v0, v1, v4
	s_waitcnt lgkmcnt(0)
	v_add_f32_e32 v0, v4, v0
	ds_bpermute_b32 v1, v2, v0
	s_waitcnt lgkmcnt(0)
	v_add_f32_e32 v0, v0, v1
	ds_bpermute_b32 v1, v3, v0
	s_waitcnt lgkmcnt(0)
	v_add_f32_e32 v0, v0, v1
	ds_bpermute_b32 v1, v11, v0
	s_waitcnt lgkmcnt(0)
	v_add_f32_e32 v0, v0, v1
	ds_bpermute_b32 v1, v12, v0
	s_and_b32 exec_lo, exec_lo, vcc_lo
	s_cbranch_execz .LBB35_21
; %bb.20:
	s_mul_i32 s2, s2, 7
	s_mov_b32 s3, 0
	s_waitcnt lgkmcnt(0)
	v_add_f32_e32 v0, v0, v1
	s_lshl_b64 s[2:3], s[2:3], 2
	v_mov_b32_e32 v1, 0
	s_add_u32 s0, s0, s2
	s_addc_u32 s1, s1, s3
	global_store_dword v1, v0, s[0:1]
.LBB35_21:
	s_endpgm
	.section	.rodata,"a",@progbits
	.p2align	6, 0x0
	.amdhsa_kernel _ZL13mul_mat_vec_qIL9ggml_type3ELi8ELb0ELb0EEvPKvS2_PKi31ggml_cuda_mm_fusion_args_devicePfj15HIP_vector_typeIjLj3EEjjjS8_jjjS8_jjjj
		.amdhsa_group_segment_fixed_size 0
		.amdhsa_private_segment_fixed_size 0
		.amdhsa_kernarg_size 144
		.amdhsa_user_sgpr_count 6
		.amdhsa_user_sgpr_private_segment_buffer 1
		.amdhsa_user_sgpr_dispatch_ptr 0
		.amdhsa_user_sgpr_queue_ptr 0
		.amdhsa_user_sgpr_kernarg_segment_ptr 1
		.amdhsa_user_sgpr_dispatch_id 0
		.amdhsa_user_sgpr_flat_scratch_init 0
		.amdhsa_user_sgpr_private_segment_size 0
		.amdhsa_wavefront_size32 1
		.amdhsa_uses_dynamic_stack 0
		.amdhsa_system_sgpr_private_segment_wavefront_offset 0
		.amdhsa_system_sgpr_workgroup_id_x 1
		.amdhsa_system_sgpr_workgroup_id_y 1
		.amdhsa_system_sgpr_workgroup_id_z 1
		.amdhsa_system_sgpr_workgroup_info 0
		.amdhsa_system_vgpr_workitem_id 1
		.amdhsa_next_free_vgpr 63
		.amdhsa_next_free_sgpr 27
		.amdhsa_reserve_vcc 1
		.amdhsa_reserve_flat_scratch 0
		.amdhsa_float_round_mode_32 0
		.amdhsa_float_round_mode_16_64 0
		.amdhsa_float_denorm_mode_32 3
		.amdhsa_float_denorm_mode_16_64 3
		.amdhsa_dx10_clamp 1
		.amdhsa_ieee_mode 1
		.amdhsa_fp16_overflow 0
		.amdhsa_workgroup_processor_mode 1
		.amdhsa_memory_ordered 1
		.amdhsa_forward_progress 1
		.amdhsa_shared_vgpr_count 0
		.amdhsa_exception_fp_ieee_invalid_op 0
		.amdhsa_exception_fp_denorm_src 0
		.amdhsa_exception_fp_ieee_div_zero 0
		.amdhsa_exception_fp_ieee_overflow 0
		.amdhsa_exception_fp_ieee_underflow 0
		.amdhsa_exception_fp_ieee_inexact 0
		.amdhsa_exception_int_div_zero 0
	.end_amdhsa_kernel
	.section	.text._ZL13mul_mat_vec_qIL9ggml_type3ELi8ELb0ELb0EEvPKvS2_PKi31ggml_cuda_mm_fusion_args_devicePfj15HIP_vector_typeIjLj3EEjjjS8_jjjS8_jjjj,"axG",@progbits,_ZL13mul_mat_vec_qIL9ggml_type3ELi8ELb0ELb0EEvPKvS2_PKi31ggml_cuda_mm_fusion_args_devicePfj15HIP_vector_typeIjLj3EEjjjS8_jjjS8_jjjj,comdat
.Lfunc_end35:
	.size	_ZL13mul_mat_vec_qIL9ggml_type3ELi8ELb0ELb0EEvPKvS2_PKi31ggml_cuda_mm_fusion_args_devicePfj15HIP_vector_typeIjLj3EEjjjS8_jjjS8_jjjj, .Lfunc_end35-_ZL13mul_mat_vec_qIL9ggml_type3ELi8ELb0ELb0EEvPKvS2_PKi31ggml_cuda_mm_fusion_args_devicePfj15HIP_vector_typeIjLj3EEjjjS8_jjjS8_jjjj
                                        ; -- End function
	.set _ZL13mul_mat_vec_qIL9ggml_type3ELi8ELb0ELb0EEvPKvS2_PKi31ggml_cuda_mm_fusion_args_devicePfj15HIP_vector_typeIjLj3EEjjjS8_jjjS8_jjjj.num_vgpr, 63
	.set _ZL13mul_mat_vec_qIL9ggml_type3ELi8ELb0ELb0EEvPKvS2_PKi31ggml_cuda_mm_fusion_args_devicePfj15HIP_vector_typeIjLj3EEjjjS8_jjjS8_jjjj.num_agpr, 0
	.set _ZL13mul_mat_vec_qIL9ggml_type3ELi8ELb0ELb0EEvPKvS2_PKi31ggml_cuda_mm_fusion_args_devicePfj15HIP_vector_typeIjLj3EEjjjS8_jjjS8_jjjj.numbered_sgpr, 27
	.set _ZL13mul_mat_vec_qIL9ggml_type3ELi8ELb0ELb0EEvPKvS2_PKi31ggml_cuda_mm_fusion_args_devicePfj15HIP_vector_typeIjLj3EEjjjS8_jjjS8_jjjj.num_named_barrier, 0
	.set _ZL13mul_mat_vec_qIL9ggml_type3ELi8ELb0ELb0EEvPKvS2_PKi31ggml_cuda_mm_fusion_args_devicePfj15HIP_vector_typeIjLj3EEjjjS8_jjjS8_jjjj.private_seg_size, 0
	.set _ZL13mul_mat_vec_qIL9ggml_type3ELi8ELb0ELb0EEvPKvS2_PKi31ggml_cuda_mm_fusion_args_devicePfj15HIP_vector_typeIjLj3EEjjjS8_jjjS8_jjjj.uses_vcc, 1
	.set _ZL13mul_mat_vec_qIL9ggml_type3ELi8ELb0ELb0EEvPKvS2_PKi31ggml_cuda_mm_fusion_args_devicePfj15HIP_vector_typeIjLj3EEjjjS8_jjjS8_jjjj.uses_flat_scratch, 0
	.set _ZL13mul_mat_vec_qIL9ggml_type3ELi8ELb0ELb0EEvPKvS2_PKi31ggml_cuda_mm_fusion_args_devicePfj15HIP_vector_typeIjLj3EEjjjS8_jjjS8_jjjj.has_dyn_sized_stack, 0
	.set _ZL13mul_mat_vec_qIL9ggml_type3ELi8ELb0ELb0EEvPKvS2_PKi31ggml_cuda_mm_fusion_args_devicePfj15HIP_vector_typeIjLj3EEjjjS8_jjjS8_jjjj.has_recursion, 0
	.set _ZL13mul_mat_vec_qIL9ggml_type3ELi8ELb0ELb0EEvPKvS2_PKi31ggml_cuda_mm_fusion_args_devicePfj15HIP_vector_typeIjLj3EEjjjS8_jjjS8_jjjj.has_indirect_call, 0
	.section	.AMDGPU.csdata,"",@progbits
; Kernel info:
; codeLenInByte = 2464
; TotalNumSgprs: 29
; NumVgprs: 63
; ScratchSize: 0
; MemoryBound: 0
; FloatMode: 240
; IeeeMode: 1
; LDSByteSize: 0 bytes/workgroup (compile time only)
; SGPRBlocks: 0
; VGPRBlocks: 7
; NumSGPRsForWavesPerEU: 29
; NumVGPRsForWavesPerEU: 63
; Occupancy: 16
; WaveLimiterHint : 0
; COMPUTE_PGM_RSRC2:SCRATCH_EN: 0
; COMPUTE_PGM_RSRC2:USER_SGPR: 6
; COMPUTE_PGM_RSRC2:TRAP_HANDLER: 0
; COMPUTE_PGM_RSRC2:TGID_X_EN: 1
; COMPUTE_PGM_RSRC2:TGID_Y_EN: 1
; COMPUTE_PGM_RSRC2:TGID_Z_EN: 1
; COMPUTE_PGM_RSRC2:TIDIG_COMP_CNT: 1
	.section	.text._ZL17mul_mat_vec_q_moeIL9ggml_type6ELi2EEvPKvS2_PKiPfj15HIP_vector_typeIjLj3EEjjjjjjjjj,"axG",@progbits,_ZL17mul_mat_vec_q_moeIL9ggml_type6ELi2EEvPKvS2_PKiPfj15HIP_vector_typeIjLj3EEjjjjjjjjj,comdat
	.globl	_ZL17mul_mat_vec_q_moeIL9ggml_type6ELi2EEvPKvS2_PKiPfj15HIP_vector_typeIjLj3EEjjjjjjjjj ; -- Begin function _ZL17mul_mat_vec_q_moeIL9ggml_type6ELi2EEvPKvS2_PKiPfj15HIP_vector_typeIjLj3EEjjjjjjjjj
	.p2align	8
	.type	_ZL17mul_mat_vec_q_moeIL9ggml_type6ELi2EEvPKvS2_PKiPfj15HIP_vector_typeIjLj3EEjjjjjjjjj,@function
_ZL17mul_mat_vec_q_moeIL9ggml_type6ELi2EEvPKvS2_PKiPfj15HIP_vector_typeIjLj3EEjjjjjjjjj: ; @_ZL17mul_mat_vec_q_moeIL9ggml_type6ELi2EEvPKvS2_PKiPfj15HIP_vector_typeIjLj3EEjjjjjjjjj
; %bb.0:
	s_load_dwordx8 s[16:23], s[4:5], 0x30
	s_mov_b32 s0, exec_lo
	s_waitcnt lgkmcnt(0)
	v_cmpx_gt_u32_e64 s23, v1
	s_cbranch_execz .LBB36_7
; %bb.1:
	s_clause 0x2
	s_load_dword s1, s[4:5], 0x20
	s_load_dword s0, s[4:5], 0x50
	s_load_dwordx8 s[8:15], s[4:5], 0x0
	v_lshrrev_b32_e32 v8, 1, v0
	v_mov_b32_e32 v2, 0
	v_mov_b32_e32 v3, 0
	s_mov_b32 s2, s7
	s_waitcnt lgkmcnt(0)
	s_lshr_b32 s3, s1, 5
	s_lshl_b32 s1, s6, 1
	s_mov_b32 s6, exec_lo
	v_cmpx_gt_u32_e64 s3, v8
	s_cbranch_execz .LBB36_5
; %bb.2:
	v_mad_u64_u32 v[2:3], null, s0, v1, s[2:3]
	v_mov_b32_e32 v3, 0
	s_load_dwordx4 s[24:27], s[4:5], 0x24
	v_lshrrev_b32_e32 v12, 1, v0
	v_and_b32_e32 v6, 1, v0
	s_add_i32 s0, s1, 1
	v_lshlrev_b64 v[4:5], 2, v[2:3]
	v_lshlrev_b32_e32 v9, 3, v6
	v_add_co_u32 v4, vcc_lo, s12, v4
	v_add_co_ci_u32_e64 v5, null, s13, v5, vcc_lo
	global_load_dword v2, v[4:5], off
	v_mul_lo_u32 v5, s18, v1
	v_lshlrev_b32_e32 v4, 1, v0
	s_waitcnt lgkmcnt(0)
	s_mul_hi_u32 s4, s24, s2
	s_add_i32 s4, s2, s4
	v_and_b32_e32 v7, 2, v4
	s_lshr_b32 s4, s4, s25
	v_mad_u64_u32 v[4:5], null, v5, 36, 0
	s_mul_i32 s4, s4, s26
	v_lshlrev_b32_e32 v10, 2, v7
	s_sub_i32 s4, s2, s4
	v_lshlrev_b32_e32 v14, 1, v7
	s_mul_i32 s4, s4, s21
	v_mad_u64_u32 v[12:13], null, v12, 36, v[4:5]
	s_mul_i32 s5, s4, 36
	s_mul_hi_u32 s4, s4, 36
	s_add_u32 s5, s10, s5
	s_addc_u32 s4, s11, s4
	v_or_b32_e32 v11, 4, v10
	s_waitcnt vmcnt(0)
	v_mul_lo_u32 v2, v2, s20
	v_mad_u64_u32 v[4:5], null, s1, s17, v[2:3]
	v_mad_u64_u32 v[5:6], null, s17, s0, v[2:3]
	v_add_co_u32 v6, vcc_lo, s5, v12
	v_add_co_ci_u32_e64 v7, null, s4, v13, vcc_lo
	v_lshlrev_b32_e32 v12, 1, v14
	v_mov_b32_e32 v2, v3
	s_mov_b32 s4, 0
.LBB36_3:                               ; =>This Inner Loop Header: Depth=1
	v_add_nc_u32_e32 v13, v4, v8
	v_add_nc_u32_e32 v15, v5, v8
	;; [unrolled: 1-line block ×3, first 2 shown]
	v_mad_i64_i32 v[13:14], null, v13, 22, s[8:9]
	v_mad_i64_i32 v[15:16], null, v15, 22, s[8:9]
	v_cmp_le_u32_e64 s0, s3, v8
	s_clause 0x1
	global_load_dword v25, v[13:14], off offset:2
	global_load_dword v26, v[15:16], off offset:2
	v_add_co_u32 v17, vcc_lo, v13, v12
	v_add_co_ci_u32_e64 v18, null, 0, v14, vcc_lo
	v_add_co_u32 v19, vcc_lo, v15, v12
	v_add_co_ci_u32_e64 v20, null, 0, v16, vcc_lo
	s_clause 0x1
	global_load_dwordx2 v[17:18], v[17:18], off offset:6
	global_load_dwordx2 v[19:20], v[19:20], off offset:6
	v_add_co_u32 v21, vcc_lo, v6, v9
	v_add_co_ci_u32_e64 v22, null, 0, v7, vcc_lo
	s_clause 0x2
	global_load_dwordx2 v[23:24], v[21:22], off offset:4
	global_load_dwordx2 v[21:22], v[21:22], off offset:20
	global_load_dword v27, v[6:7], off
	s_clause 0x1
	global_load_ushort v15, v[15:16], off
	global_load_ushort v13, v[13:14], off
	v_mov_b32_e32 v14, 0
	v_mov_b32_e32 v16, 0
	v_add_co_u32 v6, vcc_lo, 0x240, v6
	v_add_co_ci_u32_e64 v7, null, 0, v7, vcc_lo
	s_or_b32 s4, s0, s4
	s_waitcnt vmcnt(8)
	v_ashrrev_i32_e32 v28, v10, v25
	v_ashrrev_i32_e32 v25, v11, v25
	s_waitcnt vmcnt(7)
	v_ashrrev_i32_e32 v29, v10, v26
	v_ashrrev_i32_e32 v26, v11, v26
	v_lshrrev_b32_e32 v35, 12, v28
	v_lshrrev_b32_e32 v36, 5, v28
	v_lshlrev_b32_e32 v37, 2, v28
	v_lshlrev_b32_e32 v31, 4, v28
	;; [unrolled: 1-line block ×7, first 2 shown]
	v_lshrrev_b32_e32 v43, 12, v25
	v_lshrrev_b32_e32 v44, 5, v25
	v_lshlrev_b32_e32 v45, 2, v25
	v_lshlrev_b32_e32 v47, 4, v29
	;; [unrolled: 1-line block ×3, first 2 shown]
	v_and_b32_e32 v35, 16, v35
	v_and_b32_e32 v36, 0x1000, v36
	;; [unrolled: 1-line block ×3, first 2 shown]
	s_waitcnt vmcnt(6)
	v_and_b32_e32 v30, 0xf0f0f0f, v17
	v_lshlrev_b32_e32 v33, 18, v28
	v_lshlrev_b32_e32 v34, 25, v28
	s_waitcnt vmcnt(5)
	v_and_b32_e32 v46, 0xf0f0f0f, v19
	v_lshlrev_b32_e32 v49, 18, v29
	v_lshlrev_b32_e32 v50, 25, v29
	v_lshrrev_b32_e32 v51, 12, v29
	v_lshrrev_b32_e32 v52, 5, v29
	v_lshlrev_b32_e32 v53, 2, v29
	v_and_b32_e32 v31, 16, v31
	v_and_b32_e32 v32, 0x1000, v32
	v_or3_b32 v35, v36, v35, v37
	v_and_b32_e32 v37, 16, v39
	v_and_b32_e32 v39, 0x1000, v40
	;; [unrolled: 1-line block ×9, first 2 shown]
	v_lshrrev_b32_e32 v17, 4, v17
	v_lshlrev_b32_e32 v28, 9, v28
	v_lshrrev_b32_e32 v19, 4, v19
	v_lshlrev_b32_e32 v29, 9, v29
	v_lshlrev_b32_e32 v55, 4, v26
	;; [unrolled: 1-line block ×4, first 2 shown]
	v_or3_b32 v30, v31, v30, v32
	v_and_b32_e32 v33, 0x100000, v33
	v_and_b32_e32 v34, 0x10000000, v34
	;; [unrolled: 1-line block ×7, first 2 shown]
	v_or3_b32 v45, v45, v46, v47
	v_lshlrev_b32_e32 v58, 25, v26
	v_lshrrev_b32_e32 v31, 12, v26
	v_lshrrev_b32_e32 v32, 5, v26
	v_lshlrev_b32_e32 v36, 2, v26
	v_and_b32_e32 v17, 0xf0f0f0f, v17
	v_and_b32_e32 v28, 0x10000000, v28
	;; [unrolled: 1-line block ×7, first 2 shown]
	v_or3_b32 v37, v39, v37, v40
	v_or3_b32 v40, v51, v50, v52
	;; [unrolled: 1-line block ×4, first 2 shown]
	v_and_b32_e32 v38, 0xf0f0f0f, v18
	v_lshrrev_b32_e32 v18, 4, v18
	v_lshlrev_b32_e32 v25, 9, v25
	v_and_b32_e32 v54, 0xf0f0f0f, v20
	v_lshrrev_b32_e32 v20, 4, v20
	v_lshlrev_b32_e32 v26, 9, v26
	v_and_b32_e32 v57, 0x10000000, v58
	v_and_b32_e32 v31, 16, v31
	;; [unrolled: 1-line block ×4, first 2 shown]
	v_or3_b32 v34, v55, v53, v56
	v_or3_b32 v17, v35, v28, v17
	;; [unrolled: 1-line block ×3, first 2 shown]
	s_waitcnt vmcnt(4)
	v_dot4c_i32_i8 v14, v30, v23
	v_dot4c_i32_i8 v16, v33, v23
	v_and_b32_e32 v18, 0xf0f0f0f, v18
	v_and_b32_e32 v25, 0x10000000, v25
	v_and_b32_e32 v20, 0xf0f0f0f, v20
	v_and_b32_e32 v26, 0x10000000, v26
	v_or3_b32 v39, v43, v42, v44
	v_or3_b32 v23, v32, v31, v36
	;; [unrolled: 1-line block ×4, first 2 shown]
	s_waitcnt vmcnt(3)
	v_dot4c_i32_i8 v14, v17, v21
	v_dot4c_i32_i8 v16, v19, v21
	v_or3_b32 v17, v39, v25, v18
	v_or3_b32 v18, v23, v26, v20
	s_waitcnt vmcnt(2)
	v_cvt_f32_f16_sdwa v19, v27 dst_sel:DWORD dst_unused:UNUSED_PAD src0_sel:WORD_1
	v_dot4c_i32_i8 v14, v28, v24
	v_dot4c_i32_i8 v16, v29, v24
	;; [unrolled: 1-line block ×4, first 2 shown]
	v_mul_f32_e32 v17, 0xc1000000, v19
	v_cvt_f32_i32_e32 v14, v14
	v_cvt_f32_i32_e32 v16, v16
	v_fma_mix_f32 v14, v27, v14, v17 op_sel_hi:[1,0,0]
	v_fma_mix_f32 v16, v27, v16, v17 op_sel_hi:[1,0,0]
	s_waitcnt vmcnt(0)
	v_fma_mix_f32 v3, v14, v13, v3 op_sel_hi:[0,1,0]
	v_fma_mix_f32 v2, v16, v15, v2 op_sel_hi:[0,1,0]
	s_andn2_b32 exec_lo, exec_lo, s4
	s_cbranch_execnz .LBB36_3
; %bb.4:
	s_or_b32 exec_lo, exec_lo, s4
.LBB36_5:
	s_or_b32 exec_lo, exec_lo, s6
	v_mbcnt_lo_u32_b32 v4, -1, 0
	v_xor_b32_e32 v5, 16, v4
	v_xor_b32_e32 v7, 8, v4
	v_cmp_gt_i32_e32 vcc_lo, 32, v5
	v_cndmask_b32_e32 v5, v4, v5, vcc_lo
	v_cmp_gt_i32_e32 vcc_lo, 32, v7
	v_lshlrev_b32_e32 v5, 2, v5
	v_cndmask_b32_e32 v7, v4, v7, vcc_lo
	ds_bpermute_b32 v6, v5, v3
	ds_bpermute_b32 v5, v5, v2
	v_lshlrev_b32_e32 v7, 2, v7
	s_waitcnt lgkmcnt(1)
	v_add_f32_e32 v3, v3, v6
	s_waitcnt lgkmcnt(0)
	v_add_f32_e32 v2, v2, v5
	ds_bpermute_b32 v5, v7, v3
	ds_bpermute_b32 v6, v7, v2
	v_xor_b32_e32 v7, 4, v4
	v_cmp_gt_i32_e32 vcc_lo, 32, v7
	v_cndmask_b32_e32 v7, v4, v7, vcc_lo
	v_lshlrev_b32_e32 v7, 2, v7
	s_waitcnt lgkmcnt(1)
	v_add_f32_e32 v3, v3, v5
	s_waitcnt lgkmcnt(0)
	v_add_f32_e32 v2, v2, v6
	ds_bpermute_b32 v5, v7, v3
	ds_bpermute_b32 v6, v7, v2
	v_xor_b32_e32 v7, 2, v4
	v_cmp_gt_i32_e32 vcc_lo, 32, v7
	v_cndmask_b32_e32 v7, v4, v7, vcc_lo
	;; [unrolled: 10-line block ×3, first 2 shown]
	v_cmp_gt_u32_e32 vcc_lo, 2, v0
	v_lshlrev_b32_e32 v7, 2, v4
	s_waitcnt lgkmcnt(1)
	v_add_f32_e32 v2, v3, v2
	s_waitcnt lgkmcnt(0)
	v_add_f32_e32 v3, v5, v6
	v_add_nc_u32_e32 v6, s1, v0
	ds_bpermute_b32 v4, v7, v2
	ds_bpermute_b32 v5, v7, v3
	v_cmp_gt_u32_e64 s0, s16, v6
	s_and_b32 s0, vcc_lo, s0
	s_and_b32 exec_lo, exec_lo, s0
	s_cbranch_execz .LBB36_7
; %bb.6:
	v_mul_lo_u32 v1, s19, v1
	v_or_b32_e32 v6, s1, v0
	s_mul_i32 s0, s22, s2
	v_mov_b32_e32 v7, 0
	s_waitcnt lgkmcnt(1)
	v_add_f32_e32 v4, v2, v4
	s_waitcnt lgkmcnt(0)
	v_add_f32_e32 v3, v3, v5
	v_cmp_eq_u32_e32 vcc_lo, 1, v0
	v_add3_u32 v6, v6, v1, s0
	v_cndmask_b32_e32 v3, v4, v3, vcc_lo
	v_lshlrev_b64 v[1:2], 2, v[6:7]
	v_add_co_u32 v0, vcc_lo, s14, v1
	v_add_co_ci_u32_e64 v1, null, s15, v2, vcc_lo
	global_store_dword v[0:1], v3, off
.LBB36_7:
	s_endpgm
	.section	.rodata,"a",@progbits
	.p2align	6, 0x0
	.amdhsa_kernel _ZL17mul_mat_vec_q_moeIL9ggml_type6ELi2EEvPKvS2_PKiPfj15HIP_vector_typeIjLj3EEjjjjjjjjj
		.amdhsa_group_segment_fixed_size 0
		.amdhsa_private_segment_fixed_size 0
		.amdhsa_kernarg_size 84
		.amdhsa_user_sgpr_count 6
		.amdhsa_user_sgpr_private_segment_buffer 1
		.amdhsa_user_sgpr_dispatch_ptr 0
		.amdhsa_user_sgpr_queue_ptr 0
		.amdhsa_user_sgpr_kernarg_segment_ptr 1
		.amdhsa_user_sgpr_dispatch_id 0
		.amdhsa_user_sgpr_flat_scratch_init 0
		.amdhsa_user_sgpr_private_segment_size 0
		.amdhsa_wavefront_size32 1
		.amdhsa_uses_dynamic_stack 0
		.amdhsa_system_sgpr_private_segment_wavefront_offset 0
		.amdhsa_system_sgpr_workgroup_id_x 1
		.amdhsa_system_sgpr_workgroup_id_y 1
		.amdhsa_system_sgpr_workgroup_id_z 0
		.amdhsa_system_sgpr_workgroup_info 0
		.amdhsa_system_vgpr_workitem_id 1
		.amdhsa_next_free_vgpr 59
		.amdhsa_next_free_sgpr 28
		.amdhsa_reserve_vcc 1
		.amdhsa_reserve_flat_scratch 0
		.amdhsa_float_round_mode_32 0
		.amdhsa_float_round_mode_16_64 0
		.amdhsa_float_denorm_mode_32 3
		.amdhsa_float_denorm_mode_16_64 3
		.amdhsa_dx10_clamp 1
		.amdhsa_ieee_mode 1
		.amdhsa_fp16_overflow 0
		.amdhsa_workgroup_processor_mode 1
		.amdhsa_memory_ordered 1
		.amdhsa_forward_progress 1
		.amdhsa_shared_vgpr_count 0
		.amdhsa_exception_fp_ieee_invalid_op 0
		.amdhsa_exception_fp_denorm_src 0
		.amdhsa_exception_fp_ieee_div_zero 0
		.amdhsa_exception_fp_ieee_overflow 0
		.amdhsa_exception_fp_ieee_underflow 0
		.amdhsa_exception_fp_ieee_inexact 0
		.amdhsa_exception_int_div_zero 0
	.end_amdhsa_kernel
	.section	.text._ZL17mul_mat_vec_q_moeIL9ggml_type6ELi2EEvPKvS2_PKiPfj15HIP_vector_typeIjLj3EEjjjjjjjjj,"axG",@progbits,_ZL17mul_mat_vec_q_moeIL9ggml_type6ELi2EEvPKvS2_PKiPfj15HIP_vector_typeIjLj3EEjjjjjjjjj,comdat
.Lfunc_end36:
	.size	_ZL17mul_mat_vec_q_moeIL9ggml_type6ELi2EEvPKvS2_PKiPfj15HIP_vector_typeIjLj3EEjjjjjjjjj, .Lfunc_end36-_ZL17mul_mat_vec_q_moeIL9ggml_type6ELi2EEvPKvS2_PKiPfj15HIP_vector_typeIjLj3EEjjjjjjjjj
                                        ; -- End function
	.set _ZL17mul_mat_vec_q_moeIL9ggml_type6ELi2EEvPKvS2_PKiPfj15HIP_vector_typeIjLj3EEjjjjjjjjj.num_vgpr, 59
	.set _ZL17mul_mat_vec_q_moeIL9ggml_type6ELi2EEvPKvS2_PKiPfj15HIP_vector_typeIjLj3EEjjjjjjjjj.num_agpr, 0
	.set _ZL17mul_mat_vec_q_moeIL9ggml_type6ELi2EEvPKvS2_PKiPfj15HIP_vector_typeIjLj3EEjjjjjjjjj.numbered_sgpr, 28
	.set _ZL17mul_mat_vec_q_moeIL9ggml_type6ELi2EEvPKvS2_PKiPfj15HIP_vector_typeIjLj3EEjjjjjjjjj.num_named_barrier, 0
	.set _ZL17mul_mat_vec_q_moeIL9ggml_type6ELi2EEvPKvS2_PKiPfj15HIP_vector_typeIjLj3EEjjjjjjjjj.private_seg_size, 0
	.set _ZL17mul_mat_vec_q_moeIL9ggml_type6ELi2EEvPKvS2_PKiPfj15HIP_vector_typeIjLj3EEjjjjjjjjj.uses_vcc, 1
	.set _ZL17mul_mat_vec_q_moeIL9ggml_type6ELi2EEvPKvS2_PKiPfj15HIP_vector_typeIjLj3EEjjjjjjjjj.uses_flat_scratch, 0
	.set _ZL17mul_mat_vec_q_moeIL9ggml_type6ELi2EEvPKvS2_PKiPfj15HIP_vector_typeIjLj3EEjjjjjjjjj.has_dyn_sized_stack, 0
	.set _ZL17mul_mat_vec_q_moeIL9ggml_type6ELi2EEvPKvS2_PKiPfj15HIP_vector_typeIjLj3EEjjjjjjjjj.has_recursion, 0
	.set _ZL17mul_mat_vec_q_moeIL9ggml_type6ELi2EEvPKvS2_PKiPfj15HIP_vector_typeIjLj3EEjjjjjjjjj.has_indirect_call, 0
	.section	.AMDGPU.csdata,"",@progbits
; Kernel info:
; codeLenInByte = 1576
; TotalNumSgprs: 30
; NumVgprs: 59
; ScratchSize: 0
; MemoryBound: 0
; FloatMode: 240
; IeeeMode: 1
; LDSByteSize: 0 bytes/workgroup (compile time only)
; SGPRBlocks: 0
; VGPRBlocks: 7
; NumSGPRsForWavesPerEU: 30
; NumVGPRsForWavesPerEU: 59
; Occupancy: 16
; WaveLimiterHint : 1
; COMPUTE_PGM_RSRC2:SCRATCH_EN: 0
; COMPUTE_PGM_RSRC2:USER_SGPR: 6
; COMPUTE_PGM_RSRC2:TRAP_HANDLER: 0
; COMPUTE_PGM_RSRC2:TGID_X_EN: 1
; COMPUTE_PGM_RSRC2:TGID_Y_EN: 1
; COMPUTE_PGM_RSRC2:TGID_Z_EN: 0
; COMPUTE_PGM_RSRC2:TIDIG_COMP_CNT: 1
	.section	.text._ZL13mul_mat_vec_qIL9ggml_type6ELi1ELb1ELb1EEvPKvS2_PKi31ggml_cuda_mm_fusion_args_devicePfj15HIP_vector_typeIjLj3EEjjjS8_jjjS8_jjjj,"axG",@progbits,_ZL13mul_mat_vec_qIL9ggml_type6ELi1ELb1ELb1EEvPKvS2_PKi31ggml_cuda_mm_fusion_args_devicePfj15HIP_vector_typeIjLj3EEjjjS8_jjjS8_jjjj,comdat
	.globl	_ZL13mul_mat_vec_qIL9ggml_type6ELi1ELb1ELb1EEvPKvS2_PKi31ggml_cuda_mm_fusion_args_devicePfj15HIP_vector_typeIjLj3EEjjjS8_jjjS8_jjjj ; -- Begin function _ZL13mul_mat_vec_qIL9ggml_type6ELi1ELb1ELb1EEvPKvS2_PKi31ggml_cuda_mm_fusion_args_devicePfj15HIP_vector_typeIjLj3EEjjjS8_jjjS8_jjjj
	.p2align	8
	.type	_ZL13mul_mat_vec_qIL9ggml_type6ELi1ELb1ELb1EEvPKvS2_PKi31ggml_cuda_mm_fusion_args_devicePfj15HIP_vector_typeIjLj3EEjjjS8_jjjS8_jjjj,@function
_ZL13mul_mat_vec_qIL9ggml_type6ELi1ELb1ELb1EEvPKvS2_PKi31ggml_cuda_mm_fusion_args_devicePfj15HIP_vector_typeIjLj3EEjjjS8_jjjS8_jjjj: ; @_ZL13mul_mat_vec_qIL9ggml_type6ELi1ELb1ELb1EEvPKvS2_PKi31ggml_cuda_mm_fusion_args_devicePfj15HIP_vector_typeIjLj3EEjjjS8_jjjS8_jjjj
; %bb.0:
	s_clause 0x3
	s_load_dwordx8 s[12:19], s[4:5], 0x0
	s_load_dwordx4 s[28:31], s[4:5], 0x20
	s_load_dwordx4 s[36:39], s[4:5], 0x40
	s_load_dwordx4 s[20:23], s[4:5], 0x68
	s_mov_b32 s10, s7
	s_waitcnt lgkmcnt(0)
	s_cmp_lg_u64 s[16:17], 0
	s_cselect_b32 s0, -1, 0
	s_cmp_eq_u64 s[16:17], 0
	s_cbranch_scc1 .LBB37_5
; %bb.1:
	s_mov_b32 s11, 0
	s_lshl_b64 s[2:3], s[10:11], 2
	s_add_u32 s2, s16, s2
	s_addc_u32 s3, s17, s3
	s_load_dword s33, s[2:3], 0x0
	s_clause 0x1
	s_load_dword s34, s[4:5], 0x50
	s_load_dword s35, s[4:5], 0x78
	s_cbranch_execnz .LBB37_3
.LBB37_2:
	s_load_dwordx2 s[2:3], s[4:5], 0x5c
	s_waitcnt lgkmcnt(0)
	s_mul_hi_u32 s1, s2, s10
	s_add_i32 s1, s10, s1
	s_lshr_b32 s33, s1, s3
.LBB37_3:
	s_andn2_b32 vcc_lo, exec_lo, s0
	s_cbranch_vccnz .LBB37_6
; %bb.4:
	s_mul_hi_u32 s0, s37, s10
	s_waitcnt lgkmcnt(0)
	s_mov_b32 s1, s33
	s_add_i32 s0, s10, s0
	s_lshr_b32 s0, s0, s38
	s_mul_i32 s0, s0, s39
	s_sub_i32 s11, s10, s0
	s_branch .LBB37_7
.LBB37_5:
                                        ; implicit-def: $sgpr33
	s_clause 0x1
	s_load_dword s34, s[4:5], 0x50
	s_load_dword s35, s[4:5], 0x78
	s_branch .LBB37_2
.LBB37_6:
	s_mov_b32 s1, s10
	s_mov_b32 s11, s10
.LBB37_7:
	s_load_dwordx4 s[24:27], s[4:5], 0x80
	v_or_b32_e32 v2, v0, v1
	s_cmp_lg_u64 s[18:19], 0
	v_mov_b32_e32 v10, 0
	v_mov_b32_e32 v11, 0
	s_cselect_b32 s0, -1, 0
	v_cmp_eq_u32_e32 vcc_lo, 0, v2
	s_mov_b32 s17, 0
	s_mul_i32 s2, s1, s22
	s_and_b32 s3, s0, vcc_lo
	s_and_saveexec_b32 s1, s3
	s_cbranch_execz .LBB37_9
; %bb.8:
	s_waitcnt lgkmcnt(0)
	s_mul_i32 s16, s26, s8
	s_mov_b32 s3, s17
	s_lshl_b64 s[38:39], s[16:17], 2
	v_lshlrev_b32_e32 v2, 2, v0
	s_add_u32 s7, s18, s38
	s_addc_u32 s9, s19, s39
	s_lshl_b64 s[16:17], s[2:3], 2
	s_add_u32 s3, s7, s16
	s_addc_u32 s9, s9, s17
	s_ashr_i32 s7, s6, 31
	s_lshl_b64 s[16:17], s[6:7], 2
	s_add_u32 s16, s3, s16
	s_addc_u32 s17, s9, s17
	global_load_dword v11, v2, s[16:17]
.LBB37_9:
	s_or_b32 exec_lo, exec_lo, s1
	s_cmp_lg_u64 s[28:29], 0
	s_cselect_b32 s9, -1, 0
	s_cmp_lg_u64 s[30:31], 0
	s_cselect_b32 s1, -1, 0
	s_and_b32 s3, s1, s9
	s_and_b32 s3, s3, vcc_lo
	s_and_saveexec_b32 s16, s3
	s_cbranch_execz .LBB37_11
; %bb.10:
	s_waitcnt lgkmcnt(0)
	s_mul_i32 s18, s26, s8
	s_mov_b32 s19, 0
	v_lshlrev_b32_e32 v2, 2, v0
	s_lshl_b64 s[38:39], s[18:19], 2
	s_mov_b32 s3, s19
	s_add_u32 s7, s30, s38
	s_addc_u32 s17, s31, s39
	s_lshl_b64 s[2:3], s[2:3], 2
	s_add_u32 s18, s7, s2
	s_addc_u32 s17, s17, s3
	s_ashr_i32 s7, s6, 31
	s_lshl_b64 s[2:3], s[6:7], 2
	s_add_u32 s2, s18, s2
	s_addc_u32 s3, s17, s3
	global_load_dword v10, v2, s[2:3]
.LBB37_11:
	s_or_b32 exec_lo, exec_lo, s16
	v_lshl_or_b32 v2, v1, 5, v0
	v_mov_b32_e32 v14, 0
	v_cndmask_b32_e64 v12, 0, 1, s9
	v_mov_b32_e32 v13, 0
	s_lshr_b32 s3, s36, 5
	v_lshrrev_b16 v3, 1, v2
	s_mov_b32 s7, exec_lo
	v_and_b32_e32 v15, 0xffff, v3
	v_cmpx_gt_u32_e64 s3, v15
	s_cbranch_execz .LBB37_17
; %bb.12:
	s_mul_hi_u32 s16, s23, s8
	s_mul_i32 s17, s11, s21
	s_add_i32 s11, s8, s16
	v_lshlrev_b32_e32 v3, 1, v0
	s_waitcnt lgkmcnt(0)
	s_lshr_b32 s11, s11, s35
	s_mul_i32 s34, s34, s6
	s_mul_i32 s11, s11, s24
	;; [unrolled: 1-line block ×4, first 2 shown]
	s_add_i32 s11, s11, s34
	v_and_b32_e32 v3, 2, v3
	s_mul_i32 s18, s2, 36
	s_add_i32 s11, s16, s11
	s_mul_hi_u32 s2, s2, 36
	v_lshrrev_b32_e32 v2, 1, v2
	s_mul_hi_u32 s16, s17, 36
	s_mul_i32 s17, s17, 36
	s_add_u32 s14, s14, s18
	s_addc_u32 s2, s15, s2
	s_add_u32 s14, s14, s17
	v_lshlrev_b32_e32 v16, 2, v3
	v_lshlrev_b32_e32 v4, 1, v3
	v_and_b32_e32 v5, 1, v0
	s_addc_u32 s15, s2, s16
	v_mov_b32_e32 v14, 0
	v_mad_u64_u32 v[2:3], null, v2, 36, s[14:15]
	v_or_b32_e32 v17, 4, v16
	v_lshlrev_b32_e32 v18, 3, v5
	v_lshlrev_b32_e32 v19, 1, v4
	v_mov_b32_e32 v13, 0
	s_mov_b32 s14, 0
	s_branch .LBB37_14
.LBB37_13:                              ;   in Loop: Header=BB37_14 Depth=1
	s_waitcnt vmcnt(2)
	v_ashrrev_i32_e32 v24, v16, v23
	s_waitcnt vmcnt(1)
	v_and_b32_e32 v25, 0xf0f0f0f, v8
	v_mov_b32_e32 v26, 0
	v_lshrrev_b32_e32 v8, 4, v8
	v_ashrrev_i32_e32 v23, v17, v23
	v_lshlrev_b32_e32 v27, 4, v24
	v_lshlrev_b32_e32 v28, 11, v24
	;; [unrolled: 1-line block ×4, first 2 shown]
	v_lshrrev_b32_e32 v31, 12, v24
	v_and_b32_e32 v27, 16, v27
	v_and_b32_e32 v28, 0x1000, v28
	v_lshrrev_b32_e32 v32, 5, v24
	v_lshlrev_b32_e32 v33, 2, v24
	v_and_b32_e32 v29, 0x100000, v29
	v_and_b32_e32 v30, 0x10000000, v30
	v_or3_b32 v25, v27, v25, v28
	v_lshlrev_b32_e32 v24, 9, v24
	v_and_b32_e32 v27, 16, v31
	v_and_b32_e32 v28, 0x1000, v32
	;; [unrolled: 1-line block ×3, first 2 shown]
	v_or3_b32 v25, v25, v29, v30
	v_and_b32_e32 v8, 0xf0f0f0f, v8
	v_and_b32_e32 v24, 0x10000000, v24
	v_lshrrev_b32_e32 v29, 12, v23
	v_or3_b32 v27, v28, v27, v31
	v_dot4c_i32_i8 v26, v25, v6
	v_lshlrev_b32_e32 v6, 4, v23
	v_lshlrev_b32_e32 v25, 11, v23
	;; [unrolled: 1-line block ×3, first 2 shown]
	v_or3_b32 v8, v27, v24, v8
	v_lshlrev_b32_e32 v24, 25, v23
	v_and_b32_e32 v6, 16, v6
	v_and_b32_e32 v25, 0x1000, v25
	;; [unrolled: 1-line block ×3, first 2 shown]
	v_lshrrev_b32_e32 v30, 5, v23
	v_and_b32_e32 v28, 0xf0f0f0f, v9
	v_and_b32_e32 v24, 0x10000000, v24
	v_lshrrev_b32_e32 v9, 4, v9
	v_or3_b32 v6, v25, v6, v27
	v_lshlrev_b32_e32 v25, 2, v23
	v_and_b32_e32 v27, 16, v29
	v_and_b32_e32 v29, 0x1000, v30
	v_lshlrev_b32_e32 v23, 9, v23
	v_dot4c_i32_i8 v26, v8, v4
	v_and_b32_e32 v25, 0x100000, v25
	v_or3_b32 v4, v6, v24, v28
	v_and_b32_e32 v6, 0xf0f0f0f, v9
	v_and_b32_e32 v8, 0x10000000, v23
	v_add_nc_u32_e32 v15, 16, v15
	v_or3_b32 v9, v29, v27, v25
	v_dot4c_i32_i8 v26, v4, v7
	v_add_co_u32 v2, s2, 0x240, v2
	v_cmp_le_u32_e32 vcc_lo, s3, v15
	v_or3_b32 v4, v9, v8, v6
	v_add_co_ci_u32_e64 v3, null, 0, v3, s2
	s_or_b32 s14, vcc_lo, s14
	v_dot4c_i32_i8 v26, v4, v5
	v_cvt_f32_i32_e32 v4, v26
	v_fma_f32 v4, v21, v4, -v22
	s_waitcnt vmcnt(0)
	v_fma_mix_f32 v14, v4, v20, v14 op_sel_hi:[0,1,0]
	s_andn2_b32 exec_lo, exec_lo, s14
	s_cbranch_execz .LBB37_16
.LBB37_14:                              ; =>This Inner Loop Header: Depth=1
	v_add_nc_u32_e32 v24, s11, v15
	v_add_co_u32 v4, vcc_lo, v2, v18
	global_load_dword v22, v[2:3], off
	v_add_co_ci_u32_e64 v5, null, 0, v3, vcc_lo
	v_mad_i64_i32 v[20:21], null, v24, 22, s[12:13]
	v_add_co_u32 v8, vcc_lo, v20, v19
	v_add_co_ci_u32_e64 v9, null, 0, v21, vcc_lo
	s_clause 0x1
	global_load_dwordx2 v[6:7], v[4:5], off offset:4
	global_load_dwordx2 v[4:5], v[4:5], off offset:20
	s_clause 0x2
	global_load_dword v23, v[20:21], off offset:2
	global_load_dwordx2 v[8:9], v[8:9], off offset:6
	global_load_ushort v20, v[20:21], off
	s_andn2_b32 vcc_lo, exec_lo, s9
	s_waitcnt vmcnt(5)
	v_cvt_f32_f16_sdwa v25, v22 dst_sel:DWORD dst_unused:UNUSED_PAD src0_sel:WORD_1
	v_cvt_f32_f16_e32 v21, v22
	v_mul_f32_e32 v22, 0x41000000, v25
	s_cbranch_vccnz .LBB37_13
; %bb.15:                               ;   in Loop: Header=BB37_14 Depth=1
	v_mad_i64_i32 v[24:25], null, v24, 22, s[28:29]
	v_mov_b32_e32 v29, 0
	v_add_co_u32 v26, vcc_lo, v24, v19
	v_add_co_ci_u32_e64 v27, null, 0, v25, vcc_lo
	s_clause 0x2
	global_load_dword v28, v[24:25], off offset:2
	global_load_dwordx2 v[26:27], v[26:27], off offset:6
	global_load_ushort v24, v[24:25], off
	s_waitcnt vmcnt(2)
	v_ashrrev_i32_e32 v25, v16, v28
	v_ashrrev_i32_e32 v28, v17, v28
	s_waitcnt vmcnt(1)
	v_and_b32_e32 v30, 0xf0f0f0f, v26
	v_lshrrev_b32_e32 v26, 4, v26
	v_and_b32_e32 v38, 0xf0f0f0f, v27
	v_lshlrev_b32_e32 v31, 4, v25
	v_lshlrev_b32_e32 v32, 11, v25
	;; [unrolled: 1-line block ×4, first 2 shown]
	v_lshrrev_b32_e32 v35, 12, v25
	v_lshrrev_b32_e32 v36, 5, v25
	v_lshlrev_b32_e32 v37, 2, v25
	v_and_b32_e32 v31, 16, v31
	v_and_b32_e32 v32, 0x1000, v32
	v_lshlrev_b32_e32 v25, 9, v25
	v_lshlrev_b32_e32 v39, 4, v28
	;; [unrolled: 1-line block ×3, first 2 shown]
	v_and_b32_e32 v33, 0x100000, v33
	v_and_b32_e32 v34, 0x10000000, v34
	;; [unrolled: 1-line block ×5, first 2 shown]
	v_or3_b32 v30, v31, v30, v32
	v_lshlrev_b32_e32 v41, 18, v28
	v_lshlrev_b32_e32 v42, 25, v28
	v_lshrrev_b32_e32 v43, 12, v28
	v_lshrrev_b32_e32 v44, 5, v28
	v_lshlrev_b32_e32 v45, 2, v28
	v_and_b32_e32 v26, 0xf0f0f0f, v26
	v_and_b32_e32 v25, 0x10000000, v25
	v_and_b32_e32 v39, 16, v39
	v_and_b32_e32 v31, 0x1000, v40
	v_or3_b32 v35, v36, v35, v37
	v_or3_b32 v30, v30, v33, v34
	v_lshrrev_b32_e32 v27, 4, v27
	v_lshlrev_b32_e32 v28, 9, v28
	v_and_b32_e32 v32, 0x100000, v41
	v_and_b32_e32 v40, 0x10000000, v42
	;; [unrolled: 1-line block ×4, first 2 shown]
	v_or3_b32 v31, v39, v38, v31
	v_or3_b32 v25, v35, v25, v26
	v_dot4c_i32_i8 v29, v30, v6
	v_and_b32_e32 v26, 0x100000, v45
	v_and_b32_e32 v27, 0xf0f0f0f, v27
	v_and_b32_e32 v28, 0x10000000, v28
	v_or3_b32 v30, v31, v32, v40
	v_dot4c_i32_i8 v29, v25, v4
	v_or3_b32 v25, v34, v33, v26
	v_dot4c_i32_i8 v29, v30, v7
	;; [unrolled: 2-line block ×3, first 2 shown]
	v_cvt_f32_i32_e32 v25, v29
	v_fma_f32 v25, v21, v25, -v22
	s_waitcnt vmcnt(0)
	v_fma_mix_f32 v13, v25, v24, v13 op_sel_hi:[0,1,0]
	s_branch .LBB37_13
.LBB37_16:
	s_or_b32 exec_lo, exec_lo, s14
.LBB37_17:
	s_or_b32 exec_lo, exec_lo, s7
	s_load_dword s2, s[4:5], 0x30
	s_waitcnt vmcnt(0) lgkmcnt(0)
	; wave barrier
	buffer_gl0_inv
	s_mov_b32 s3, exec_lo
	v_cmpx_eq_u32_e32 0, v1
	s_cbranch_execz .LBB37_44
; %bb.18:
	v_mbcnt_lo_u32_b32 v2, -1, 0
	v_xor_b32_e32 v1, 16, v2
	v_xor_b32_e32 v4, 8, v2
	;; [unrolled: 1-line block ×3, first 2 shown]
	v_cmp_gt_i32_e32 vcc_lo, 32, v1
	v_cndmask_b32_e32 v1, v2, v1, vcc_lo
	v_cmp_gt_i32_e32 vcc_lo, 32, v4
	v_lshlrev_b32_e32 v1, 2, v1
	v_cndmask_b32_e32 v4, v2, v4, vcc_lo
	v_cmp_gt_i32_e32 vcc_lo, 32, v5
	ds_bpermute_b32 v3, v1, v14
	v_lshlrev_b32_e32 v4, 2, v4
	v_cndmask_b32_e32 v5, v2, v5, vcc_lo
	v_lshlrev_b32_e32 v5, 2, v5
	s_waitcnt lgkmcnt(0)
	v_add_f32_e32 v3, v14, v3
	ds_bpermute_b32 v6, v4, v3
	s_waitcnt lgkmcnt(0)
	v_add_f32_e32 v3, v3, v6
	v_xor_b32_e32 v6, 2, v2
	ds_bpermute_b32 v7, v5, v3
	v_cmp_gt_i32_e32 vcc_lo, 32, v6
	v_cndmask_b32_e32 v6, v2, v6, vcc_lo
	v_lshlrev_b32_e32 v6, 2, v6
	s_waitcnt lgkmcnt(0)
	v_add_f32_e32 v3, v3, v7
	v_xor_b32_e32 v7, 1, v2
	ds_bpermute_b32 v8, v6, v3
	v_cmp_gt_i32_e32 vcc_lo, 32, v7
	v_cndmask_b32_e32 v2, v2, v7, vcc_lo
	v_cmp_ne_u32_e32 vcc_lo, 1, v12
	v_lshlrev_b32_e32 v7, 2, v2
	s_waitcnt lgkmcnt(0)
	v_add_f32_e32 v2, v3, v8
	ds_bpermute_b32 v3, v7, v2
	s_cbranch_vccnz .LBB37_20
; %bb.19:
	ds_bpermute_b32 v1, v1, v13
	s_waitcnt lgkmcnt(0)
	v_add_f32_e32 v1, v13, v1
	ds_bpermute_b32 v4, v4, v1
	s_waitcnt lgkmcnt(0)
	v_add_f32_e32 v1, v1, v4
	;; [unrolled: 3-line block ×5, first 2 shown]
.LBB37_20:
	v_cmp_eq_u32_e32 vcc_lo, 0, v0
	s_and_b32 exec_lo, exec_lo, vcc_lo
	s_cbranch_execz .LBB37_44
; %bb.21:
	s_waitcnt lgkmcnt(0)
	v_add_f32_e32 v1, v2, v3
	v_cmp_ne_u32_e32 vcc_lo, 1, v12
	v_add_f32_e32 v2, v11, v1
	v_cndmask_b32_e64 v1, v1, v2, s0
	s_cbranch_vccnz .LBB37_43
; %bb.22:
	v_add_f32_e32 v2, v10, v13
	s_cmp_lt_i32 s2, 2
	s_mov_b32 s0, 0
	v_cndmask_b32_e64 v2, v13, v2, s1
	s_cbranch_scc1 .LBB37_26
; %bb.23:
	s_cmp_gt_i32 s2, 2
	s_cbranch_scc0 .LBB37_27
; %bb.24:
	s_cmp_eq_u32 s2, 3
	s_cbranch_scc0 .LBB37_28
; %bb.25:
	v_max_f32_e32 v3, v2, v2
	s_mov_b32 s1, 0
	v_min_f32_e32 v3, 0x40e00000, v3
	v_mul_f32_e32 v4, 0xbfd9db23, v3
	v_mul_f32_e32 v5, 0x3fb8aa3b, v4
	v_cmp_ngt_f32_e32 vcc_lo, 0xc2ce8ed0, v4
	v_fma_f32 v6, 0x3fb8aa3b, v4, -v5
	v_rndne_f32_e32 v7, v5
	v_fmamk_f32 v6, v4, 0x32a5705f, v6
	v_sub_f32_e32 v5, v5, v7
	v_add_f32_e32 v5, v5, v6
	v_cvt_i32_f32_e32 v6, v7
	v_exp_f32_e32 v5, v5
	v_ldexp_f32 v5, v5, v6
	v_cndmask_b32_e32 v5, 0, v5, vcc_lo
	v_cmp_nlt_f32_e32 vcc_lo, 0x42b17218, v4
	v_cndmask_b32_e32 v4, 0x7f800000, v5, vcc_lo
	v_add_f32_e32 v4, 1.0, v4
	v_div_scale_f32 v5, null, v4, v4, v3
	v_div_scale_f32 v8, vcc_lo, v3, v4, v3
	v_rcp_f32_e32 v6, v5
	v_fma_f32 v7, -v5, v6, 1.0
	v_fmac_f32_e32 v6, v7, v6
	v_mul_f32_e32 v7, v8, v6
	v_fma_f32 v9, -v5, v7, v8
	v_fmac_f32_e32 v7, v9, v6
	v_max_f32_e32 v9, v1, v1
	v_fma_f32 v5, -v5, v7, v8
	v_min_f32_e32 v8, 0x40e00000, v9
	v_div_fmas_f32 v5, v5, v6, v7
	v_max_f32_e32 v6, 0xc0e00000, v8
	v_div_fixup_f32 v3, v5, v4, v3
	v_add_f32_e32 v4, 1.0, v6
	v_mul_f32_e32 v3, v4, v3
	s_branch .LBB37_29
.LBB37_26:
	s_mov_b32 s1, 0
                                        ; implicit-def: $vgpr3
	s_cbranch_execnz .LBB37_33
	s_branch .LBB37_34
.LBB37_27:
	s_mov_b32 s3, -1
	s_mov_b32 s1, 0
                                        ; implicit-def: $vgpr3
	s_branch .LBB37_30
.LBB37_28:
	s_mov_b32 s1, -1
                                        ; implicit-def: $vgpr3
.LBB37_29:
	s_mov_b32 s3, 0
.LBB37_30:
	s_and_b32 vcc_lo, exec_lo, s3
	s_cbranch_vccz .LBB37_32
; %bb.31:
	v_mul_f32_e32 v3, 0xbfb8aa3b, v2
	v_cmp_nlt_f32_e32 vcc_lo, 0x42ce8ed0, v2
	v_rndne_f32_e32 v4, v3
	v_fma_f32 v5, 0xbfb8aa3b, v2, -v3
	v_sub_f32_e32 v3, v3, v4
	v_fmamk_f32 v5, v2, 0xb2a5705f, v5
	v_cvt_i32_f32_e32 v4, v4
	v_add_f32_e32 v3, v3, v5
	v_exp_f32_e32 v3, v3
	v_ldexp_f32 v3, v3, v4
	v_cndmask_b32_e32 v3, 0, v3, vcc_lo
	v_cmp_ngt_f32_e32 vcc_lo, 0xc2b17218, v2
	v_cndmask_b32_e32 v3, 0x7f800000, v3, vcc_lo
	v_add_f32_e32 v3, 1.0, v3
	v_div_scale_f32 v4, null, v3, v3, v2
	v_rcp_f32_e32 v5, v4
	v_fma_f32 v6, -v4, v5, 1.0
	v_fmac_f32_e32 v5, v6, v5
	v_div_scale_f32 v6, vcc_lo, v2, v3, v2
	v_mul_f32_e32 v7, v6, v5
	v_fma_f32 v8, -v4, v7, v6
	v_fmac_f32_e32 v7, v8, v5
	v_fma_f32 v4, -v4, v7, v6
	v_div_fmas_f32 v4, v4, v5, v7
	v_div_fixup_f32 v3, v4, v3, v2
	v_mul_f32_e32 v3, v1, v3
.LBB37_32:
	s_branch .LBB37_34
.LBB37_33:
	s_cmp_lg_u32 s2, 1
	s_mov_b32 s0, -1
	s_cselect_b32 s1, -1, 0
.LBB37_34:
	s_andn2_b32 vcc_lo, exec_lo, s1
	s_cbranch_vccz .LBB37_36
; %bb.35:
	s_andn2_b32 vcc_lo, exec_lo, s0
	s_cbranch_vccz .LBB37_37
	s_branch .LBB37_42
.LBB37_36:
	v_mul_f32_e32 v3, v2, v1
	s_cbranch_execnz .LBB37_42
.LBB37_37:
	v_mul_f32_e32 v3, 0x3d372713, v2
	v_mul_f32_e32 v4, 0x3f4c422a, v2
	v_fma_f32 v3, v2, v3, 1.0
	v_mul_f32_e32 v3, v4, v3
                                        ; implicit-def: $vgpr4
	v_cmp_ngt_f32_e64 s0, 0x3f200000, |v3|
	s_and_saveexec_b32 s1, s0
	s_xor_b32 s0, exec_lo, s1
	s_cbranch_execz .LBB37_39
; %bb.38:
	v_add_f32_e64 v4, |v3|, |v3|
	v_mul_f32_e32 v5, 0x3fb8aa3b, v4
	v_cmp_ngt_f32_e32 vcc_lo, 0xc2ce8ed0, v4
	v_rndne_f32_e32 v6, v5
	v_fma_f32 v7, 0x3fb8aa3b, v4, -v5
	v_sub_f32_e32 v5, v5, v6
	v_fmamk_f32 v7, v4, 0x32a5705f, v7
	v_cvt_i32_f32_e32 v6, v6
	v_add_f32_e32 v5, v5, v7
	v_exp_f32_e32 v5, v5
	v_ldexp_f32 v5, v5, v6
	v_cndmask_b32_e32 v5, 0, v5, vcc_lo
	v_cmp_nlt_f32_e32 vcc_lo, 0x42b17218, v4
	v_cndmask_b32_e32 v4, 0x7f800000, v5, vcc_lo
	v_add_f32_e32 v4, 1.0, v4
	v_rcp_f32_e32 v4, v4
	v_fma_f32 v4, v4, -2.0, 1.0
.LBB37_39:
	s_andn2_saveexec_b32 s0, s0
	s_cbranch_execz .LBB37_41
; %bb.40:
	v_mul_f32_e32 v4, v3, v3
	s_mov_b32 s1, 0xbbbac73d
	v_fmaak_f32 v5, s1, v4, 0x3ca908c9
	v_fmaak_f32 v5, v4, v5, 0xbd5c1c4e
	;; [unrolled: 1-line block ×4, first 2 shown]
	v_mul_f32_e64 v5, |v3|, v5
	v_fma_f32 v4, v4, v5, |v3|
.LBB37_41:
	s_or_b32 exec_lo, exec_lo, s0
	v_bfi_b32 v3, 0x7fffffff, v4, v3
	v_mul_f32_e32 v2, 0.5, v2
	v_add_f32_e32 v3, 1.0, v3
	v_mul_f32_e32 v2, v2, v3
	v_mul_f32_e32 v3, v1, v2
.LBB37_42:
	v_mov_b32_e32 v1, v3
.LBB37_43:
	s_load_dwordx2 s[0:1], s[4:5], 0x38
	s_mul_i32 s2, s22, s10
	s_mul_i32 s3, s26, s8
	s_add_i32 s2, s2, s6
	v_lshlrev_b32_e32 v0, 2, v0
	s_add_i32 s2, s2, s3
	s_mov_b32 s3, 0
	s_lshl_b64 s[2:3], s[2:3], 2
	s_waitcnt lgkmcnt(0)
	s_add_u32 s0, s0, s2
	s_addc_u32 s1, s1, s3
	global_store_dword v0, v1, s[0:1]
.LBB37_44:
	s_endpgm
	.section	.rodata,"a",@progbits
	.p2align	6, 0x0
	.amdhsa_kernel _ZL13mul_mat_vec_qIL9ggml_type6ELi1ELb1ELb1EEvPKvS2_PKi31ggml_cuda_mm_fusion_args_devicePfj15HIP_vector_typeIjLj3EEjjjS8_jjjS8_jjjj
		.amdhsa_group_segment_fixed_size 0
		.amdhsa_private_segment_fixed_size 0
		.amdhsa_kernarg_size 144
		.amdhsa_user_sgpr_count 6
		.amdhsa_user_sgpr_private_segment_buffer 1
		.amdhsa_user_sgpr_dispatch_ptr 0
		.amdhsa_user_sgpr_queue_ptr 0
		.amdhsa_user_sgpr_kernarg_segment_ptr 1
		.amdhsa_user_sgpr_dispatch_id 0
		.amdhsa_user_sgpr_flat_scratch_init 0
		.amdhsa_user_sgpr_private_segment_size 0
		.amdhsa_wavefront_size32 1
		.amdhsa_uses_dynamic_stack 0
		.amdhsa_system_sgpr_private_segment_wavefront_offset 0
		.amdhsa_system_sgpr_workgroup_id_x 1
		.amdhsa_system_sgpr_workgroup_id_y 1
		.amdhsa_system_sgpr_workgroup_id_z 1
		.amdhsa_system_sgpr_workgroup_info 0
		.amdhsa_system_vgpr_workitem_id 1
		.amdhsa_next_free_vgpr 46
		.amdhsa_next_free_sgpr 40
		.amdhsa_reserve_vcc 1
		.amdhsa_reserve_flat_scratch 0
		.amdhsa_float_round_mode_32 0
		.amdhsa_float_round_mode_16_64 0
		.amdhsa_float_denorm_mode_32 3
		.amdhsa_float_denorm_mode_16_64 3
		.amdhsa_dx10_clamp 1
		.amdhsa_ieee_mode 1
		.amdhsa_fp16_overflow 0
		.amdhsa_workgroup_processor_mode 1
		.amdhsa_memory_ordered 1
		.amdhsa_forward_progress 1
		.amdhsa_shared_vgpr_count 0
		.amdhsa_exception_fp_ieee_invalid_op 0
		.amdhsa_exception_fp_denorm_src 0
		.amdhsa_exception_fp_ieee_div_zero 0
		.amdhsa_exception_fp_ieee_overflow 0
		.amdhsa_exception_fp_ieee_underflow 0
		.amdhsa_exception_fp_ieee_inexact 0
		.amdhsa_exception_int_div_zero 0
	.end_amdhsa_kernel
	.section	.text._ZL13mul_mat_vec_qIL9ggml_type6ELi1ELb1ELb1EEvPKvS2_PKi31ggml_cuda_mm_fusion_args_devicePfj15HIP_vector_typeIjLj3EEjjjS8_jjjS8_jjjj,"axG",@progbits,_ZL13mul_mat_vec_qIL9ggml_type6ELi1ELb1ELb1EEvPKvS2_PKi31ggml_cuda_mm_fusion_args_devicePfj15HIP_vector_typeIjLj3EEjjjS8_jjjS8_jjjj,comdat
.Lfunc_end37:
	.size	_ZL13mul_mat_vec_qIL9ggml_type6ELi1ELb1ELb1EEvPKvS2_PKi31ggml_cuda_mm_fusion_args_devicePfj15HIP_vector_typeIjLj3EEjjjS8_jjjS8_jjjj, .Lfunc_end37-_ZL13mul_mat_vec_qIL9ggml_type6ELi1ELb1ELb1EEvPKvS2_PKi31ggml_cuda_mm_fusion_args_devicePfj15HIP_vector_typeIjLj3EEjjjS8_jjjS8_jjjj
                                        ; -- End function
	.set _ZL13mul_mat_vec_qIL9ggml_type6ELi1ELb1ELb1EEvPKvS2_PKi31ggml_cuda_mm_fusion_args_devicePfj15HIP_vector_typeIjLj3EEjjjS8_jjjS8_jjjj.num_vgpr, 46
	.set _ZL13mul_mat_vec_qIL9ggml_type6ELi1ELb1ELb1EEvPKvS2_PKi31ggml_cuda_mm_fusion_args_devicePfj15HIP_vector_typeIjLj3EEjjjS8_jjjS8_jjjj.num_agpr, 0
	.set _ZL13mul_mat_vec_qIL9ggml_type6ELi1ELb1ELb1EEvPKvS2_PKi31ggml_cuda_mm_fusion_args_devicePfj15HIP_vector_typeIjLj3EEjjjS8_jjjS8_jjjj.numbered_sgpr, 40
	.set _ZL13mul_mat_vec_qIL9ggml_type6ELi1ELb1ELb1EEvPKvS2_PKi31ggml_cuda_mm_fusion_args_devicePfj15HIP_vector_typeIjLj3EEjjjS8_jjjS8_jjjj.num_named_barrier, 0
	.set _ZL13mul_mat_vec_qIL9ggml_type6ELi1ELb1ELb1EEvPKvS2_PKi31ggml_cuda_mm_fusion_args_devicePfj15HIP_vector_typeIjLj3EEjjjS8_jjjS8_jjjj.private_seg_size, 0
	.set _ZL13mul_mat_vec_qIL9ggml_type6ELi1ELb1ELb1EEvPKvS2_PKi31ggml_cuda_mm_fusion_args_devicePfj15HIP_vector_typeIjLj3EEjjjS8_jjjS8_jjjj.uses_vcc, 1
	.set _ZL13mul_mat_vec_qIL9ggml_type6ELi1ELb1ELb1EEvPKvS2_PKi31ggml_cuda_mm_fusion_args_devicePfj15HIP_vector_typeIjLj3EEjjjS8_jjjS8_jjjj.uses_flat_scratch, 0
	.set _ZL13mul_mat_vec_qIL9ggml_type6ELi1ELb1ELb1EEvPKvS2_PKi31ggml_cuda_mm_fusion_args_devicePfj15HIP_vector_typeIjLj3EEjjjS8_jjjS8_jjjj.has_dyn_sized_stack, 0
	.set _ZL13mul_mat_vec_qIL9ggml_type6ELi1ELb1ELb1EEvPKvS2_PKi31ggml_cuda_mm_fusion_args_devicePfj15HIP_vector_typeIjLj3EEjjjS8_jjjS8_jjjj.has_recursion, 0
	.set _ZL13mul_mat_vec_qIL9ggml_type6ELi1ELb1ELb1EEvPKvS2_PKi31ggml_cuda_mm_fusion_args_devicePfj15HIP_vector_typeIjLj3EEjjjS8_jjjS8_jjjj.has_indirect_call, 0
	.section	.AMDGPU.csdata,"",@progbits
; Kernel info:
; codeLenInByte = 2688
; TotalNumSgprs: 42
; NumVgprs: 46
; ScratchSize: 0
; MemoryBound: 0
; FloatMode: 240
; IeeeMode: 1
; LDSByteSize: 0 bytes/workgroup (compile time only)
; SGPRBlocks: 0
; VGPRBlocks: 5
; NumSGPRsForWavesPerEU: 42
; NumVGPRsForWavesPerEU: 46
; Occupancy: 16
; WaveLimiterHint : 0
; COMPUTE_PGM_RSRC2:SCRATCH_EN: 0
; COMPUTE_PGM_RSRC2:USER_SGPR: 6
; COMPUTE_PGM_RSRC2:TRAP_HANDLER: 0
; COMPUTE_PGM_RSRC2:TGID_X_EN: 1
; COMPUTE_PGM_RSRC2:TGID_Y_EN: 1
; COMPUTE_PGM_RSRC2:TGID_Z_EN: 1
; COMPUTE_PGM_RSRC2:TIDIG_COMP_CNT: 1
	.section	.text._ZL13mul_mat_vec_qIL9ggml_type6ELi1ELb0ELb1EEvPKvS2_PKi31ggml_cuda_mm_fusion_args_devicePfj15HIP_vector_typeIjLj3EEjjjS8_jjjS8_jjjj,"axG",@progbits,_ZL13mul_mat_vec_qIL9ggml_type6ELi1ELb0ELb1EEvPKvS2_PKi31ggml_cuda_mm_fusion_args_devicePfj15HIP_vector_typeIjLj3EEjjjS8_jjjS8_jjjj,comdat
	.globl	_ZL13mul_mat_vec_qIL9ggml_type6ELi1ELb0ELb1EEvPKvS2_PKi31ggml_cuda_mm_fusion_args_devicePfj15HIP_vector_typeIjLj3EEjjjS8_jjjS8_jjjj ; -- Begin function _ZL13mul_mat_vec_qIL9ggml_type6ELi1ELb0ELb1EEvPKvS2_PKi31ggml_cuda_mm_fusion_args_devicePfj15HIP_vector_typeIjLj3EEjjjS8_jjjS8_jjjj
	.p2align	8
	.type	_ZL13mul_mat_vec_qIL9ggml_type6ELi1ELb0ELb1EEvPKvS2_PKi31ggml_cuda_mm_fusion_args_devicePfj15HIP_vector_typeIjLj3EEjjjS8_jjjS8_jjjj,@function
_ZL13mul_mat_vec_qIL9ggml_type6ELi1ELb0ELb1EEvPKvS2_PKi31ggml_cuda_mm_fusion_args_devicePfj15HIP_vector_typeIjLj3EEjjjS8_jjjS8_jjjj: ; @_ZL13mul_mat_vec_qIL9ggml_type6ELi1ELb0ELb1EEvPKvS2_PKi31ggml_cuda_mm_fusion_args_devicePfj15HIP_vector_typeIjLj3EEjjjS8_jjjS8_jjjj
; %bb.0:
	s_clause 0x1
	s_load_dwordx2 s[0:1], s[4:5], 0x10
	s_load_dwordx4 s[16:19], s[4:5], 0x40
	s_mov_b32 s10, s7
	s_waitcnt lgkmcnt(0)
	s_cmp_lg_u64 s[0:1], 0
	s_cselect_b32 s7, -1, 0
	s_cmp_eq_u64 s[0:1], 0
	s_cbranch_scc1 .LBB38_5
; %bb.1:
	s_mov_b32 s11, 0
	s_lshl_b64 s[2:3], s[10:11], 2
	s_add_u32 s0, s0, s2
	s_addc_u32 s1, s1, s3
	s_load_dword s20, s[0:1], 0x0
	s_clause 0x1
	s_load_dwordx4 s[0:3], s[4:5], 0x68
	s_load_dword s21, s[4:5], 0x50
	s_cbranch_execnz .LBB38_3
.LBB38_2:
	s_load_dwordx2 s[12:13], s[4:5], 0x5c
	s_waitcnt lgkmcnt(0)
	s_mul_hi_u32 s9, s12, s10
	s_add_i32 s9, s10, s9
	s_lshr_b32 s20, s9, s13
.LBB38_3:
	s_load_dword s11, s[4:5], 0x78
	s_andn2_b32 vcc_lo, exec_lo, s7
	s_cbranch_vccnz .LBB38_6
; %bb.4:
	s_mul_hi_u32 s7, s17, s10
	s_add_i32 s7, s10, s7
	s_lshr_b32 s7, s7, s18
	s_mul_i32 s7, s7, s19
	s_sub_i32 s22, s10, s7
	s_branch .LBB38_7
.LBB38_5:
                                        ; implicit-def: $sgpr20
	s_clause 0x1
	s_load_dwordx4 s[0:3], s[4:5], 0x68
	s_load_dword s21, s[4:5], 0x50
	s_branch .LBB38_2
.LBB38_6:
	s_mov_b32 s22, s10
.LBB38_7:
	s_load_dwordx4 s[12:15], s[4:5], 0x80
	v_lshl_or_b32 v2, v1, 5, v0
	v_mov_b32_e32 v4, 0
	s_lshr_b32 s9, s16, 5
	s_mov_b32 s7, exec_lo
	v_lshrrev_b16 v3, 1, v2
	v_and_b32_e32 v5, 0xffff, v3
	v_cmpx_gt_u32_e64 s9, v5
	s_cbranch_execz .LBB38_11
; %bb.8:
	s_load_dwordx4 s[16:19], s[4:5], 0x0
	s_waitcnt lgkmcnt(0)
	s_mul_hi_u32 s3, s3, s8
	v_lshlrev_b32_e32 v3, 1, v0
	s_add_i32 s3, s8, s3
	s_mul_i32 s21, s21, s6
	s_lshr_b32 s3, s3, s11
	s_mul_i32 s13, s13, s8
	s_mul_i32 s3, s3, s12
	;; [unrolled: 1-line block ×3, first 2 shown]
	s_add_i32 s3, s3, s21
	v_and_b32_e32 v3, 2, v3
	s_mul_i32 s11, s22, s1
	s_add_i32 s1, s0, s3
	s_mul_i32 s3, s13, 36
	s_mul_hi_u32 s12, s13, 36
	v_lshrrev_b32_e32 v2, 1, v2
	s_mul_hi_u32 s0, s11, 36
	s_mul_i32 s11, s11, 36
	v_lshlrev_b32_e32 v9, 1, v3
	v_lshlrev_b32_e32 v6, 2, v3
	s_add_u32 s3, s18, s3
	s_addc_u32 s13, s19, s12
	s_add_u32 s12, s3, s11
	v_and_b32_e32 v8, 1, v0
	s_addc_u32 s13, s13, s0
	v_mov_b32_e32 v4, 0
	v_mad_u64_u32 v[2:3], null, v2, 36, s[12:13]
	v_or_b32_e32 v7, 4, v6
	v_lshlrev_b32_e32 v8, 3, v8
	v_lshlrev_b32_e32 v9, 1, v9
	s_mov_b32 s3, 0
.LBB38_9:                               ; =>This Inner Loop Header: Depth=1
	v_add_nc_u32_e32 v10, s1, v5
	v_add_nc_u32_e32 v5, 16, v5
	v_mad_i64_i32 v[10:11], null, v10, 22, s[16:17]
	v_add_co_u32 v12, vcc_lo, v10, v9
	v_add_co_ci_u32_e64 v13, null, 0, v11, vcc_lo
	v_add_co_u32 v14, vcc_lo, v2, v8
	s_clause 0x1
	global_load_dword v18, v[10:11], off offset:2
	global_load_dwordx2 v[12:13], v[12:13], off offset:6
	v_add_co_ci_u32_e64 v15, null, 0, v3, vcc_lo
	s_clause 0x2
	global_load_dwordx2 v[16:17], v[14:15], off offset:4
	global_load_dwordx2 v[14:15], v[14:15], off offset:20
	global_load_dword v19, v[2:3], off
	global_load_ushort v10, v[10:11], off
	v_mov_b32_e32 v11, 0
	v_cmp_le_u32_e32 vcc_lo, s9, v5
	v_add_co_u32 v2, s0, 0x240, v2
	v_add_co_ci_u32_e64 v3, null, 0, v3, s0
	s_or_b32 s3, vcc_lo, s3
	s_waitcnt vmcnt(5)
	v_ashrrev_i32_e32 v20, v6, v18
	v_ashrrev_i32_e32 v18, v7, v18
	s_waitcnt vmcnt(4)
	v_and_b32_e32 v21, 0xf0f0f0f, v12
	v_lshrrev_b32_e32 v12, 4, v12
	v_and_b32_e32 v29, 0xf0f0f0f, v13
	v_lshlrev_b32_e32 v22, 4, v20
	v_lshlrev_b32_e32 v23, 11, v20
	;; [unrolled: 1-line block ×4, first 2 shown]
	v_lshrrev_b32_e32 v26, 12, v20
	v_lshrrev_b32_e32 v27, 5, v20
	v_lshlrev_b32_e32 v28, 2, v20
	v_and_b32_e32 v22, 16, v22
	v_and_b32_e32 v23, 0x1000, v23
	v_lshlrev_b32_e32 v20, 9, v20
	v_lshlrev_b32_e32 v30, 4, v18
	v_lshlrev_b32_e32 v31, 11, v18
	v_lshlrev_b32_e32 v32, 18, v18
	v_and_b32_e32 v24, 0x100000, v24
	v_and_b32_e32 v25, 0x10000000, v25
	;; [unrolled: 1-line block ×5, first 2 shown]
	v_or3_b32 v21, v22, v21, v23
	v_lshlrev_b32_e32 v33, 25, v18
	v_lshrrev_b32_e32 v34, 12, v18
	v_lshrrev_b32_e32 v35, 5, v18
	v_lshlrev_b32_e32 v36, 2, v18
	v_and_b32_e32 v12, 0xf0f0f0f, v12
	v_and_b32_e32 v20, 0x10000000, v20
	;; [unrolled: 1-line block ×5, first 2 shown]
	v_or3_b32 v22, v27, v26, v28
	v_or3_b32 v21, v21, v24, v25
	v_lshrrev_b32_e32 v13, 4, v13
	v_lshlrev_b32_e32 v18, 9, v18
	v_and_b32_e32 v33, 0x10000000, v33
	v_and_b32_e32 v34, 16, v34
	;; [unrolled: 1-line block ×4, first 2 shown]
	v_or3_b32 v23, v31, v30, v32
	v_or3_b32 v12, v22, v20, v12
	s_waitcnt vmcnt(3)
	v_dot4c_i32_i8 v11, v21, v16
	v_and_b32_e32 v13, 0xf0f0f0f, v13
	v_and_b32_e32 v18, 0x10000000, v18
	v_or3_b32 v16, v35, v34, v36
	v_or3_b32 v20, v23, v33, v29
	s_waitcnt vmcnt(2)
	v_dot4c_i32_i8 v11, v12, v14
	v_or3_b32 v12, v16, v18, v13
	s_waitcnt vmcnt(1)
	v_cvt_f32_f16_sdwa v13, v19 dst_sel:DWORD dst_unused:UNUSED_PAD src0_sel:WORD_1
	v_dot4c_i32_i8 v11, v20, v17
	v_dot4c_i32_i8 v11, v12, v15
	v_mul_f32_e32 v12, 0xc1000000, v13
	v_cvt_f32_i32_e32 v11, v11
	v_fma_mix_f32 v11, v19, v11, v12 op_sel_hi:[1,0,0]
	s_waitcnt vmcnt(0)
	v_fma_mix_f32 v4, v11, v10, v4 op_sel_hi:[0,1,0]
	s_andn2_b32 exec_lo, exec_lo, s3
	s_cbranch_execnz .LBB38_9
; %bb.10:
	s_or_b32 exec_lo, exec_lo, s3
.LBB38_11:
	s_or_b32 exec_lo, exec_lo, s7
	s_waitcnt lgkmcnt(0)
	; wave barrier
	buffer_gl0_inv
	s_mov_b32 s0, exec_lo
	v_cmpx_eq_u32_e32 0, v1
	s_cbranch_execz .LBB38_14
; %bb.12:
	v_mbcnt_lo_u32_b32 v1, -1, 0
	v_xor_b32_e32 v2, 16, v1
	v_xor_b32_e32 v3, 8, v1
	v_cmp_gt_i32_e32 vcc_lo, 32, v2
	v_cndmask_b32_e32 v2, v1, v2, vcc_lo
	v_cmp_gt_i32_e32 vcc_lo, 32, v3
	v_lshlrev_b32_e32 v2, 2, v2
	v_cndmask_b32_e32 v3, v1, v3, vcc_lo
	ds_bpermute_b32 v2, v2, v4
	v_lshlrev_b32_e32 v3, 2, v3
	s_waitcnt lgkmcnt(0)
	v_add_f32_e32 v2, v4, v2
	v_xor_b32_e32 v4, 4, v1
	ds_bpermute_b32 v3, v3, v2
	v_cmp_gt_i32_e32 vcc_lo, 32, v4
	v_cndmask_b32_e32 v4, v1, v4, vcc_lo
	v_lshlrev_b32_e32 v4, 2, v4
	s_waitcnt lgkmcnt(0)
	v_add_f32_e32 v2, v2, v3
	ds_bpermute_b32 v3, v4, v2
	v_xor_b32_e32 v4, 2, v1
	v_cmp_gt_i32_e32 vcc_lo, 32, v4
	v_cndmask_b32_e32 v4, v1, v4, vcc_lo
	v_lshlrev_b32_e32 v4, 2, v4
	s_waitcnt lgkmcnt(0)
	v_add_f32_e32 v2, v2, v3
	ds_bpermute_b32 v3, v4, v2
	v_xor_b32_e32 v4, 1, v1
	v_cmp_gt_i32_e32 vcc_lo, 32, v4
	v_cndmask_b32_e32 v1, v1, v4, vcc_lo
	v_cmp_eq_u32_e32 vcc_lo, 0, v0
	v_lshlrev_b32_e32 v4, 2, v1
	s_waitcnt lgkmcnt(0)
	v_add_f32_e32 v1, v2, v3
	ds_bpermute_b32 v2, v4, v1
	s_and_b32 exec_lo, exec_lo, vcc_lo
	s_cbranch_execz .LBB38_14
; %bb.13:
	s_load_dwordx2 s[0:1], s[4:5], 0x38
	s_mul_i32 s2, s2, s10
	s_mul_i32 s3, s14, s8
	s_add_i32 s2, s2, s6
	s_waitcnt lgkmcnt(0)
	v_add_f32_e32 v0, v1, v2
	s_add_i32 s2, s2, s3
	s_mov_b32 s3, 0
	v_mov_b32_e32 v1, 0
	s_lshl_b64 s[2:3], s[2:3], 2
	s_add_u32 s0, s0, s2
	s_addc_u32 s1, s1, s3
	global_store_dword v1, v0, s[0:1]
.LBB38_14:
	s_endpgm
	.section	.rodata,"a",@progbits
	.p2align	6, 0x0
	.amdhsa_kernel _ZL13mul_mat_vec_qIL9ggml_type6ELi1ELb0ELb1EEvPKvS2_PKi31ggml_cuda_mm_fusion_args_devicePfj15HIP_vector_typeIjLj3EEjjjS8_jjjS8_jjjj
		.amdhsa_group_segment_fixed_size 0
		.amdhsa_private_segment_fixed_size 0
		.amdhsa_kernarg_size 144
		.amdhsa_user_sgpr_count 6
		.amdhsa_user_sgpr_private_segment_buffer 1
		.amdhsa_user_sgpr_dispatch_ptr 0
		.amdhsa_user_sgpr_queue_ptr 0
		.amdhsa_user_sgpr_kernarg_segment_ptr 1
		.amdhsa_user_sgpr_dispatch_id 0
		.amdhsa_user_sgpr_flat_scratch_init 0
		.amdhsa_user_sgpr_private_segment_size 0
		.amdhsa_wavefront_size32 1
		.amdhsa_uses_dynamic_stack 0
		.amdhsa_system_sgpr_private_segment_wavefront_offset 0
		.amdhsa_system_sgpr_workgroup_id_x 1
		.amdhsa_system_sgpr_workgroup_id_y 1
		.amdhsa_system_sgpr_workgroup_id_z 1
		.amdhsa_system_sgpr_workgroup_info 0
		.amdhsa_system_vgpr_workitem_id 1
		.amdhsa_next_free_vgpr 37
		.amdhsa_next_free_sgpr 23
		.amdhsa_reserve_vcc 1
		.amdhsa_reserve_flat_scratch 0
		.amdhsa_float_round_mode_32 0
		.amdhsa_float_round_mode_16_64 0
		.amdhsa_float_denorm_mode_32 3
		.amdhsa_float_denorm_mode_16_64 3
		.amdhsa_dx10_clamp 1
		.amdhsa_ieee_mode 1
		.amdhsa_fp16_overflow 0
		.amdhsa_workgroup_processor_mode 1
		.amdhsa_memory_ordered 1
		.amdhsa_forward_progress 1
		.amdhsa_shared_vgpr_count 0
		.amdhsa_exception_fp_ieee_invalid_op 0
		.amdhsa_exception_fp_denorm_src 0
		.amdhsa_exception_fp_ieee_div_zero 0
		.amdhsa_exception_fp_ieee_overflow 0
		.amdhsa_exception_fp_ieee_underflow 0
		.amdhsa_exception_fp_ieee_inexact 0
		.amdhsa_exception_int_div_zero 0
	.end_amdhsa_kernel
	.section	.text._ZL13mul_mat_vec_qIL9ggml_type6ELi1ELb0ELb1EEvPKvS2_PKi31ggml_cuda_mm_fusion_args_devicePfj15HIP_vector_typeIjLj3EEjjjS8_jjjS8_jjjj,"axG",@progbits,_ZL13mul_mat_vec_qIL9ggml_type6ELi1ELb0ELb1EEvPKvS2_PKi31ggml_cuda_mm_fusion_args_devicePfj15HIP_vector_typeIjLj3EEjjjS8_jjjS8_jjjj,comdat
.Lfunc_end38:
	.size	_ZL13mul_mat_vec_qIL9ggml_type6ELi1ELb0ELb1EEvPKvS2_PKi31ggml_cuda_mm_fusion_args_devicePfj15HIP_vector_typeIjLj3EEjjjS8_jjjS8_jjjj, .Lfunc_end38-_ZL13mul_mat_vec_qIL9ggml_type6ELi1ELb0ELb1EEvPKvS2_PKi31ggml_cuda_mm_fusion_args_devicePfj15HIP_vector_typeIjLj3EEjjjS8_jjjS8_jjjj
                                        ; -- End function
	.set _ZL13mul_mat_vec_qIL9ggml_type6ELi1ELb0ELb1EEvPKvS2_PKi31ggml_cuda_mm_fusion_args_devicePfj15HIP_vector_typeIjLj3EEjjjS8_jjjS8_jjjj.num_vgpr, 37
	.set _ZL13mul_mat_vec_qIL9ggml_type6ELi1ELb0ELb1EEvPKvS2_PKi31ggml_cuda_mm_fusion_args_devicePfj15HIP_vector_typeIjLj3EEjjjS8_jjjS8_jjjj.num_agpr, 0
	.set _ZL13mul_mat_vec_qIL9ggml_type6ELi1ELb0ELb1EEvPKvS2_PKi31ggml_cuda_mm_fusion_args_devicePfj15HIP_vector_typeIjLj3EEjjjS8_jjjS8_jjjj.numbered_sgpr, 23
	.set _ZL13mul_mat_vec_qIL9ggml_type6ELi1ELb0ELb1EEvPKvS2_PKi31ggml_cuda_mm_fusion_args_devicePfj15HIP_vector_typeIjLj3EEjjjS8_jjjS8_jjjj.num_named_barrier, 0
	.set _ZL13mul_mat_vec_qIL9ggml_type6ELi1ELb0ELb1EEvPKvS2_PKi31ggml_cuda_mm_fusion_args_devicePfj15HIP_vector_typeIjLj3EEjjjS8_jjjS8_jjjj.private_seg_size, 0
	.set _ZL13mul_mat_vec_qIL9ggml_type6ELi1ELb0ELb1EEvPKvS2_PKi31ggml_cuda_mm_fusion_args_devicePfj15HIP_vector_typeIjLj3EEjjjS8_jjjS8_jjjj.uses_vcc, 1
	.set _ZL13mul_mat_vec_qIL9ggml_type6ELi1ELb0ELb1EEvPKvS2_PKi31ggml_cuda_mm_fusion_args_devicePfj15HIP_vector_typeIjLj3EEjjjS8_jjjS8_jjjj.uses_flat_scratch, 0
	.set _ZL13mul_mat_vec_qIL9ggml_type6ELi1ELb0ELb1EEvPKvS2_PKi31ggml_cuda_mm_fusion_args_devicePfj15HIP_vector_typeIjLj3EEjjjS8_jjjS8_jjjj.has_dyn_sized_stack, 0
	.set _ZL13mul_mat_vec_qIL9ggml_type6ELi1ELb0ELb1EEvPKvS2_PKi31ggml_cuda_mm_fusion_args_devicePfj15HIP_vector_typeIjLj3EEjjjS8_jjjS8_jjjj.has_recursion, 0
	.set _ZL13mul_mat_vec_qIL9ggml_type6ELi1ELb0ELb1EEvPKvS2_PKi31ggml_cuda_mm_fusion_args_devicePfj15HIP_vector_typeIjLj3EEjjjS8_jjjS8_jjjj.has_indirect_call, 0
	.section	.AMDGPU.csdata,"",@progbits
; Kernel info:
; codeLenInByte = 1152
; TotalNumSgprs: 25
; NumVgprs: 37
; ScratchSize: 0
; MemoryBound: 0
; FloatMode: 240
; IeeeMode: 1
; LDSByteSize: 0 bytes/workgroup (compile time only)
; SGPRBlocks: 0
; VGPRBlocks: 4
; NumSGPRsForWavesPerEU: 25
; NumVGPRsForWavesPerEU: 37
; Occupancy: 16
; WaveLimiterHint : 0
; COMPUTE_PGM_RSRC2:SCRATCH_EN: 0
; COMPUTE_PGM_RSRC2:USER_SGPR: 6
; COMPUTE_PGM_RSRC2:TRAP_HANDLER: 0
; COMPUTE_PGM_RSRC2:TGID_X_EN: 1
; COMPUTE_PGM_RSRC2:TGID_Y_EN: 1
; COMPUTE_PGM_RSRC2:TGID_Z_EN: 1
; COMPUTE_PGM_RSRC2:TIDIG_COMP_CNT: 1
	.section	.text._ZL13mul_mat_vec_qIL9ggml_type6ELi1ELb1ELb0EEvPKvS2_PKi31ggml_cuda_mm_fusion_args_devicePfj15HIP_vector_typeIjLj3EEjjjS8_jjjS8_jjjj,"axG",@progbits,_ZL13mul_mat_vec_qIL9ggml_type6ELi1ELb1ELb0EEvPKvS2_PKi31ggml_cuda_mm_fusion_args_devicePfj15HIP_vector_typeIjLj3EEjjjS8_jjjS8_jjjj,comdat
	.globl	_ZL13mul_mat_vec_qIL9ggml_type6ELi1ELb1ELb0EEvPKvS2_PKi31ggml_cuda_mm_fusion_args_devicePfj15HIP_vector_typeIjLj3EEjjjS8_jjjS8_jjjj ; -- Begin function _ZL13mul_mat_vec_qIL9ggml_type6ELi1ELb1ELb0EEvPKvS2_PKi31ggml_cuda_mm_fusion_args_devicePfj15HIP_vector_typeIjLj3EEjjjS8_jjjS8_jjjj
	.p2align	8
	.type	_ZL13mul_mat_vec_qIL9ggml_type6ELi1ELb1ELb0EEvPKvS2_PKi31ggml_cuda_mm_fusion_args_devicePfj15HIP_vector_typeIjLj3EEjjjS8_jjjS8_jjjj,@function
_ZL13mul_mat_vec_qIL9ggml_type6ELi1ELb1ELb0EEvPKvS2_PKi31ggml_cuda_mm_fusion_args_devicePfj15HIP_vector_typeIjLj3EEjjjS8_jjjS8_jjjj: ; @_ZL13mul_mat_vec_qIL9ggml_type6ELi1ELb1ELb0EEvPKvS2_PKi31ggml_cuda_mm_fusion_args_devicePfj15HIP_vector_typeIjLj3EEjjjS8_jjjS8_jjjj
; %bb.0:
	s_clause 0x3
	s_load_dwordx8 s[12:19], s[4:5], 0x0
	s_load_dwordx4 s[28:31], s[4:5], 0x20
	s_load_dwordx4 s[36:39], s[4:5], 0x40
	;; [unrolled: 1-line block ×3, first 2 shown]
	s_mov_b32 s10, s7
	s_waitcnt lgkmcnt(0)
	s_cmp_lg_u64 s[16:17], 0
	s_cselect_b32 s0, -1, 0
	s_cmp_eq_u64 s[16:17], 0
	s_cbranch_scc1 .LBB39_5
; %bb.1:
	s_mov_b32 s11, 0
	s_lshl_b64 s[2:3], s[10:11], 2
	s_add_u32 s2, s16, s2
	s_addc_u32 s3, s17, s3
	s_load_dword s33, s[2:3], 0x0
	s_clause 0x1
	s_load_dword s34, s[4:5], 0x50
	s_load_dword s35, s[4:5], 0x78
	s_cbranch_execnz .LBB39_3
.LBB39_2:
	s_load_dwordx2 s[2:3], s[4:5], 0x5c
	s_waitcnt lgkmcnt(0)
	s_mul_hi_u32 s1, s2, s10
	s_add_i32 s1, s10, s1
	s_lshr_b32 s33, s1, s3
.LBB39_3:
	s_andn2_b32 vcc_lo, exec_lo, s0
	s_cbranch_vccnz .LBB39_6
; %bb.4:
	s_mul_hi_u32 s0, s37, s10
	s_waitcnt lgkmcnt(0)
	s_mov_b32 s1, s33
	s_add_i32 s0, s10, s0
	s_lshr_b32 s0, s0, s38
	s_mul_i32 s0, s0, s39
	s_sub_i32 s11, s10, s0
	s_branch .LBB39_7
.LBB39_5:
                                        ; implicit-def: $sgpr33
	s_clause 0x1
	s_load_dword s34, s[4:5], 0x50
	s_load_dword s35, s[4:5], 0x78
	s_branch .LBB39_2
.LBB39_6:
	s_mov_b32 s1, s10
	s_mov_b32 s11, s10
.LBB39_7:
	s_load_dwordx4 s[24:27], s[4:5], 0x80
	v_or_b32_e32 v2, v0, v1
	s_cmp_lg_u64 s[18:19], 0
	v_mov_b32_e32 v10, 0
	v_mov_b32_e32 v11, 0
	s_cselect_b32 s0, -1, 0
	v_cmp_eq_u32_e32 vcc_lo, 0, v2
	s_mov_b32 s17, 0
	s_mul_i32 s2, s1, s22
	s_and_b32 s3, s0, vcc_lo
	s_and_saveexec_b32 s1, s3
	s_cbranch_execz .LBB39_9
; %bb.8:
	s_waitcnt lgkmcnt(0)
	s_mul_i32 s16, s26, s8
	s_mov_b32 s3, s17
	s_lshl_b64 s[38:39], s[16:17], 2
	v_lshlrev_b32_e32 v2, 2, v0
	s_add_u32 s7, s18, s38
	s_addc_u32 s9, s19, s39
	s_lshl_b64 s[16:17], s[2:3], 2
	s_add_u32 s3, s7, s16
	s_addc_u32 s9, s9, s17
	s_ashr_i32 s7, s6, 31
	s_lshl_b64 s[16:17], s[6:7], 2
	s_add_u32 s16, s3, s16
	s_addc_u32 s17, s9, s17
	global_load_dword v11, v2, s[16:17]
.LBB39_9:
	s_or_b32 exec_lo, exec_lo, s1
	s_cmp_lg_u64 s[28:29], 0
	s_cselect_b32 s9, -1, 0
	s_cmp_lg_u64 s[30:31], 0
	s_cselect_b32 s1, -1, 0
	s_and_b32 s3, s1, s9
	s_and_b32 s3, s3, vcc_lo
	s_and_saveexec_b32 s16, s3
	s_cbranch_execz .LBB39_11
; %bb.10:
	s_waitcnt lgkmcnt(0)
	s_mul_i32 s18, s26, s8
	s_mov_b32 s19, 0
	v_lshlrev_b32_e32 v2, 2, v0
	s_lshl_b64 s[38:39], s[18:19], 2
	s_mov_b32 s3, s19
	s_add_u32 s7, s30, s38
	s_addc_u32 s17, s31, s39
	s_lshl_b64 s[2:3], s[2:3], 2
	s_add_u32 s18, s7, s2
	s_addc_u32 s17, s17, s3
	s_ashr_i32 s7, s6, 31
	s_lshl_b64 s[2:3], s[6:7], 2
	s_add_u32 s2, s18, s2
	s_addc_u32 s3, s17, s3
	global_load_dword v10, v2, s[2:3]
.LBB39_11:
	s_or_b32 exec_lo, exec_lo, s16
	v_lshl_or_b32 v2, v1, 5, v0
	v_mov_b32_e32 v14, 0
	v_cndmask_b32_e64 v12, 0, 1, s9
	v_mov_b32_e32 v13, 0
	s_lshr_b32 s3, s36, 5
	v_lshrrev_b16 v3, 1, v2
	s_mov_b32 s7, exec_lo
	v_and_b32_e32 v15, 0xffff, v3
	v_cmpx_gt_u32_e64 s3, v15
	s_cbranch_execz .LBB39_17
; %bb.12:
	s_mul_hi_u32 s16, s23, s8
	s_mul_i32 s17, s11, s21
	s_add_i32 s11, s8, s16
	v_lshlrev_b32_e32 v3, 1, v0
	s_waitcnt lgkmcnt(0)
	s_lshr_b32 s11, s11, s35
	s_mul_i32 s34, s34, s6
	s_mul_i32 s11, s11, s24
	;; [unrolled: 1-line block ×4, first 2 shown]
	s_add_i32 s11, s11, s34
	v_and_b32_e32 v3, 2, v3
	s_mul_i32 s18, s2, 36
	s_add_i32 s11, s16, s11
	s_mul_hi_u32 s2, s2, 36
	v_lshrrev_b32_e32 v2, 1, v2
	s_mul_hi_u32 s16, s17, 36
	s_mul_i32 s17, s17, 36
	s_add_u32 s14, s14, s18
	s_addc_u32 s2, s15, s2
	s_add_u32 s14, s14, s17
	v_lshlrev_b32_e32 v16, 2, v3
	v_lshlrev_b32_e32 v4, 1, v3
	v_and_b32_e32 v5, 1, v0
	s_addc_u32 s15, s2, s16
	v_mov_b32_e32 v14, 0
	v_mad_u64_u32 v[2:3], null, v2, 36, s[14:15]
	v_or_b32_e32 v17, 4, v16
	v_lshlrev_b32_e32 v18, 3, v5
	v_lshlrev_b32_e32 v19, 1, v4
	v_mov_b32_e32 v13, 0
	s_mov_b32 s14, 0
	s_branch .LBB39_14
.LBB39_13:                              ;   in Loop: Header=BB39_14 Depth=1
	s_waitcnt vmcnt(2)
	v_ashrrev_i32_e32 v24, v16, v23
	s_waitcnt vmcnt(1)
	v_and_b32_e32 v25, 0xf0f0f0f, v8
	v_mov_b32_e32 v26, 0
	v_lshrrev_b32_e32 v8, 4, v8
	v_ashrrev_i32_e32 v23, v17, v23
	v_lshlrev_b32_e32 v27, 4, v24
	v_lshlrev_b32_e32 v28, 11, v24
	;; [unrolled: 1-line block ×4, first 2 shown]
	v_lshrrev_b32_e32 v31, 12, v24
	v_and_b32_e32 v27, 16, v27
	v_and_b32_e32 v28, 0x1000, v28
	v_lshrrev_b32_e32 v32, 5, v24
	v_lshlrev_b32_e32 v33, 2, v24
	v_and_b32_e32 v29, 0x100000, v29
	v_and_b32_e32 v30, 0x10000000, v30
	v_or3_b32 v25, v27, v25, v28
	v_lshlrev_b32_e32 v24, 9, v24
	v_and_b32_e32 v27, 16, v31
	v_and_b32_e32 v28, 0x1000, v32
	v_and_b32_e32 v31, 0x100000, v33
	v_or3_b32 v25, v25, v29, v30
	v_and_b32_e32 v8, 0xf0f0f0f, v8
	v_and_b32_e32 v24, 0x10000000, v24
	v_lshrrev_b32_e32 v29, 12, v23
	v_or3_b32 v27, v28, v27, v31
	v_dot4c_i32_i8 v26, v25, v6
	v_lshlrev_b32_e32 v6, 4, v23
	v_lshlrev_b32_e32 v25, 11, v23
	;; [unrolled: 1-line block ×3, first 2 shown]
	v_or3_b32 v8, v27, v24, v8
	v_lshlrev_b32_e32 v24, 25, v23
	v_and_b32_e32 v6, 16, v6
	v_and_b32_e32 v25, 0x1000, v25
	;; [unrolled: 1-line block ×3, first 2 shown]
	v_lshrrev_b32_e32 v30, 5, v23
	v_and_b32_e32 v28, 0xf0f0f0f, v9
	v_and_b32_e32 v24, 0x10000000, v24
	v_lshrrev_b32_e32 v9, 4, v9
	v_or3_b32 v6, v25, v6, v27
	v_lshlrev_b32_e32 v25, 2, v23
	v_and_b32_e32 v27, 16, v29
	v_and_b32_e32 v29, 0x1000, v30
	v_lshlrev_b32_e32 v23, 9, v23
	v_dot4c_i32_i8 v26, v8, v4
	v_and_b32_e32 v25, 0x100000, v25
	v_or3_b32 v4, v6, v24, v28
	v_and_b32_e32 v6, 0xf0f0f0f, v9
	v_and_b32_e32 v8, 0x10000000, v23
	v_add_nc_u32_e32 v15, 16, v15
	v_or3_b32 v9, v29, v27, v25
	v_dot4c_i32_i8 v26, v4, v7
	v_add_co_u32 v2, s2, 0x240, v2
	v_cmp_le_u32_e32 vcc_lo, s3, v15
	v_or3_b32 v4, v9, v8, v6
	v_add_co_ci_u32_e64 v3, null, 0, v3, s2
	s_or_b32 s14, vcc_lo, s14
	v_dot4c_i32_i8 v26, v4, v5
	v_cvt_f32_i32_e32 v4, v26
	v_fma_f32 v4, v21, v4, -v22
	s_waitcnt vmcnt(0)
	v_fma_mix_f32 v14, v4, v20, v14 op_sel_hi:[0,1,0]
	s_andn2_b32 exec_lo, exec_lo, s14
	s_cbranch_execz .LBB39_16
.LBB39_14:                              ; =>This Inner Loop Header: Depth=1
	v_add_nc_u32_e32 v24, s11, v15
	v_add_co_u32 v4, vcc_lo, v2, v18
	global_load_dword v22, v[2:3], off
	v_add_co_ci_u32_e64 v5, null, 0, v3, vcc_lo
	v_mad_i64_i32 v[20:21], null, v24, 22, s[12:13]
	v_add_co_u32 v8, vcc_lo, v20, v19
	v_add_co_ci_u32_e64 v9, null, 0, v21, vcc_lo
	s_clause 0x1
	global_load_dwordx2 v[6:7], v[4:5], off offset:4
	global_load_dwordx2 v[4:5], v[4:5], off offset:20
	s_clause 0x2
	global_load_dword v23, v[20:21], off offset:2
	global_load_dwordx2 v[8:9], v[8:9], off offset:6
	global_load_ushort v20, v[20:21], off
	s_andn2_b32 vcc_lo, exec_lo, s9
	s_waitcnt vmcnt(5)
	v_cvt_f32_f16_sdwa v25, v22 dst_sel:DWORD dst_unused:UNUSED_PAD src0_sel:WORD_1
	v_cvt_f32_f16_e32 v21, v22
	v_mul_f32_e32 v22, 0x41000000, v25
	s_cbranch_vccnz .LBB39_13
; %bb.15:                               ;   in Loop: Header=BB39_14 Depth=1
	v_mad_i64_i32 v[24:25], null, v24, 22, s[28:29]
	v_mov_b32_e32 v29, 0
	v_add_co_u32 v26, vcc_lo, v24, v19
	v_add_co_ci_u32_e64 v27, null, 0, v25, vcc_lo
	s_clause 0x2
	global_load_dword v28, v[24:25], off offset:2
	global_load_dwordx2 v[26:27], v[26:27], off offset:6
	global_load_ushort v24, v[24:25], off
	s_waitcnt vmcnt(2)
	v_ashrrev_i32_e32 v25, v16, v28
	v_ashrrev_i32_e32 v28, v17, v28
	s_waitcnt vmcnt(1)
	v_and_b32_e32 v30, 0xf0f0f0f, v26
	v_lshrrev_b32_e32 v26, 4, v26
	v_and_b32_e32 v38, 0xf0f0f0f, v27
	v_lshlrev_b32_e32 v31, 4, v25
	v_lshlrev_b32_e32 v32, 11, v25
	v_lshlrev_b32_e32 v33, 18, v25
	v_lshlrev_b32_e32 v34, 25, v25
	v_lshrrev_b32_e32 v35, 12, v25
	v_lshrrev_b32_e32 v36, 5, v25
	v_lshlrev_b32_e32 v37, 2, v25
	v_and_b32_e32 v31, 16, v31
	v_and_b32_e32 v32, 0x1000, v32
	v_lshlrev_b32_e32 v25, 9, v25
	v_lshlrev_b32_e32 v39, 4, v28
	;; [unrolled: 1-line block ×3, first 2 shown]
	v_and_b32_e32 v33, 0x100000, v33
	v_and_b32_e32 v34, 0x10000000, v34
	;; [unrolled: 1-line block ×5, first 2 shown]
	v_or3_b32 v30, v31, v30, v32
	v_lshlrev_b32_e32 v41, 18, v28
	v_lshlrev_b32_e32 v42, 25, v28
	v_lshrrev_b32_e32 v43, 12, v28
	v_lshrrev_b32_e32 v44, 5, v28
	v_lshlrev_b32_e32 v45, 2, v28
	v_and_b32_e32 v26, 0xf0f0f0f, v26
	v_and_b32_e32 v25, 0x10000000, v25
	;; [unrolled: 1-line block ×4, first 2 shown]
	v_or3_b32 v35, v36, v35, v37
	v_or3_b32 v30, v30, v33, v34
	v_lshrrev_b32_e32 v27, 4, v27
	v_lshlrev_b32_e32 v28, 9, v28
	v_and_b32_e32 v32, 0x100000, v41
	v_and_b32_e32 v40, 0x10000000, v42
	;; [unrolled: 1-line block ×4, first 2 shown]
	v_or3_b32 v31, v39, v38, v31
	v_or3_b32 v25, v35, v25, v26
	v_dot4c_i32_i8 v29, v30, v6
	v_and_b32_e32 v26, 0x100000, v45
	v_and_b32_e32 v27, 0xf0f0f0f, v27
	;; [unrolled: 1-line block ×3, first 2 shown]
	v_or3_b32 v30, v31, v32, v40
	v_dot4c_i32_i8 v29, v25, v4
	v_or3_b32 v25, v34, v33, v26
	v_dot4c_i32_i8 v29, v30, v7
	;; [unrolled: 2-line block ×3, first 2 shown]
	v_cvt_f32_i32_e32 v25, v29
	v_fma_f32 v25, v21, v25, -v22
	s_waitcnt vmcnt(0)
	v_fma_mix_f32 v13, v25, v24, v13 op_sel_hi:[0,1,0]
	s_branch .LBB39_13
.LBB39_16:
	s_or_b32 exec_lo, exec_lo, s14
.LBB39_17:
	s_or_b32 exec_lo, exec_lo, s7
	s_load_dword s2, s[4:5], 0x30
	s_waitcnt vmcnt(0) lgkmcnt(0)
	; wave barrier
	buffer_gl0_inv
	s_mov_b32 s3, exec_lo
	v_cmpx_eq_u32_e32 0, v1
	s_cbranch_execz .LBB39_44
; %bb.18:
	v_mbcnt_lo_u32_b32 v2, -1, 0
	v_xor_b32_e32 v1, 16, v2
	v_xor_b32_e32 v4, 8, v2
	;; [unrolled: 1-line block ×3, first 2 shown]
	v_cmp_gt_i32_e32 vcc_lo, 32, v1
	v_cndmask_b32_e32 v1, v2, v1, vcc_lo
	v_cmp_gt_i32_e32 vcc_lo, 32, v4
	v_lshlrev_b32_e32 v1, 2, v1
	v_cndmask_b32_e32 v4, v2, v4, vcc_lo
	v_cmp_gt_i32_e32 vcc_lo, 32, v5
	ds_bpermute_b32 v3, v1, v14
	v_lshlrev_b32_e32 v4, 2, v4
	v_cndmask_b32_e32 v5, v2, v5, vcc_lo
	v_lshlrev_b32_e32 v5, 2, v5
	s_waitcnt lgkmcnt(0)
	v_add_f32_e32 v3, v14, v3
	ds_bpermute_b32 v6, v4, v3
	s_waitcnt lgkmcnt(0)
	v_add_f32_e32 v3, v3, v6
	v_xor_b32_e32 v6, 2, v2
	ds_bpermute_b32 v7, v5, v3
	v_cmp_gt_i32_e32 vcc_lo, 32, v6
	v_cndmask_b32_e32 v6, v2, v6, vcc_lo
	v_lshlrev_b32_e32 v6, 2, v6
	s_waitcnt lgkmcnt(0)
	v_add_f32_e32 v3, v3, v7
	v_xor_b32_e32 v7, 1, v2
	ds_bpermute_b32 v8, v6, v3
	v_cmp_gt_i32_e32 vcc_lo, 32, v7
	v_cndmask_b32_e32 v2, v2, v7, vcc_lo
	v_cmp_ne_u32_e32 vcc_lo, 1, v12
	v_lshlrev_b32_e32 v7, 2, v2
	s_waitcnt lgkmcnt(0)
	v_add_f32_e32 v2, v3, v8
	ds_bpermute_b32 v3, v7, v2
	s_cbranch_vccnz .LBB39_20
; %bb.19:
	ds_bpermute_b32 v1, v1, v13
	s_waitcnt lgkmcnt(0)
	v_add_f32_e32 v1, v13, v1
	ds_bpermute_b32 v4, v4, v1
	s_waitcnt lgkmcnt(0)
	v_add_f32_e32 v1, v1, v4
	;; [unrolled: 3-line block ×5, first 2 shown]
.LBB39_20:
	v_cmp_eq_u32_e32 vcc_lo, 0, v0
	s_and_b32 exec_lo, exec_lo, vcc_lo
	s_cbranch_execz .LBB39_44
; %bb.21:
	s_waitcnt lgkmcnt(0)
	v_add_f32_e32 v1, v2, v3
	v_cmp_ne_u32_e32 vcc_lo, 1, v12
	v_add_f32_e32 v2, v11, v1
	v_cndmask_b32_e64 v1, v1, v2, s0
	s_cbranch_vccnz .LBB39_43
; %bb.22:
	v_add_f32_e32 v2, v10, v13
	s_cmp_lt_i32 s2, 2
	s_mov_b32 s0, 0
	v_cndmask_b32_e64 v2, v13, v2, s1
	s_cbranch_scc1 .LBB39_26
; %bb.23:
	s_cmp_gt_i32 s2, 2
	s_cbranch_scc0 .LBB39_27
; %bb.24:
	s_cmp_eq_u32 s2, 3
	s_cbranch_scc0 .LBB39_28
; %bb.25:
	v_max_f32_e32 v3, v2, v2
	s_mov_b32 s1, 0
	v_min_f32_e32 v3, 0x40e00000, v3
	v_mul_f32_e32 v4, 0xbfd9db23, v3
	v_mul_f32_e32 v5, 0x3fb8aa3b, v4
	v_cmp_ngt_f32_e32 vcc_lo, 0xc2ce8ed0, v4
	v_fma_f32 v6, 0x3fb8aa3b, v4, -v5
	v_rndne_f32_e32 v7, v5
	v_fmamk_f32 v6, v4, 0x32a5705f, v6
	v_sub_f32_e32 v5, v5, v7
	v_add_f32_e32 v5, v5, v6
	v_cvt_i32_f32_e32 v6, v7
	v_exp_f32_e32 v5, v5
	v_ldexp_f32 v5, v5, v6
	v_cndmask_b32_e32 v5, 0, v5, vcc_lo
	v_cmp_nlt_f32_e32 vcc_lo, 0x42b17218, v4
	v_cndmask_b32_e32 v4, 0x7f800000, v5, vcc_lo
	v_add_f32_e32 v4, 1.0, v4
	v_div_scale_f32 v5, null, v4, v4, v3
	v_div_scale_f32 v8, vcc_lo, v3, v4, v3
	v_rcp_f32_e32 v6, v5
	v_fma_f32 v7, -v5, v6, 1.0
	v_fmac_f32_e32 v6, v7, v6
	v_mul_f32_e32 v7, v8, v6
	v_fma_f32 v9, -v5, v7, v8
	v_fmac_f32_e32 v7, v9, v6
	v_max_f32_e32 v9, v1, v1
	v_fma_f32 v5, -v5, v7, v8
	v_min_f32_e32 v8, 0x40e00000, v9
	v_div_fmas_f32 v5, v5, v6, v7
	v_max_f32_e32 v6, 0xc0e00000, v8
	v_div_fixup_f32 v3, v5, v4, v3
	v_add_f32_e32 v4, 1.0, v6
	v_mul_f32_e32 v3, v4, v3
	s_branch .LBB39_29
.LBB39_26:
	s_mov_b32 s1, 0
                                        ; implicit-def: $vgpr3
	s_cbranch_execnz .LBB39_33
	s_branch .LBB39_34
.LBB39_27:
	s_mov_b32 s3, -1
	s_mov_b32 s1, 0
                                        ; implicit-def: $vgpr3
	s_branch .LBB39_30
.LBB39_28:
	s_mov_b32 s1, -1
                                        ; implicit-def: $vgpr3
.LBB39_29:
	s_mov_b32 s3, 0
.LBB39_30:
	s_and_b32 vcc_lo, exec_lo, s3
	s_cbranch_vccz .LBB39_32
; %bb.31:
	v_mul_f32_e32 v3, 0xbfb8aa3b, v2
	v_cmp_nlt_f32_e32 vcc_lo, 0x42ce8ed0, v2
	v_rndne_f32_e32 v4, v3
	v_fma_f32 v5, 0xbfb8aa3b, v2, -v3
	v_sub_f32_e32 v3, v3, v4
	v_fmamk_f32 v5, v2, 0xb2a5705f, v5
	v_cvt_i32_f32_e32 v4, v4
	v_add_f32_e32 v3, v3, v5
	v_exp_f32_e32 v3, v3
	v_ldexp_f32 v3, v3, v4
	v_cndmask_b32_e32 v3, 0, v3, vcc_lo
	v_cmp_ngt_f32_e32 vcc_lo, 0xc2b17218, v2
	v_cndmask_b32_e32 v3, 0x7f800000, v3, vcc_lo
	v_add_f32_e32 v3, 1.0, v3
	v_div_scale_f32 v4, null, v3, v3, v2
	v_rcp_f32_e32 v5, v4
	v_fma_f32 v6, -v4, v5, 1.0
	v_fmac_f32_e32 v5, v6, v5
	v_div_scale_f32 v6, vcc_lo, v2, v3, v2
	v_mul_f32_e32 v7, v6, v5
	v_fma_f32 v8, -v4, v7, v6
	v_fmac_f32_e32 v7, v8, v5
	v_fma_f32 v4, -v4, v7, v6
	v_div_fmas_f32 v4, v4, v5, v7
	v_div_fixup_f32 v3, v4, v3, v2
	v_mul_f32_e32 v3, v1, v3
.LBB39_32:
	s_branch .LBB39_34
.LBB39_33:
	s_cmp_lg_u32 s2, 1
	s_mov_b32 s0, -1
	s_cselect_b32 s1, -1, 0
.LBB39_34:
	s_andn2_b32 vcc_lo, exec_lo, s1
	s_cbranch_vccz .LBB39_36
; %bb.35:
	s_andn2_b32 vcc_lo, exec_lo, s0
	s_cbranch_vccz .LBB39_37
	s_branch .LBB39_42
.LBB39_36:
	v_mul_f32_e32 v3, v2, v1
	s_cbranch_execnz .LBB39_42
.LBB39_37:
	v_mul_f32_e32 v3, 0x3d372713, v2
	v_mul_f32_e32 v4, 0x3f4c422a, v2
	v_fma_f32 v3, v2, v3, 1.0
	v_mul_f32_e32 v3, v4, v3
                                        ; implicit-def: $vgpr4
	v_cmp_ngt_f32_e64 s0, 0x3f200000, |v3|
	s_and_saveexec_b32 s1, s0
	s_xor_b32 s0, exec_lo, s1
	s_cbranch_execz .LBB39_39
; %bb.38:
	v_add_f32_e64 v4, |v3|, |v3|
	v_mul_f32_e32 v5, 0x3fb8aa3b, v4
	v_cmp_ngt_f32_e32 vcc_lo, 0xc2ce8ed0, v4
	v_rndne_f32_e32 v6, v5
	v_fma_f32 v7, 0x3fb8aa3b, v4, -v5
	v_sub_f32_e32 v5, v5, v6
	v_fmamk_f32 v7, v4, 0x32a5705f, v7
	v_cvt_i32_f32_e32 v6, v6
	v_add_f32_e32 v5, v5, v7
	v_exp_f32_e32 v5, v5
	v_ldexp_f32 v5, v5, v6
	v_cndmask_b32_e32 v5, 0, v5, vcc_lo
	v_cmp_nlt_f32_e32 vcc_lo, 0x42b17218, v4
	v_cndmask_b32_e32 v4, 0x7f800000, v5, vcc_lo
	v_add_f32_e32 v4, 1.0, v4
	v_rcp_f32_e32 v4, v4
	v_fma_f32 v4, v4, -2.0, 1.0
.LBB39_39:
	s_andn2_saveexec_b32 s0, s0
	s_cbranch_execz .LBB39_41
; %bb.40:
	v_mul_f32_e32 v4, v3, v3
	s_mov_b32 s1, 0xbbbac73d
	v_fmaak_f32 v5, s1, v4, 0x3ca908c9
	v_fmaak_f32 v5, v4, v5, 0xbd5c1c4e
	;; [unrolled: 1-line block ×4, first 2 shown]
	v_mul_f32_e64 v5, |v3|, v5
	v_fma_f32 v4, v4, v5, |v3|
.LBB39_41:
	s_or_b32 exec_lo, exec_lo, s0
	v_bfi_b32 v3, 0x7fffffff, v4, v3
	v_mul_f32_e32 v2, 0.5, v2
	v_add_f32_e32 v3, 1.0, v3
	v_mul_f32_e32 v2, v2, v3
	v_mul_f32_e32 v3, v1, v2
.LBB39_42:
	v_mov_b32_e32 v1, v3
.LBB39_43:
	s_load_dwordx2 s[0:1], s[4:5], 0x38
	s_mul_i32 s2, s22, s10
	s_mul_i32 s3, s26, s8
	s_add_i32 s2, s2, s6
	v_lshlrev_b32_e32 v0, 2, v0
	s_add_i32 s2, s2, s3
	s_mov_b32 s3, 0
	s_lshl_b64 s[2:3], s[2:3], 2
	s_waitcnt lgkmcnt(0)
	s_add_u32 s0, s0, s2
	s_addc_u32 s1, s1, s3
	global_store_dword v0, v1, s[0:1]
.LBB39_44:
	s_endpgm
	.section	.rodata,"a",@progbits
	.p2align	6, 0x0
	.amdhsa_kernel _ZL13mul_mat_vec_qIL9ggml_type6ELi1ELb1ELb0EEvPKvS2_PKi31ggml_cuda_mm_fusion_args_devicePfj15HIP_vector_typeIjLj3EEjjjS8_jjjS8_jjjj
		.amdhsa_group_segment_fixed_size 0
		.amdhsa_private_segment_fixed_size 0
		.amdhsa_kernarg_size 144
		.amdhsa_user_sgpr_count 6
		.amdhsa_user_sgpr_private_segment_buffer 1
		.amdhsa_user_sgpr_dispatch_ptr 0
		.amdhsa_user_sgpr_queue_ptr 0
		.amdhsa_user_sgpr_kernarg_segment_ptr 1
		.amdhsa_user_sgpr_dispatch_id 0
		.amdhsa_user_sgpr_flat_scratch_init 0
		.amdhsa_user_sgpr_private_segment_size 0
		.amdhsa_wavefront_size32 1
		.amdhsa_uses_dynamic_stack 0
		.amdhsa_system_sgpr_private_segment_wavefront_offset 0
		.amdhsa_system_sgpr_workgroup_id_x 1
		.amdhsa_system_sgpr_workgroup_id_y 1
		.amdhsa_system_sgpr_workgroup_id_z 1
		.amdhsa_system_sgpr_workgroup_info 0
		.amdhsa_system_vgpr_workitem_id 1
		.amdhsa_next_free_vgpr 46
		.amdhsa_next_free_sgpr 40
		.amdhsa_reserve_vcc 1
		.amdhsa_reserve_flat_scratch 0
		.amdhsa_float_round_mode_32 0
		.amdhsa_float_round_mode_16_64 0
		.amdhsa_float_denorm_mode_32 3
		.amdhsa_float_denorm_mode_16_64 3
		.amdhsa_dx10_clamp 1
		.amdhsa_ieee_mode 1
		.amdhsa_fp16_overflow 0
		.amdhsa_workgroup_processor_mode 1
		.amdhsa_memory_ordered 1
		.amdhsa_forward_progress 1
		.amdhsa_shared_vgpr_count 0
		.amdhsa_exception_fp_ieee_invalid_op 0
		.amdhsa_exception_fp_denorm_src 0
		.amdhsa_exception_fp_ieee_div_zero 0
		.amdhsa_exception_fp_ieee_overflow 0
		.amdhsa_exception_fp_ieee_underflow 0
		.amdhsa_exception_fp_ieee_inexact 0
		.amdhsa_exception_int_div_zero 0
	.end_amdhsa_kernel
	.section	.text._ZL13mul_mat_vec_qIL9ggml_type6ELi1ELb1ELb0EEvPKvS2_PKi31ggml_cuda_mm_fusion_args_devicePfj15HIP_vector_typeIjLj3EEjjjS8_jjjS8_jjjj,"axG",@progbits,_ZL13mul_mat_vec_qIL9ggml_type6ELi1ELb1ELb0EEvPKvS2_PKi31ggml_cuda_mm_fusion_args_devicePfj15HIP_vector_typeIjLj3EEjjjS8_jjjS8_jjjj,comdat
.Lfunc_end39:
	.size	_ZL13mul_mat_vec_qIL9ggml_type6ELi1ELb1ELb0EEvPKvS2_PKi31ggml_cuda_mm_fusion_args_devicePfj15HIP_vector_typeIjLj3EEjjjS8_jjjS8_jjjj, .Lfunc_end39-_ZL13mul_mat_vec_qIL9ggml_type6ELi1ELb1ELb0EEvPKvS2_PKi31ggml_cuda_mm_fusion_args_devicePfj15HIP_vector_typeIjLj3EEjjjS8_jjjS8_jjjj
                                        ; -- End function
	.set _ZL13mul_mat_vec_qIL9ggml_type6ELi1ELb1ELb0EEvPKvS2_PKi31ggml_cuda_mm_fusion_args_devicePfj15HIP_vector_typeIjLj3EEjjjS8_jjjS8_jjjj.num_vgpr, 46
	.set _ZL13mul_mat_vec_qIL9ggml_type6ELi1ELb1ELb0EEvPKvS2_PKi31ggml_cuda_mm_fusion_args_devicePfj15HIP_vector_typeIjLj3EEjjjS8_jjjS8_jjjj.num_agpr, 0
	.set _ZL13mul_mat_vec_qIL9ggml_type6ELi1ELb1ELb0EEvPKvS2_PKi31ggml_cuda_mm_fusion_args_devicePfj15HIP_vector_typeIjLj3EEjjjS8_jjjS8_jjjj.numbered_sgpr, 40
	.set _ZL13mul_mat_vec_qIL9ggml_type6ELi1ELb1ELb0EEvPKvS2_PKi31ggml_cuda_mm_fusion_args_devicePfj15HIP_vector_typeIjLj3EEjjjS8_jjjS8_jjjj.num_named_barrier, 0
	.set _ZL13mul_mat_vec_qIL9ggml_type6ELi1ELb1ELb0EEvPKvS2_PKi31ggml_cuda_mm_fusion_args_devicePfj15HIP_vector_typeIjLj3EEjjjS8_jjjS8_jjjj.private_seg_size, 0
	.set _ZL13mul_mat_vec_qIL9ggml_type6ELi1ELb1ELb0EEvPKvS2_PKi31ggml_cuda_mm_fusion_args_devicePfj15HIP_vector_typeIjLj3EEjjjS8_jjjS8_jjjj.uses_vcc, 1
	.set _ZL13mul_mat_vec_qIL9ggml_type6ELi1ELb1ELb0EEvPKvS2_PKi31ggml_cuda_mm_fusion_args_devicePfj15HIP_vector_typeIjLj3EEjjjS8_jjjS8_jjjj.uses_flat_scratch, 0
	.set _ZL13mul_mat_vec_qIL9ggml_type6ELi1ELb1ELb0EEvPKvS2_PKi31ggml_cuda_mm_fusion_args_devicePfj15HIP_vector_typeIjLj3EEjjjS8_jjjS8_jjjj.has_dyn_sized_stack, 0
	.set _ZL13mul_mat_vec_qIL9ggml_type6ELi1ELb1ELb0EEvPKvS2_PKi31ggml_cuda_mm_fusion_args_devicePfj15HIP_vector_typeIjLj3EEjjjS8_jjjS8_jjjj.has_recursion, 0
	.set _ZL13mul_mat_vec_qIL9ggml_type6ELi1ELb1ELb0EEvPKvS2_PKi31ggml_cuda_mm_fusion_args_devicePfj15HIP_vector_typeIjLj3EEjjjS8_jjjS8_jjjj.has_indirect_call, 0
	.section	.AMDGPU.csdata,"",@progbits
; Kernel info:
; codeLenInByte = 2688
; TotalNumSgprs: 42
; NumVgprs: 46
; ScratchSize: 0
; MemoryBound: 0
; FloatMode: 240
; IeeeMode: 1
; LDSByteSize: 0 bytes/workgroup (compile time only)
; SGPRBlocks: 0
; VGPRBlocks: 5
; NumSGPRsForWavesPerEU: 42
; NumVGPRsForWavesPerEU: 46
; Occupancy: 16
; WaveLimiterHint : 0
; COMPUTE_PGM_RSRC2:SCRATCH_EN: 0
; COMPUTE_PGM_RSRC2:USER_SGPR: 6
; COMPUTE_PGM_RSRC2:TRAP_HANDLER: 0
; COMPUTE_PGM_RSRC2:TGID_X_EN: 1
; COMPUTE_PGM_RSRC2:TGID_Y_EN: 1
; COMPUTE_PGM_RSRC2:TGID_Z_EN: 1
; COMPUTE_PGM_RSRC2:TIDIG_COMP_CNT: 1
	.section	.text._ZL13mul_mat_vec_qIL9ggml_type6ELi1ELb0ELb0EEvPKvS2_PKi31ggml_cuda_mm_fusion_args_devicePfj15HIP_vector_typeIjLj3EEjjjS8_jjjS8_jjjj,"axG",@progbits,_ZL13mul_mat_vec_qIL9ggml_type6ELi1ELb0ELb0EEvPKvS2_PKi31ggml_cuda_mm_fusion_args_devicePfj15HIP_vector_typeIjLj3EEjjjS8_jjjS8_jjjj,comdat
	.globl	_ZL13mul_mat_vec_qIL9ggml_type6ELi1ELb0ELb0EEvPKvS2_PKi31ggml_cuda_mm_fusion_args_devicePfj15HIP_vector_typeIjLj3EEjjjS8_jjjS8_jjjj ; -- Begin function _ZL13mul_mat_vec_qIL9ggml_type6ELi1ELb0ELb0EEvPKvS2_PKi31ggml_cuda_mm_fusion_args_devicePfj15HIP_vector_typeIjLj3EEjjjS8_jjjS8_jjjj
	.p2align	8
	.type	_ZL13mul_mat_vec_qIL9ggml_type6ELi1ELb0ELb0EEvPKvS2_PKi31ggml_cuda_mm_fusion_args_devicePfj15HIP_vector_typeIjLj3EEjjjS8_jjjS8_jjjj,@function
_ZL13mul_mat_vec_qIL9ggml_type6ELi1ELb0ELb0EEvPKvS2_PKi31ggml_cuda_mm_fusion_args_devicePfj15HIP_vector_typeIjLj3EEjjjS8_jjjS8_jjjj: ; @_ZL13mul_mat_vec_qIL9ggml_type6ELi1ELb0ELb0EEvPKvS2_PKi31ggml_cuda_mm_fusion_args_devicePfj15HIP_vector_typeIjLj3EEjjjS8_jjjS8_jjjj
; %bb.0:
	s_clause 0x1
	s_load_dwordx2 s[0:1], s[4:5], 0x10
	s_load_dwordx4 s[16:19], s[4:5], 0x40
	s_mov_b32 s10, s7
	s_waitcnt lgkmcnt(0)
	s_cmp_lg_u64 s[0:1], 0
	s_cselect_b32 s7, -1, 0
	s_cmp_eq_u64 s[0:1], 0
	s_cbranch_scc1 .LBB40_5
; %bb.1:
	s_mov_b32 s11, 0
	s_lshl_b64 s[2:3], s[10:11], 2
	s_add_u32 s0, s0, s2
	s_addc_u32 s1, s1, s3
	s_load_dword s20, s[0:1], 0x0
	s_clause 0x1
	s_load_dwordx4 s[0:3], s[4:5], 0x68
	s_load_dword s21, s[4:5], 0x50
	s_cbranch_execnz .LBB40_3
.LBB40_2:
	s_load_dwordx2 s[12:13], s[4:5], 0x5c
	s_waitcnt lgkmcnt(0)
	s_mul_hi_u32 s9, s12, s10
	s_add_i32 s9, s10, s9
	s_lshr_b32 s20, s9, s13
.LBB40_3:
	s_load_dword s11, s[4:5], 0x78
	s_andn2_b32 vcc_lo, exec_lo, s7
	s_cbranch_vccnz .LBB40_6
; %bb.4:
	s_mul_hi_u32 s7, s17, s10
	s_add_i32 s7, s10, s7
	s_lshr_b32 s7, s7, s18
	s_mul_i32 s7, s7, s19
	s_sub_i32 s22, s10, s7
	s_branch .LBB40_7
.LBB40_5:
                                        ; implicit-def: $sgpr20
	s_clause 0x1
	s_load_dwordx4 s[0:3], s[4:5], 0x68
	s_load_dword s21, s[4:5], 0x50
	s_branch .LBB40_2
.LBB40_6:
	s_mov_b32 s22, s10
.LBB40_7:
	s_load_dwordx4 s[12:15], s[4:5], 0x80
	v_lshl_or_b32 v2, v1, 5, v0
	v_mov_b32_e32 v4, 0
	s_lshr_b32 s9, s16, 5
	s_mov_b32 s7, exec_lo
	v_lshrrev_b16 v3, 1, v2
	v_and_b32_e32 v5, 0xffff, v3
	v_cmpx_gt_u32_e64 s9, v5
	s_cbranch_execz .LBB40_11
; %bb.8:
	s_load_dwordx4 s[16:19], s[4:5], 0x0
	s_waitcnt lgkmcnt(0)
	s_mul_hi_u32 s3, s3, s8
	v_lshlrev_b32_e32 v3, 1, v0
	s_add_i32 s3, s8, s3
	s_mul_i32 s21, s21, s6
	s_lshr_b32 s3, s3, s11
	s_mul_i32 s13, s13, s8
	s_mul_i32 s3, s3, s12
	;; [unrolled: 1-line block ×3, first 2 shown]
	s_add_i32 s3, s3, s21
	v_and_b32_e32 v3, 2, v3
	s_mul_i32 s11, s22, s1
	s_add_i32 s1, s0, s3
	s_mul_i32 s3, s13, 36
	s_mul_hi_u32 s12, s13, 36
	v_lshrrev_b32_e32 v2, 1, v2
	s_mul_hi_u32 s0, s11, 36
	s_mul_i32 s11, s11, 36
	v_lshlrev_b32_e32 v9, 1, v3
	v_lshlrev_b32_e32 v6, 2, v3
	s_add_u32 s3, s18, s3
	s_addc_u32 s13, s19, s12
	s_add_u32 s12, s3, s11
	v_and_b32_e32 v8, 1, v0
	s_addc_u32 s13, s13, s0
	v_mov_b32_e32 v4, 0
	v_mad_u64_u32 v[2:3], null, v2, 36, s[12:13]
	v_or_b32_e32 v7, 4, v6
	v_lshlrev_b32_e32 v8, 3, v8
	v_lshlrev_b32_e32 v9, 1, v9
	s_mov_b32 s3, 0
.LBB40_9:                               ; =>This Inner Loop Header: Depth=1
	v_add_nc_u32_e32 v10, s1, v5
	v_add_nc_u32_e32 v5, 16, v5
	v_mad_i64_i32 v[10:11], null, v10, 22, s[16:17]
	v_add_co_u32 v12, vcc_lo, v10, v9
	v_add_co_ci_u32_e64 v13, null, 0, v11, vcc_lo
	v_add_co_u32 v14, vcc_lo, v2, v8
	s_clause 0x1
	global_load_dword v18, v[10:11], off offset:2
	global_load_dwordx2 v[12:13], v[12:13], off offset:6
	v_add_co_ci_u32_e64 v15, null, 0, v3, vcc_lo
	s_clause 0x2
	global_load_dwordx2 v[16:17], v[14:15], off offset:4
	global_load_dwordx2 v[14:15], v[14:15], off offset:20
	global_load_dword v19, v[2:3], off
	global_load_ushort v10, v[10:11], off
	v_mov_b32_e32 v11, 0
	v_cmp_le_u32_e32 vcc_lo, s9, v5
	v_add_co_u32 v2, s0, 0x240, v2
	v_add_co_ci_u32_e64 v3, null, 0, v3, s0
	s_or_b32 s3, vcc_lo, s3
	s_waitcnt vmcnt(5)
	v_ashrrev_i32_e32 v20, v6, v18
	v_ashrrev_i32_e32 v18, v7, v18
	s_waitcnt vmcnt(4)
	v_and_b32_e32 v21, 0xf0f0f0f, v12
	v_lshrrev_b32_e32 v12, 4, v12
	v_and_b32_e32 v29, 0xf0f0f0f, v13
	v_lshlrev_b32_e32 v22, 4, v20
	v_lshlrev_b32_e32 v23, 11, v20
	;; [unrolled: 1-line block ×4, first 2 shown]
	v_lshrrev_b32_e32 v26, 12, v20
	v_lshrrev_b32_e32 v27, 5, v20
	v_lshlrev_b32_e32 v28, 2, v20
	v_and_b32_e32 v22, 16, v22
	v_and_b32_e32 v23, 0x1000, v23
	v_lshlrev_b32_e32 v20, 9, v20
	v_lshlrev_b32_e32 v30, 4, v18
	;; [unrolled: 1-line block ×4, first 2 shown]
	v_and_b32_e32 v24, 0x100000, v24
	v_and_b32_e32 v25, 0x10000000, v25
	;; [unrolled: 1-line block ×5, first 2 shown]
	v_or3_b32 v21, v22, v21, v23
	v_lshlrev_b32_e32 v33, 25, v18
	v_lshrrev_b32_e32 v34, 12, v18
	v_lshrrev_b32_e32 v35, 5, v18
	v_lshlrev_b32_e32 v36, 2, v18
	v_and_b32_e32 v12, 0xf0f0f0f, v12
	v_and_b32_e32 v20, 0x10000000, v20
	v_and_b32_e32 v30, 16, v30
	v_and_b32_e32 v31, 0x1000, v31
	v_and_b32_e32 v32, 0x100000, v32
	v_or3_b32 v22, v27, v26, v28
	v_or3_b32 v21, v21, v24, v25
	v_lshrrev_b32_e32 v13, 4, v13
	v_lshlrev_b32_e32 v18, 9, v18
	v_and_b32_e32 v33, 0x10000000, v33
	v_and_b32_e32 v34, 16, v34
	;; [unrolled: 1-line block ×4, first 2 shown]
	v_or3_b32 v23, v31, v30, v32
	v_or3_b32 v12, v22, v20, v12
	s_waitcnt vmcnt(3)
	v_dot4c_i32_i8 v11, v21, v16
	v_and_b32_e32 v13, 0xf0f0f0f, v13
	v_and_b32_e32 v18, 0x10000000, v18
	v_or3_b32 v16, v35, v34, v36
	v_or3_b32 v20, v23, v33, v29
	s_waitcnt vmcnt(2)
	v_dot4c_i32_i8 v11, v12, v14
	v_or3_b32 v12, v16, v18, v13
	s_waitcnt vmcnt(1)
	v_cvt_f32_f16_sdwa v13, v19 dst_sel:DWORD dst_unused:UNUSED_PAD src0_sel:WORD_1
	v_dot4c_i32_i8 v11, v20, v17
	v_dot4c_i32_i8 v11, v12, v15
	v_mul_f32_e32 v12, 0xc1000000, v13
	v_cvt_f32_i32_e32 v11, v11
	v_fma_mix_f32 v11, v19, v11, v12 op_sel_hi:[1,0,0]
	s_waitcnt vmcnt(0)
	v_fma_mix_f32 v4, v11, v10, v4 op_sel_hi:[0,1,0]
	s_andn2_b32 exec_lo, exec_lo, s3
	s_cbranch_execnz .LBB40_9
; %bb.10:
	s_or_b32 exec_lo, exec_lo, s3
.LBB40_11:
	s_or_b32 exec_lo, exec_lo, s7
	s_waitcnt lgkmcnt(0)
	; wave barrier
	buffer_gl0_inv
	s_mov_b32 s0, exec_lo
	v_cmpx_eq_u32_e32 0, v1
	s_cbranch_execz .LBB40_14
; %bb.12:
	v_mbcnt_lo_u32_b32 v1, -1, 0
	v_xor_b32_e32 v2, 16, v1
	v_xor_b32_e32 v3, 8, v1
	v_cmp_gt_i32_e32 vcc_lo, 32, v2
	v_cndmask_b32_e32 v2, v1, v2, vcc_lo
	v_cmp_gt_i32_e32 vcc_lo, 32, v3
	v_lshlrev_b32_e32 v2, 2, v2
	v_cndmask_b32_e32 v3, v1, v3, vcc_lo
	ds_bpermute_b32 v2, v2, v4
	v_lshlrev_b32_e32 v3, 2, v3
	s_waitcnt lgkmcnt(0)
	v_add_f32_e32 v2, v4, v2
	v_xor_b32_e32 v4, 4, v1
	ds_bpermute_b32 v3, v3, v2
	v_cmp_gt_i32_e32 vcc_lo, 32, v4
	v_cndmask_b32_e32 v4, v1, v4, vcc_lo
	v_lshlrev_b32_e32 v4, 2, v4
	s_waitcnt lgkmcnt(0)
	v_add_f32_e32 v2, v2, v3
	ds_bpermute_b32 v3, v4, v2
	v_xor_b32_e32 v4, 2, v1
	v_cmp_gt_i32_e32 vcc_lo, 32, v4
	v_cndmask_b32_e32 v4, v1, v4, vcc_lo
	v_lshlrev_b32_e32 v4, 2, v4
	s_waitcnt lgkmcnt(0)
	v_add_f32_e32 v2, v2, v3
	ds_bpermute_b32 v3, v4, v2
	v_xor_b32_e32 v4, 1, v1
	v_cmp_gt_i32_e32 vcc_lo, 32, v4
	v_cndmask_b32_e32 v1, v1, v4, vcc_lo
	v_cmp_eq_u32_e32 vcc_lo, 0, v0
	v_lshlrev_b32_e32 v4, 2, v1
	s_waitcnt lgkmcnt(0)
	v_add_f32_e32 v1, v2, v3
	ds_bpermute_b32 v2, v4, v1
	s_and_b32 exec_lo, exec_lo, vcc_lo
	s_cbranch_execz .LBB40_14
; %bb.13:
	s_load_dwordx2 s[0:1], s[4:5], 0x38
	s_mul_i32 s2, s2, s10
	s_mul_i32 s3, s14, s8
	s_add_i32 s2, s2, s6
	s_waitcnt lgkmcnt(0)
	v_add_f32_e32 v0, v1, v2
	s_add_i32 s2, s2, s3
	s_mov_b32 s3, 0
	v_mov_b32_e32 v1, 0
	s_lshl_b64 s[2:3], s[2:3], 2
	s_add_u32 s0, s0, s2
	s_addc_u32 s1, s1, s3
	global_store_dword v1, v0, s[0:1]
.LBB40_14:
	s_endpgm
	.section	.rodata,"a",@progbits
	.p2align	6, 0x0
	.amdhsa_kernel _ZL13mul_mat_vec_qIL9ggml_type6ELi1ELb0ELb0EEvPKvS2_PKi31ggml_cuda_mm_fusion_args_devicePfj15HIP_vector_typeIjLj3EEjjjS8_jjjS8_jjjj
		.amdhsa_group_segment_fixed_size 0
		.amdhsa_private_segment_fixed_size 0
		.amdhsa_kernarg_size 144
		.amdhsa_user_sgpr_count 6
		.amdhsa_user_sgpr_private_segment_buffer 1
		.amdhsa_user_sgpr_dispatch_ptr 0
		.amdhsa_user_sgpr_queue_ptr 0
		.amdhsa_user_sgpr_kernarg_segment_ptr 1
		.amdhsa_user_sgpr_dispatch_id 0
		.amdhsa_user_sgpr_flat_scratch_init 0
		.amdhsa_user_sgpr_private_segment_size 0
		.amdhsa_wavefront_size32 1
		.amdhsa_uses_dynamic_stack 0
		.amdhsa_system_sgpr_private_segment_wavefront_offset 0
		.amdhsa_system_sgpr_workgroup_id_x 1
		.amdhsa_system_sgpr_workgroup_id_y 1
		.amdhsa_system_sgpr_workgroup_id_z 1
		.amdhsa_system_sgpr_workgroup_info 0
		.amdhsa_system_vgpr_workitem_id 1
		.amdhsa_next_free_vgpr 37
		.amdhsa_next_free_sgpr 23
		.amdhsa_reserve_vcc 1
		.amdhsa_reserve_flat_scratch 0
		.amdhsa_float_round_mode_32 0
		.amdhsa_float_round_mode_16_64 0
		.amdhsa_float_denorm_mode_32 3
		.amdhsa_float_denorm_mode_16_64 3
		.amdhsa_dx10_clamp 1
		.amdhsa_ieee_mode 1
		.amdhsa_fp16_overflow 0
		.amdhsa_workgroup_processor_mode 1
		.amdhsa_memory_ordered 1
		.amdhsa_forward_progress 1
		.amdhsa_shared_vgpr_count 0
		.amdhsa_exception_fp_ieee_invalid_op 0
		.amdhsa_exception_fp_denorm_src 0
		.amdhsa_exception_fp_ieee_div_zero 0
		.amdhsa_exception_fp_ieee_overflow 0
		.amdhsa_exception_fp_ieee_underflow 0
		.amdhsa_exception_fp_ieee_inexact 0
		.amdhsa_exception_int_div_zero 0
	.end_amdhsa_kernel
	.section	.text._ZL13mul_mat_vec_qIL9ggml_type6ELi1ELb0ELb0EEvPKvS2_PKi31ggml_cuda_mm_fusion_args_devicePfj15HIP_vector_typeIjLj3EEjjjS8_jjjS8_jjjj,"axG",@progbits,_ZL13mul_mat_vec_qIL9ggml_type6ELi1ELb0ELb0EEvPKvS2_PKi31ggml_cuda_mm_fusion_args_devicePfj15HIP_vector_typeIjLj3EEjjjS8_jjjS8_jjjj,comdat
.Lfunc_end40:
	.size	_ZL13mul_mat_vec_qIL9ggml_type6ELi1ELb0ELb0EEvPKvS2_PKi31ggml_cuda_mm_fusion_args_devicePfj15HIP_vector_typeIjLj3EEjjjS8_jjjS8_jjjj, .Lfunc_end40-_ZL13mul_mat_vec_qIL9ggml_type6ELi1ELb0ELb0EEvPKvS2_PKi31ggml_cuda_mm_fusion_args_devicePfj15HIP_vector_typeIjLj3EEjjjS8_jjjS8_jjjj
                                        ; -- End function
	.set _ZL13mul_mat_vec_qIL9ggml_type6ELi1ELb0ELb0EEvPKvS2_PKi31ggml_cuda_mm_fusion_args_devicePfj15HIP_vector_typeIjLj3EEjjjS8_jjjS8_jjjj.num_vgpr, 37
	.set _ZL13mul_mat_vec_qIL9ggml_type6ELi1ELb0ELb0EEvPKvS2_PKi31ggml_cuda_mm_fusion_args_devicePfj15HIP_vector_typeIjLj3EEjjjS8_jjjS8_jjjj.num_agpr, 0
	.set _ZL13mul_mat_vec_qIL9ggml_type6ELi1ELb0ELb0EEvPKvS2_PKi31ggml_cuda_mm_fusion_args_devicePfj15HIP_vector_typeIjLj3EEjjjS8_jjjS8_jjjj.numbered_sgpr, 23
	.set _ZL13mul_mat_vec_qIL9ggml_type6ELi1ELb0ELb0EEvPKvS2_PKi31ggml_cuda_mm_fusion_args_devicePfj15HIP_vector_typeIjLj3EEjjjS8_jjjS8_jjjj.num_named_barrier, 0
	.set _ZL13mul_mat_vec_qIL9ggml_type6ELi1ELb0ELb0EEvPKvS2_PKi31ggml_cuda_mm_fusion_args_devicePfj15HIP_vector_typeIjLj3EEjjjS8_jjjS8_jjjj.private_seg_size, 0
	.set _ZL13mul_mat_vec_qIL9ggml_type6ELi1ELb0ELb0EEvPKvS2_PKi31ggml_cuda_mm_fusion_args_devicePfj15HIP_vector_typeIjLj3EEjjjS8_jjjS8_jjjj.uses_vcc, 1
	.set _ZL13mul_mat_vec_qIL9ggml_type6ELi1ELb0ELb0EEvPKvS2_PKi31ggml_cuda_mm_fusion_args_devicePfj15HIP_vector_typeIjLj3EEjjjS8_jjjS8_jjjj.uses_flat_scratch, 0
	.set _ZL13mul_mat_vec_qIL9ggml_type6ELi1ELb0ELb0EEvPKvS2_PKi31ggml_cuda_mm_fusion_args_devicePfj15HIP_vector_typeIjLj3EEjjjS8_jjjS8_jjjj.has_dyn_sized_stack, 0
	.set _ZL13mul_mat_vec_qIL9ggml_type6ELi1ELb0ELb0EEvPKvS2_PKi31ggml_cuda_mm_fusion_args_devicePfj15HIP_vector_typeIjLj3EEjjjS8_jjjS8_jjjj.has_recursion, 0
	.set _ZL13mul_mat_vec_qIL9ggml_type6ELi1ELb0ELb0EEvPKvS2_PKi31ggml_cuda_mm_fusion_args_devicePfj15HIP_vector_typeIjLj3EEjjjS8_jjjS8_jjjj.has_indirect_call, 0
	.section	.AMDGPU.csdata,"",@progbits
; Kernel info:
; codeLenInByte = 1152
; TotalNumSgprs: 25
; NumVgprs: 37
; ScratchSize: 0
; MemoryBound: 0
; FloatMode: 240
; IeeeMode: 1
; LDSByteSize: 0 bytes/workgroup (compile time only)
; SGPRBlocks: 0
; VGPRBlocks: 4
; NumSGPRsForWavesPerEU: 25
; NumVGPRsForWavesPerEU: 37
; Occupancy: 16
; WaveLimiterHint : 0
; COMPUTE_PGM_RSRC2:SCRATCH_EN: 0
; COMPUTE_PGM_RSRC2:USER_SGPR: 6
; COMPUTE_PGM_RSRC2:TRAP_HANDLER: 0
; COMPUTE_PGM_RSRC2:TGID_X_EN: 1
; COMPUTE_PGM_RSRC2:TGID_Y_EN: 1
; COMPUTE_PGM_RSRC2:TGID_Z_EN: 1
; COMPUTE_PGM_RSRC2:TIDIG_COMP_CNT: 1
	.section	.text._ZL13mul_mat_vec_qIL9ggml_type6ELi2ELb0ELb0EEvPKvS2_PKi31ggml_cuda_mm_fusion_args_devicePfj15HIP_vector_typeIjLj3EEjjjS8_jjjS8_jjjj,"axG",@progbits,_ZL13mul_mat_vec_qIL9ggml_type6ELi2ELb0ELb0EEvPKvS2_PKi31ggml_cuda_mm_fusion_args_devicePfj15HIP_vector_typeIjLj3EEjjjS8_jjjS8_jjjj,comdat
	.globl	_ZL13mul_mat_vec_qIL9ggml_type6ELi2ELb0ELb0EEvPKvS2_PKi31ggml_cuda_mm_fusion_args_devicePfj15HIP_vector_typeIjLj3EEjjjS8_jjjS8_jjjj ; -- Begin function _ZL13mul_mat_vec_qIL9ggml_type6ELi2ELb0ELb0EEvPKvS2_PKi31ggml_cuda_mm_fusion_args_devicePfj15HIP_vector_typeIjLj3EEjjjS8_jjjS8_jjjj
	.p2align	8
	.type	_ZL13mul_mat_vec_qIL9ggml_type6ELi2ELb0ELb0EEvPKvS2_PKi31ggml_cuda_mm_fusion_args_devicePfj15HIP_vector_typeIjLj3EEjjjS8_jjjS8_jjjj,@function
_ZL13mul_mat_vec_qIL9ggml_type6ELi2ELb0ELb0EEvPKvS2_PKi31ggml_cuda_mm_fusion_args_devicePfj15HIP_vector_typeIjLj3EEjjjS8_jjjS8_jjjj: ; @_ZL13mul_mat_vec_qIL9ggml_type6ELi2ELb0ELb0EEvPKvS2_PKi31ggml_cuda_mm_fusion_args_devicePfj15HIP_vector_typeIjLj3EEjjjS8_jjjS8_jjjj
; %bb.0:
	s_clause 0x5
	s_load_dwordx4 s[16:19], s[4:5], 0x80
	s_load_dword s9, s[4:5], 0x40
	s_load_dwordx4 s[0:3], s[4:5], 0x50
	s_load_dword s24, s[4:5], 0x60
	s_load_dwordx4 s[12:15], s[4:5], 0x68
	s_load_dword s25, s[4:5], 0x78
	v_lshl_or_b32 v2, v1, 5, v0
	v_mov_b32_e32 v4, 0
	v_mov_b32_e32 v6, 0
	v_lshrrev_b16 v3, 1, v2
	v_and_b32_e32 v5, 0xffff, v3
	s_waitcnt lgkmcnt(0)
	s_lshr_b32 s19, s9, 5
	s_mov_b32 s9, exec_lo
	v_cmpx_gt_u32_e64 s19, v5
	s_cbranch_execz .LBB41_4
; %bb.1:
	s_load_dwordx4 s[20:23], s[4:5], 0x0
	v_lshlrev_b32_e32 v3, 1, v0
	s_mul_i32 s10, s17, s8
	s_mul_i32 s11, s13, s7
	s_mul_hi_u32 s13, s15, s8
	s_mul_hi_u32 s15, s10, 36
	v_and_b32_e32 v6, 2, v3
	s_mul_i32 s10, s10, 36
	v_and_b32_e32 v3, 1, v0
	v_lshrrev_b32_e32 v2, 1, v2
	s_mul_hi_u32 s17, s11, 36
	s_mul_i32 s11, s11, 36
	s_mul_hi_u32 s3, s3, s7
	v_lshlrev_b32_e32 v7, 2, v6
	v_lshlrev_b32_e32 v10, 1, v6
	;; [unrolled: 1-line block ×3, first 2 shown]
	s_mul_i32 s0, s0, s6
	v_mov_b32_e32 v4, 0
	v_or_b32_e32 v9, 4, v7
	v_lshlrev_b32_e32 v10, 1, v10
	s_waitcnt lgkmcnt(0)
	s_add_u32 s10, s22, s10
	s_addc_u32 s15, s23, s15
	s_add_u32 s10, s10, s11
	s_addc_u32 s11, s15, s17
	s_add_i32 s3, s7, s3
	s_add_i32 s13, s8, s13
	s_lshr_b32 s3, s3, s24
	v_mad_u64_u32 v[2:3], null, v2, 36, s[10:11]
	s_lshr_b32 s13, s13, s25
	s_mul_i32 s3, s3, s12
	v_lshlrev_b32_e32 v11, 2, v6
	v_mov_b32_e32 v6, 0
	s_mul_i32 s12, s13, s16
	s_add_i32 s3, s3, s0
	s_add_i32 s12, s12, s3
	s_mov_b32 s3, 0
.LBB41_2:                               ; =>This Inner Loop Header: Depth=1
	v_add_nc_u32_e32 v12, s12, v5
	v_add_nc_u32_e32 v16, s1, v5
	;; [unrolled: 1-line block ×3, first 2 shown]
	v_mad_i64_i32 v[12:13], null, v12, 22, s[20:21]
	v_mad_u64_u32 v[16:17], null, v16, 36, s[10:11]
	v_cmp_le_u32_e64 s0, s19, v5
	v_add_co_u32 v14, vcc_lo, v12, v10
	v_add_co_ci_u32_e64 v15, null, 0, v13, vcc_lo
	v_add_co_u32 v18, vcc_lo, v2, v8
	s_clause 0x1
	global_load_dword v26, v[12:13], off offset:2
	global_load_dwordx2 v[14:15], v[14:15], off offset:6
	v_add_co_ci_u32_e64 v19, null, 0, v3, vcc_lo
	v_add_co_u32 v20, vcc_lo, v16, v11
	v_add_co_ci_u32_e64 v21, null, 0, v17, vcc_lo
	global_load_dwordx2 v[22:23], v[18:19], off offset:4
	global_load_dwordx2 v[24:25], v[20:21], off offset:4
	;; [unrolled: 1-line block ×4, first 2 shown]
	global_load_dword v27, v[2:3], off
	global_load_dword v16, v[16:17], off
	global_load_ushort v12, v[12:13], off
	v_mov_b32_e32 v13, 0
	v_mov_b32_e32 v17, 0
	v_add_co_u32 v2, vcc_lo, 0x240, v2
	v_add_co_ci_u32_e64 v3, null, 0, v3, vcc_lo
	s_or_b32 s3, s0, s3
	s_waitcnt vmcnt(8)
	v_ashrrev_i32_e32 v28, v7, v26
	v_ashrrev_i32_e32 v26, v9, v26
	s_waitcnt vmcnt(7)
	v_and_b32_e32 v29, 0xf0f0f0f, v14
	v_lshrrev_b32_e32 v14, 4, v14
	v_and_b32_e32 v37, 0xf0f0f0f, v15
	v_lshlrev_b32_e32 v30, 4, v28
	v_lshlrev_b32_e32 v31, 11, v28
	v_lshlrev_b32_e32 v32, 18, v28
	v_lshlrev_b32_e32 v33, 25, v28
	v_lshrrev_b32_e32 v34, 12, v28
	v_lshrrev_b32_e32 v35, 5, v28
	v_lshlrev_b32_e32 v36, 2, v28
	v_and_b32_e32 v30, 16, v30
	v_and_b32_e32 v31, 0x1000, v31
	v_lshlrev_b32_e32 v28, 9, v28
	v_lshlrev_b32_e32 v38, 4, v26
	;; [unrolled: 1-line block ×4, first 2 shown]
	v_and_b32_e32 v32, 0x100000, v32
	v_and_b32_e32 v33, 0x10000000, v33
	;; [unrolled: 1-line block ×5, first 2 shown]
	v_or3_b32 v29, v30, v29, v31
	v_lshlrev_b32_e32 v41, 25, v26
	v_lshrrev_b32_e32 v42, 12, v26
	v_lshrrev_b32_e32 v43, 5, v26
	v_lshlrev_b32_e32 v44, 2, v26
	v_and_b32_e32 v14, 0xf0f0f0f, v14
	v_and_b32_e32 v28, 0x10000000, v28
	;; [unrolled: 1-line block ×5, first 2 shown]
	v_or3_b32 v34, v35, v34, v36
	v_or3_b32 v29, v29, v32, v33
	v_lshrrev_b32_e32 v15, 4, v15
	v_lshlrev_b32_e32 v26, 9, v26
	v_and_b32_e32 v41, 0x10000000, v41
	v_and_b32_e32 v30, 16, v42
	;; [unrolled: 1-line block ×4, first 2 shown]
	v_or3_b32 v33, v39, v38, v40
	v_or3_b32 v14, v34, v28, v14
	s_waitcnt vmcnt(6)
	v_dot4c_i32_i8 v13, v29, v22
	s_waitcnt vmcnt(5)
	v_dot4c_i32_i8 v17, v29, v24
	v_and_b32_e32 v15, 0xf0f0f0f, v15
	v_and_b32_e32 v22, 0x10000000, v26
	v_or3_b32 v24, v31, v30, v32
	v_or3_b32 v26, v33, v41, v37
	s_waitcnt vmcnt(4)
	v_dot4c_i32_i8 v13, v14, v18
	s_waitcnt vmcnt(3)
	v_dot4c_i32_i8 v17, v14, v20
	s_waitcnt vmcnt(1)
	v_cvt_f32_f16_sdwa v18, v16 dst_sel:DWORD dst_unused:UNUSED_PAD src0_sel:WORD_1
	v_or3_b32 v14, v24, v22, v15
	v_cvt_f32_f16_sdwa v15, v27 dst_sel:DWORD dst_unused:UNUSED_PAD src0_sel:WORD_1
	v_dot4c_i32_i8 v13, v26, v23
	v_dot4c_i32_i8 v17, v26, v25
	;; [unrolled: 1-line block ×4, first 2 shown]
	v_mul_f32_e32 v14, 0x41000000, v15
	v_mul_f32_e32 v15, 0x41000000, v18
	v_cvt_f32_i32_e32 v13, v13
	v_cvt_f32_i32_e32 v17, v17
	v_fma_mix_f32 v13, v27, v13, -v14 op_sel_hi:[1,0,0]
	v_fma_mix_f32 v14, v16, v17, -v15 op_sel_hi:[1,0,0]
	s_waitcnt vmcnt(0)
	v_fma_mix_f32 v6, v13, v12, v6 op_sel_hi:[0,1,0]
	v_fma_mix_f32 v4, v14, v12, v4 op_sel_hi:[0,1,0]
	s_andn2_b32 exec_lo, exec_lo, s3
	s_cbranch_execnz .LBB41_2
; %bb.3:
	s_or_b32 exec_lo, exec_lo, s3
.LBB41_4:
	s_or_b32 exec_lo, exec_lo, s9
	s_mov_b32 s1, 0
	; wave barrier
	buffer_gl0_inv
	s_mov_b32 s0, exec_lo
	v_cmpx_eq_u32_e32 0, v1
	s_cbranch_execz .LBB41_9
; %bb.5:
	v_mbcnt_lo_u32_b32 v7, -1, 0
	s_load_dwordx2 s[4:5], s[4:5], 0x38
	s_mul_i32 s0, s14, s7
	s_mul_i32 s3, s18, s8
	s_add_i32 s0, s0, s6
	v_xor_b32_e32 v1, 16, v7
	v_xor_b32_e32 v2, 8, v7
	s_add_i32 s0, s0, s3
	s_lshl_b64 s[0:1], s[0:1], 2
	v_cmp_gt_i32_e32 vcc_lo, 32, v1
	v_cndmask_b32_e32 v1, v7, v1, vcc_lo
	v_cmp_gt_i32_e32 vcc_lo, 32, v2
	v_lshlrev_b32_e32 v1, 2, v1
	v_cndmask_b32_e32 v2, v7, v2, vcc_lo
	s_waitcnt lgkmcnt(0)
	s_add_u32 s0, s4, s0
	s_addc_u32 s1, s5, s1
	ds_bpermute_b32 v3, v1, v6
	v_lshlrev_b32_e32 v2, 2, v2
	s_waitcnt lgkmcnt(0)
	v_add_f32_e32 v5, v6, v3
	v_xor_b32_e32 v3, 4, v7
	ds_bpermute_b32 v6, v2, v5
	v_cmp_gt_i32_e32 vcc_lo, 32, v3
	v_cndmask_b32_e32 v3, v7, v3, vcc_lo
	v_lshlrev_b32_e32 v3, 2, v3
	s_waitcnt lgkmcnt(0)
	v_add_f32_e32 v6, v5, v6
	v_xor_b32_e32 v5, 2, v7
	ds_bpermute_b32 v8, v3, v6
	v_cmp_gt_i32_e32 vcc_lo, 32, v5
	v_cndmask_b32_e32 v5, v7, v5, vcc_lo
	;; [unrolled: 7-line block ×3, first 2 shown]
	v_cmp_eq_u32_e32 vcc_lo, 0, v0
	v_lshlrev_b32_e32 v6, 2, v6
	s_waitcnt lgkmcnt(0)
	v_add_f32_e32 v7, v8, v9
	ds_bpermute_b32 v8, v6, v7
	s_and_saveexec_b32 s3, vcc_lo
	s_cbranch_execz .LBB41_7
; %bb.6:
	s_waitcnt lgkmcnt(0)
	v_add_f32_e32 v0, v7, v8
	v_mov_b32_e32 v7, 0
	global_store_dword v7, v0, s[0:1]
.LBB41_7:
	s_or_b32 exec_lo, exec_lo, s3
	ds_bpermute_b32 v0, v1, v4
	s_waitcnt lgkmcnt(0)
	v_add_f32_e32 v0, v4, v0
	ds_bpermute_b32 v1, v2, v0
	s_waitcnt lgkmcnt(0)
	v_add_f32_e32 v0, v0, v1
	;; [unrolled: 3-line block ×4, first 2 shown]
	ds_bpermute_b32 v1, v6, v0
	s_and_b32 exec_lo, exec_lo, vcc_lo
	s_cbranch_execz .LBB41_9
; %bb.8:
	s_mov_b32 s3, 0
	s_waitcnt lgkmcnt(0)
	v_add_f32_e32 v0, v0, v1
	s_lshl_b64 s[2:3], s[2:3], 2
	v_mov_b32_e32 v1, 0
	s_add_u32 s0, s0, s2
	s_addc_u32 s1, s1, s3
	global_store_dword v1, v0, s[0:1]
.LBB41_9:
	s_endpgm
	.section	.rodata,"a",@progbits
	.p2align	6, 0x0
	.amdhsa_kernel _ZL13mul_mat_vec_qIL9ggml_type6ELi2ELb0ELb0EEvPKvS2_PKi31ggml_cuda_mm_fusion_args_devicePfj15HIP_vector_typeIjLj3EEjjjS8_jjjS8_jjjj
		.amdhsa_group_segment_fixed_size 0
		.amdhsa_private_segment_fixed_size 0
		.amdhsa_kernarg_size 144
		.amdhsa_user_sgpr_count 6
		.amdhsa_user_sgpr_private_segment_buffer 1
		.amdhsa_user_sgpr_dispatch_ptr 0
		.amdhsa_user_sgpr_queue_ptr 0
		.amdhsa_user_sgpr_kernarg_segment_ptr 1
		.amdhsa_user_sgpr_dispatch_id 0
		.amdhsa_user_sgpr_flat_scratch_init 0
		.amdhsa_user_sgpr_private_segment_size 0
		.amdhsa_wavefront_size32 1
		.amdhsa_uses_dynamic_stack 0
		.amdhsa_system_sgpr_private_segment_wavefront_offset 0
		.amdhsa_system_sgpr_workgroup_id_x 1
		.amdhsa_system_sgpr_workgroup_id_y 1
		.amdhsa_system_sgpr_workgroup_id_z 1
		.amdhsa_system_sgpr_workgroup_info 0
		.amdhsa_system_vgpr_workitem_id 1
		.amdhsa_next_free_vgpr 45
		.amdhsa_next_free_sgpr 26
		.amdhsa_reserve_vcc 1
		.amdhsa_reserve_flat_scratch 0
		.amdhsa_float_round_mode_32 0
		.amdhsa_float_round_mode_16_64 0
		.amdhsa_float_denorm_mode_32 3
		.amdhsa_float_denorm_mode_16_64 3
		.amdhsa_dx10_clamp 1
		.amdhsa_ieee_mode 1
		.amdhsa_fp16_overflow 0
		.amdhsa_workgroup_processor_mode 1
		.amdhsa_memory_ordered 1
		.amdhsa_forward_progress 1
		.amdhsa_shared_vgpr_count 0
		.amdhsa_exception_fp_ieee_invalid_op 0
		.amdhsa_exception_fp_denorm_src 0
		.amdhsa_exception_fp_ieee_div_zero 0
		.amdhsa_exception_fp_ieee_overflow 0
		.amdhsa_exception_fp_ieee_underflow 0
		.amdhsa_exception_fp_ieee_inexact 0
		.amdhsa_exception_int_div_zero 0
	.end_amdhsa_kernel
	.section	.text._ZL13mul_mat_vec_qIL9ggml_type6ELi2ELb0ELb0EEvPKvS2_PKi31ggml_cuda_mm_fusion_args_devicePfj15HIP_vector_typeIjLj3EEjjjS8_jjjS8_jjjj,"axG",@progbits,_ZL13mul_mat_vec_qIL9ggml_type6ELi2ELb0ELb0EEvPKvS2_PKi31ggml_cuda_mm_fusion_args_devicePfj15HIP_vector_typeIjLj3EEjjjS8_jjjS8_jjjj,comdat
.Lfunc_end41:
	.size	_ZL13mul_mat_vec_qIL9ggml_type6ELi2ELb0ELb0EEvPKvS2_PKi31ggml_cuda_mm_fusion_args_devicePfj15HIP_vector_typeIjLj3EEjjjS8_jjjS8_jjjj, .Lfunc_end41-_ZL13mul_mat_vec_qIL9ggml_type6ELi2ELb0ELb0EEvPKvS2_PKi31ggml_cuda_mm_fusion_args_devicePfj15HIP_vector_typeIjLj3EEjjjS8_jjjS8_jjjj
                                        ; -- End function
	.set _ZL13mul_mat_vec_qIL9ggml_type6ELi2ELb0ELb0EEvPKvS2_PKi31ggml_cuda_mm_fusion_args_devicePfj15HIP_vector_typeIjLj3EEjjjS8_jjjS8_jjjj.num_vgpr, 45
	.set _ZL13mul_mat_vec_qIL9ggml_type6ELi2ELb0ELb0EEvPKvS2_PKi31ggml_cuda_mm_fusion_args_devicePfj15HIP_vector_typeIjLj3EEjjjS8_jjjS8_jjjj.num_agpr, 0
	.set _ZL13mul_mat_vec_qIL9ggml_type6ELi2ELb0ELb0EEvPKvS2_PKi31ggml_cuda_mm_fusion_args_devicePfj15HIP_vector_typeIjLj3EEjjjS8_jjjS8_jjjj.numbered_sgpr, 26
	.set _ZL13mul_mat_vec_qIL9ggml_type6ELi2ELb0ELb0EEvPKvS2_PKi31ggml_cuda_mm_fusion_args_devicePfj15HIP_vector_typeIjLj3EEjjjS8_jjjS8_jjjj.num_named_barrier, 0
	.set _ZL13mul_mat_vec_qIL9ggml_type6ELi2ELb0ELb0EEvPKvS2_PKi31ggml_cuda_mm_fusion_args_devicePfj15HIP_vector_typeIjLj3EEjjjS8_jjjS8_jjjj.private_seg_size, 0
	.set _ZL13mul_mat_vec_qIL9ggml_type6ELi2ELb0ELb0EEvPKvS2_PKi31ggml_cuda_mm_fusion_args_devicePfj15HIP_vector_typeIjLj3EEjjjS8_jjjS8_jjjj.uses_vcc, 1
	.set _ZL13mul_mat_vec_qIL9ggml_type6ELi2ELb0ELb0EEvPKvS2_PKi31ggml_cuda_mm_fusion_args_devicePfj15HIP_vector_typeIjLj3EEjjjS8_jjjS8_jjjj.uses_flat_scratch, 0
	.set _ZL13mul_mat_vec_qIL9ggml_type6ELi2ELb0ELb0EEvPKvS2_PKi31ggml_cuda_mm_fusion_args_devicePfj15HIP_vector_typeIjLj3EEjjjS8_jjjS8_jjjj.has_dyn_sized_stack, 0
	.set _ZL13mul_mat_vec_qIL9ggml_type6ELi2ELb0ELb0EEvPKvS2_PKi31ggml_cuda_mm_fusion_args_devicePfj15HIP_vector_typeIjLj3EEjjjS8_jjjS8_jjjj.has_recursion, 0
	.set _ZL13mul_mat_vec_qIL9ggml_type6ELi2ELb0ELb0EEvPKvS2_PKi31ggml_cuda_mm_fusion_args_devicePfj15HIP_vector_typeIjLj3EEjjjS8_jjjS8_jjjj.has_indirect_call, 0
	.section	.AMDGPU.csdata,"",@progbits
; Kernel info:
; codeLenInByte = 1276
; TotalNumSgprs: 28
; NumVgprs: 45
; ScratchSize: 0
; MemoryBound: 0
; FloatMode: 240
; IeeeMode: 1
; LDSByteSize: 0 bytes/workgroup (compile time only)
; SGPRBlocks: 0
; VGPRBlocks: 5
; NumSGPRsForWavesPerEU: 28
; NumVGPRsForWavesPerEU: 45
; Occupancy: 16
; WaveLimiterHint : 0
; COMPUTE_PGM_RSRC2:SCRATCH_EN: 0
; COMPUTE_PGM_RSRC2:USER_SGPR: 6
; COMPUTE_PGM_RSRC2:TRAP_HANDLER: 0
; COMPUTE_PGM_RSRC2:TGID_X_EN: 1
; COMPUTE_PGM_RSRC2:TGID_Y_EN: 1
; COMPUTE_PGM_RSRC2:TGID_Z_EN: 1
; COMPUTE_PGM_RSRC2:TIDIG_COMP_CNT: 1
	.section	.text._ZL13mul_mat_vec_qIL9ggml_type6ELi3ELb0ELb0EEvPKvS2_PKi31ggml_cuda_mm_fusion_args_devicePfj15HIP_vector_typeIjLj3EEjjjS8_jjjS8_jjjj,"axG",@progbits,_ZL13mul_mat_vec_qIL9ggml_type6ELi3ELb0ELb0EEvPKvS2_PKi31ggml_cuda_mm_fusion_args_devicePfj15HIP_vector_typeIjLj3EEjjjS8_jjjS8_jjjj,comdat
	.globl	_ZL13mul_mat_vec_qIL9ggml_type6ELi3ELb0ELb0EEvPKvS2_PKi31ggml_cuda_mm_fusion_args_devicePfj15HIP_vector_typeIjLj3EEjjjS8_jjjS8_jjjj ; -- Begin function _ZL13mul_mat_vec_qIL9ggml_type6ELi3ELb0ELb0EEvPKvS2_PKi31ggml_cuda_mm_fusion_args_devicePfj15HIP_vector_typeIjLj3EEjjjS8_jjjS8_jjjj
	.p2align	8
	.type	_ZL13mul_mat_vec_qIL9ggml_type6ELi3ELb0ELb0EEvPKvS2_PKi31ggml_cuda_mm_fusion_args_devicePfj15HIP_vector_typeIjLj3EEjjjS8_jjjS8_jjjj,@function
_ZL13mul_mat_vec_qIL9ggml_type6ELi3ELb0ELb0EEvPKvS2_PKi31ggml_cuda_mm_fusion_args_devicePfj15HIP_vector_typeIjLj3EEjjjS8_jjjS8_jjjj: ; @_ZL13mul_mat_vec_qIL9ggml_type6ELi3ELb0ELb0EEvPKvS2_PKi31ggml_cuda_mm_fusion_args_devicePfj15HIP_vector_typeIjLj3EEjjjS8_jjjS8_jjjj
; %bb.0:
	s_clause 0x5
	s_load_dwordx4 s[16:19], s[4:5], 0x80
	s_load_dword s9, s[4:5], 0x40
	s_load_dwordx4 s[0:3], s[4:5], 0x50
	s_load_dword s24, s[4:5], 0x60
	;; [unrolled: 2-line block ×3, first 2 shown]
	v_lshl_or_b32 v2, v1, 5, v0
	v_mov_b32_e32 v4, 0
	v_mov_b32_e32 v5, 0
	;; [unrolled: 1-line block ×3, first 2 shown]
	v_lshrrev_b16 v3, 1, v2
	v_and_b32_e32 v6, 0xffff, v3
	s_waitcnt lgkmcnt(0)
	s_lshr_b32 s19, s9, 5
	s_mov_b32 s9, exec_lo
	v_cmpx_gt_u32_e64 s19, v6
	s_cbranch_execz .LBB42_4
; %bb.1:
	s_load_dwordx4 s[20:23], s[4:5], 0x0
	v_lshlrev_b32_e32 v3, 1, v0
	s_mul_i32 s10, s17, s8
	s_mul_i32 s11, s13, s7
	s_mul_hi_u32 s13, s15, s8
	s_mul_hi_u32 s15, s10, 36
	v_and_b32_e32 v5, 2, v3
	s_mul_i32 s10, s10, 36
	v_and_b32_e32 v3, 1, v0
	v_lshrrev_b32_e32 v2, 1, v2
	s_mul_hi_u32 s17, s11, 36
	s_mul_i32 s11, s11, 36
	s_mul_hi_u32 s3, s3, s7
	v_lshlrev_b32_e32 v8, 2, v5
	v_lshlrev_b32_e32 v7, 1, v5
	;; [unrolled: 1-line block ×3, first 2 shown]
	s_mul_i32 s0, s0, s6
	v_mov_b32_e32 v4, 0
	v_or_b32_e32 v10, 4, v8
	v_lshlrev_b32_e32 v11, 1, v7
	s_waitcnt lgkmcnt(0)
	s_add_u32 s10, s22, s10
	s_addc_u32 s15, s23, s15
	s_add_u32 s10, s10, s11
	s_addc_u32 s11, s15, s17
	s_add_i32 s3, s7, s3
	s_add_i32 s13, s8, s13
	s_lshr_b32 s3, s3, s24
	v_mad_u64_u32 v[2:3], null, v2, 36, s[10:11]
	s_lshr_b32 s13, s13, s25
	s_mul_i32 s3, s3, s12
	v_lshlrev_b32_e32 v12, 2, v5
	v_mov_b32_e32 v5, 0
	v_mov_b32_e32 v7, 0
	s_mul_i32 s12, s13, s16
	s_add_i32 s3, s3, s0
	s_add_i32 s0, s12, s3
	s_lshl_b32 s12, s1, 1
	s_mov_b32 s3, 0
.LBB42_2:                               ; =>This Inner Loop Header: Depth=1
	v_add_nc_u32_e32 v15, s0, v6
	v_add_co_u32 v13, vcc_lo, v2, v9
	v_add_co_ci_u32_e64 v14, null, 0, v3, vcc_lo
	v_mad_i64_i32 v[15:16], null, v15, 22, s[20:21]
	v_add_nc_u32_e32 v19, s1, v6
	v_add_nc_u32_e32 v21, s12, v6
	s_clause 0x2
	global_load_dword v33, v[2:3], off
	global_load_dwordx2 v[17:18], v[13:14], off offset:4
	global_load_dwordx2 v[13:14], v[13:14], off offset:20
	v_add_nc_u32_e32 v6, 16, v6
	v_mad_u64_u32 v[19:20], null, v19, 36, s[10:11]
	global_load_dword v34, v[15:16], off offset:2
	v_mad_u64_u32 v[21:22], null, v21, 36, s[10:11]
	v_add_co_u32 v23, vcc_lo, v15, v11
	v_add_co_ci_u32_e64 v24, null, 0, v16, vcc_lo
	v_add_co_u32 v25, vcc_lo, v19, v12
	v_add_co_ci_u32_e64 v26, null, 0, v20, vcc_lo
	;; [unrolled: 2-line block ×3, first 2 shown]
	global_load_dwordx2 v[23:24], v[23:24], off offset:6
	s_clause 0x5
	global_load_dwordx2 v[29:30], v[27:28], off offset:4
	global_load_dwordx2 v[27:28], v[27:28], off offset:20
	;; [unrolled: 1-line block ×4, first 2 shown]
	global_load_dword v21, v[21:22], off
	global_load_dword v19, v[19:20], off
	global_load_ushort v15, v[15:16], off
	v_mov_b32_e32 v16, 0
	v_mov_b32_e32 v20, 0
	;; [unrolled: 1-line block ×3, first 2 shown]
	v_add_co_u32 v2, vcc_lo, 0x240, v2
	v_add_co_ci_u32_e64 v3, null, 0, v3, vcc_lo
	v_cmp_le_u32_e32 vcc_lo, s19, v6
	s_or_b32 s3, vcc_lo, s3
	s_waitcnt vmcnt(11)
	v_cvt_f32_f16_sdwa v35, v33 dst_sel:DWORD dst_unused:UNUSED_PAD src0_sel:WORD_1
	v_mul_f32_e32 v35, 0x41000000, v35
	s_waitcnt vmcnt(8)
	v_ashrrev_i32_e32 v36, v8, v34
	v_ashrrev_i32_e32 v34, v10, v34
	v_lshlrev_b32_e32 v38, 4, v36
	v_lshlrev_b32_e32 v39, 11, v36
	;; [unrolled: 1-line block ×4, first 2 shown]
	s_waitcnt vmcnt(7)
	v_and_b32_e32 v37, 0xf0f0f0f, v23
	v_lshrrev_b32_e32 v42, 12, v36
	v_lshrrev_b32_e32 v43, 5, v36
	v_lshlrev_b32_e32 v44, 2, v36
	v_and_b32_e32 v38, 16, v38
	v_and_b32_e32 v39, 0x1000, v39
	v_lshrrev_b32_e32 v23, 4, v23
	v_lshlrev_b32_e32 v36, 9, v36
	v_lshlrev_b32_e32 v46, 4, v34
	;; [unrolled: 1-line block ×4, first 2 shown]
	v_and_b32_e32 v40, 0x100000, v40
	v_and_b32_e32 v41, 0x10000000, v41
	;; [unrolled: 1-line block ×5, first 2 shown]
	v_or3_b32 v37, v38, v37, v39
	v_lshlrev_b32_e32 v49, 25, v34
	v_lshrrev_b32_e32 v50, 12, v34
	v_lshrrev_b32_e32 v51, 5, v34
	v_lshlrev_b32_e32 v52, 2, v34
	v_and_b32_e32 v23, 0xf0f0f0f, v23
	v_and_b32_e32 v36, 0x10000000, v36
	;; [unrolled: 1-line block ×5, first 2 shown]
	v_or3_b32 v38, v43, v42, v44
	v_or3_b32 v37, v37, v40, v41
	v_and_b32_e32 v45, 0xf0f0f0f, v24
	v_lshrrev_b32_e32 v24, 4, v24
	v_lshlrev_b32_e32 v34, 9, v34
	v_and_b32_e32 v49, 0x10000000, v49
	v_and_b32_e32 v50, 16, v50
	;; [unrolled: 1-line block ×4, first 2 shown]
	v_or3_b32 v39, v47, v46, v48
	v_or3_b32 v23, v38, v36, v23
	v_dot4c_i32_i8 v16, v37, v17
	s_waitcnt vmcnt(4)
	v_dot4c_i32_i8 v20, v37, v31
	v_dot4c_i32_i8 v22, v37, v29
	v_and_b32_e32 v24, 0xf0f0f0f, v24
	v_and_b32_e32 v34, 0x10000000, v34
	v_or3_b32 v42, v51, v50, v52
	v_or3_b32 v17, v39, v49, v45
	v_dot4c_i32_i8 v16, v23, v13
	s_waitcnt vmcnt(3)
	v_dot4c_i32_i8 v20, v23, v25
	v_dot4c_i32_i8 v22, v23, v27
	v_or3_b32 v13, v42, v34, v24
	s_waitcnt vmcnt(1)
	v_cvt_f32_f16_sdwa v53, v19 dst_sel:DWORD dst_unused:UNUSED_PAD src0_sel:WORD_1
	v_dot4c_i32_i8 v16, v17, v18
	v_dot4c_i32_i8 v20, v17, v32
	;; [unrolled: 1-line block ×3, first 2 shown]
	v_cvt_f32_f16_sdwa v54, v21 dst_sel:DWORD dst_unused:UNUSED_PAD src0_sel:WORD_1
	v_mul_f32_e32 v17, 0x41000000, v53
	v_dot4c_i32_i8 v16, v13, v14
	v_dot4c_i32_i8 v20, v13, v26
	;; [unrolled: 1-line block ×3, first 2 shown]
	v_mul_f32_e32 v13, 0x41000000, v54
	v_cvt_f32_i32_e32 v14, v16
	v_cvt_f32_i32_e32 v16, v20
	v_cvt_f32_i32_e32 v18, v22
	v_fma_mix_f32 v14, v33, v14, -v35 op_sel_hi:[1,0,0]
	v_fma_mix_f32 v16, v19, v16, -v17 op_sel_hi:[1,0,0]
	;; [unrolled: 1-line block ×3, first 2 shown]
	s_waitcnt vmcnt(0)
	v_fma_mix_f32 v7, v14, v15, v7 op_sel_hi:[0,1,0]
	v_fma_mix_f32 v5, v16, v15, v5 op_sel_hi:[0,1,0]
	v_fma_mix_f32 v4, v13, v15, v4 op_sel_hi:[0,1,0]
	s_andn2_b32 exec_lo, exec_lo, s3
	s_cbranch_execnz .LBB42_2
; %bb.3:
	s_or_b32 exec_lo, exec_lo, s3
.LBB42_4:
	s_or_b32 exec_lo, exec_lo, s9
	s_mov_b32 s1, 0
	; wave barrier
	buffer_gl0_inv
	s_mov_b32 s0, exec_lo
	v_cmpx_eq_u32_e32 0, v1
	s_cbranch_execz .LBB42_11
; %bb.5:
	v_mbcnt_lo_u32_b32 v8, -1, 0
	s_load_dwordx2 s[4:5], s[4:5], 0x38
	s_mul_i32 s0, s14, s7
	s_mul_i32 s3, s18, s8
	s_add_i32 s0, s0, s6
	v_xor_b32_e32 v1, 16, v8
	v_xor_b32_e32 v2, 8, v8
	s_add_i32 s0, s0, s3
	s_lshl_b64 s[0:1], s[0:1], 2
	v_cmp_gt_i32_e32 vcc_lo, 32, v1
	v_cndmask_b32_e32 v1, v8, v1, vcc_lo
	v_cmp_gt_i32_e32 vcc_lo, 32, v2
	v_lshlrev_b32_e32 v1, 2, v1
	v_cndmask_b32_e32 v2, v8, v2, vcc_lo
	s_waitcnt lgkmcnt(0)
	s_add_u32 s0, s4, s0
	s_addc_u32 s1, s5, s1
	ds_bpermute_b32 v3, v1, v7
	v_lshlrev_b32_e32 v2, 2, v2
	s_waitcnt lgkmcnt(0)
	v_add_f32_e32 v6, v7, v3
	v_xor_b32_e32 v3, 4, v8
	ds_bpermute_b32 v7, v2, v6
	v_cmp_gt_i32_e32 vcc_lo, 32, v3
	v_cndmask_b32_e32 v3, v8, v3, vcc_lo
	v_lshlrev_b32_e32 v3, 2, v3
	s_waitcnt lgkmcnt(0)
	v_add_f32_e32 v7, v6, v7
	v_xor_b32_e32 v6, 2, v8
	ds_bpermute_b32 v9, v3, v7
	v_cmp_gt_i32_e32 vcc_lo, 32, v6
	v_cndmask_b32_e32 v6, v8, v6, vcc_lo
	;; [unrolled: 7-line block ×3, first 2 shown]
	v_cmp_eq_u32_e32 vcc_lo, 0, v0
	v_lshlrev_b32_e32 v7, 2, v7
	s_waitcnt lgkmcnt(0)
	v_add_f32_e32 v8, v9, v10
	ds_bpermute_b32 v9, v7, v8
	s_and_saveexec_b32 s3, vcc_lo
	s_cbranch_execz .LBB42_7
; %bb.6:
	s_waitcnt lgkmcnt(0)
	v_add_f32_e32 v0, v8, v9
	v_mov_b32_e32 v8, 0
	global_store_dword v8, v0, s[0:1]
.LBB42_7:
	s_or_b32 exec_lo, exec_lo, s3
	ds_bpermute_b32 v0, v1, v5
	s_waitcnt lgkmcnt(0)
	v_add_f32_e32 v0, v5, v0
	ds_bpermute_b32 v5, v2, v0
	s_waitcnt lgkmcnt(0)
	v_add_f32_e32 v0, v0, v5
	;; [unrolled: 3-line block ×4, first 2 shown]
	ds_bpermute_b32 v5, v7, v0
	s_and_saveexec_b32 s4, vcc_lo
	s_cbranch_execz .LBB42_9
; %bb.8:
	s_mov_b32 s3, 0
	s_waitcnt lgkmcnt(0)
	v_add_f32_e32 v0, v0, v5
	s_lshl_b64 s[6:7], s[2:3], 2
	v_mov_b32_e32 v5, 0
	s_add_u32 s6, s0, s6
	s_addc_u32 s7, s1, s7
	global_store_dword v5, v0, s[6:7]
.LBB42_9:
	s_or_b32 exec_lo, exec_lo, s4
	ds_bpermute_b32 v0, v1, v4
	s_waitcnt lgkmcnt(0)
	v_add_f32_e32 v0, v4, v0
	ds_bpermute_b32 v1, v2, v0
	s_waitcnt lgkmcnt(0)
	v_add_f32_e32 v0, v0, v1
	;; [unrolled: 3-line block ×4, first 2 shown]
	ds_bpermute_b32 v1, v7, v0
	s_and_b32 exec_lo, exec_lo, vcc_lo
	s_cbranch_execz .LBB42_11
; %bb.10:
	s_lshl_b32 s2, s2, 1
	s_mov_b32 s3, 0
	s_waitcnt lgkmcnt(0)
	v_add_f32_e32 v0, v0, v1
	s_lshl_b64 s[2:3], s[2:3], 2
	v_mov_b32_e32 v1, 0
	s_add_u32 s0, s0, s2
	s_addc_u32 s1, s1, s3
	global_store_dword v1, v0, s[0:1]
.LBB42_11:
	s_endpgm
	.section	.rodata,"a",@progbits
	.p2align	6, 0x0
	.amdhsa_kernel _ZL13mul_mat_vec_qIL9ggml_type6ELi3ELb0ELb0EEvPKvS2_PKi31ggml_cuda_mm_fusion_args_devicePfj15HIP_vector_typeIjLj3EEjjjS8_jjjS8_jjjj
		.amdhsa_group_segment_fixed_size 0
		.amdhsa_private_segment_fixed_size 0
		.amdhsa_kernarg_size 144
		.amdhsa_user_sgpr_count 6
		.amdhsa_user_sgpr_private_segment_buffer 1
		.amdhsa_user_sgpr_dispatch_ptr 0
		.amdhsa_user_sgpr_queue_ptr 0
		.amdhsa_user_sgpr_kernarg_segment_ptr 1
		.amdhsa_user_sgpr_dispatch_id 0
		.amdhsa_user_sgpr_flat_scratch_init 0
		.amdhsa_user_sgpr_private_segment_size 0
		.amdhsa_wavefront_size32 1
		.amdhsa_uses_dynamic_stack 0
		.amdhsa_system_sgpr_private_segment_wavefront_offset 0
		.amdhsa_system_sgpr_workgroup_id_x 1
		.amdhsa_system_sgpr_workgroup_id_y 1
		.amdhsa_system_sgpr_workgroup_id_z 1
		.amdhsa_system_sgpr_workgroup_info 0
		.amdhsa_system_vgpr_workitem_id 1
		.amdhsa_next_free_vgpr 55
		.amdhsa_next_free_sgpr 26
		.amdhsa_reserve_vcc 1
		.amdhsa_reserve_flat_scratch 0
		.amdhsa_float_round_mode_32 0
		.amdhsa_float_round_mode_16_64 0
		.amdhsa_float_denorm_mode_32 3
		.amdhsa_float_denorm_mode_16_64 3
		.amdhsa_dx10_clamp 1
		.amdhsa_ieee_mode 1
		.amdhsa_fp16_overflow 0
		.amdhsa_workgroup_processor_mode 1
		.amdhsa_memory_ordered 1
		.amdhsa_forward_progress 1
		.amdhsa_shared_vgpr_count 0
		.amdhsa_exception_fp_ieee_invalid_op 0
		.amdhsa_exception_fp_denorm_src 0
		.amdhsa_exception_fp_ieee_div_zero 0
		.amdhsa_exception_fp_ieee_overflow 0
		.amdhsa_exception_fp_ieee_underflow 0
		.amdhsa_exception_fp_ieee_inexact 0
		.amdhsa_exception_int_div_zero 0
	.end_amdhsa_kernel
	.section	.text._ZL13mul_mat_vec_qIL9ggml_type6ELi3ELb0ELb0EEvPKvS2_PKi31ggml_cuda_mm_fusion_args_devicePfj15HIP_vector_typeIjLj3EEjjjS8_jjjS8_jjjj,"axG",@progbits,_ZL13mul_mat_vec_qIL9ggml_type6ELi3ELb0ELb0EEvPKvS2_PKi31ggml_cuda_mm_fusion_args_devicePfj15HIP_vector_typeIjLj3EEjjjS8_jjjS8_jjjj,comdat
.Lfunc_end42:
	.size	_ZL13mul_mat_vec_qIL9ggml_type6ELi3ELb0ELb0EEvPKvS2_PKi31ggml_cuda_mm_fusion_args_devicePfj15HIP_vector_typeIjLj3EEjjjS8_jjjS8_jjjj, .Lfunc_end42-_ZL13mul_mat_vec_qIL9ggml_type6ELi3ELb0ELb0EEvPKvS2_PKi31ggml_cuda_mm_fusion_args_devicePfj15HIP_vector_typeIjLj3EEjjjS8_jjjS8_jjjj
                                        ; -- End function
	.set _ZL13mul_mat_vec_qIL9ggml_type6ELi3ELb0ELb0EEvPKvS2_PKi31ggml_cuda_mm_fusion_args_devicePfj15HIP_vector_typeIjLj3EEjjjS8_jjjS8_jjjj.num_vgpr, 55
	.set _ZL13mul_mat_vec_qIL9ggml_type6ELi3ELb0ELb0EEvPKvS2_PKi31ggml_cuda_mm_fusion_args_devicePfj15HIP_vector_typeIjLj3EEjjjS8_jjjS8_jjjj.num_agpr, 0
	.set _ZL13mul_mat_vec_qIL9ggml_type6ELi3ELb0ELb0EEvPKvS2_PKi31ggml_cuda_mm_fusion_args_devicePfj15HIP_vector_typeIjLj3EEjjjS8_jjjS8_jjjj.numbered_sgpr, 26
	.set _ZL13mul_mat_vec_qIL9ggml_type6ELi3ELb0ELb0EEvPKvS2_PKi31ggml_cuda_mm_fusion_args_devicePfj15HIP_vector_typeIjLj3EEjjjS8_jjjS8_jjjj.num_named_barrier, 0
	.set _ZL13mul_mat_vec_qIL9ggml_type6ELi3ELb0ELb0EEvPKvS2_PKi31ggml_cuda_mm_fusion_args_devicePfj15HIP_vector_typeIjLj3EEjjjS8_jjjS8_jjjj.private_seg_size, 0
	.set _ZL13mul_mat_vec_qIL9ggml_type6ELi3ELb0ELb0EEvPKvS2_PKi31ggml_cuda_mm_fusion_args_devicePfj15HIP_vector_typeIjLj3EEjjjS8_jjjS8_jjjj.uses_vcc, 1
	.set _ZL13mul_mat_vec_qIL9ggml_type6ELi3ELb0ELb0EEvPKvS2_PKi31ggml_cuda_mm_fusion_args_devicePfj15HIP_vector_typeIjLj3EEjjjS8_jjjS8_jjjj.uses_flat_scratch, 0
	.set _ZL13mul_mat_vec_qIL9ggml_type6ELi3ELb0ELb0EEvPKvS2_PKi31ggml_cuda_mm_fusion_args_devicePfj15HIP_vector_typeIjLj3EEjjjS8_jjjS8_jjjj.has_dyn_sized_stack, 0
	.set _ZL13mul_mat_vec_qIL9ggml_type6ELi3ELb0ELb0EEvPKvS2_PKi31ggml_cuda_mm_fusion_args_devicePfj15HIP_vector_typeIjLj3EEjjjS8_jjjS8_jjjj.has_recursion, 0
	.set _ZL13mul_mat_vec_qIL9ggml_type6ELi3ELb0ELb0EEvPKvS2_PKi31ggml_cuda_mm_fusion_args_devicePfj15HIP_vector_typeIjLj3EEjjjS8_jjjS8_jjjj.has_indirect_call, 0
	.section	.AMDGPU.csdata,"",@progbits
; Kernel info:
; codeLenInByte = 1516
; TotalNumSgprs: 28
; NumVgprs: 55
; ScratchSize: 0
; MemoryBound: 0
; FloatMode: 240
; IeeeMode: 1
; LDSByteSize: 0 bytes/workgroup (compile time only)
; SGPRBlocks: 0
; VGPRBlocks: 6
; NumSGPRsForWavesPerEU: 28
; NumVGPRsForWavesPerEU: 55
; Occupancy: 16
; WaveLimiterHint : 0
; COMPUTE_PGM_RSRC2:SCRATCH_EN: 0
; COMPUTE_PGM_RSRC2:USER_SGPR: 6
; COMPUTE_PGM_RSRC2:TRAP_HANDLER: 0
; COMPUTE_PGM_RSRC2:TGID_X_EN: 1
; COMPUTE_PGM_RSRC2:TGID_Y_EN: 1
; COMPUTE_PGM_RSRC2:TGID_Z_EN: 1
; COMPUTE_PGM_RSRC2:TIDIG_COMP_CNT: 1
	.section	.text._ZL13mul_mat_vec_qIL9ggml_type6ELi4ELb0ELb0EEvPKvS2_PKi31ggml_cuda_mm_fusion_args_devicePfj15HIP_vector_typeIjLj3EEjjjS8_jjjS8_jjjj,"axG",@progbits,_ZL13mul_mat_vec_qIL9ggml_type6ELi4ELb0ELb0EEvPKvS2_PKi31ggml_cuda_mm_fusion_args_devicePfj15HIP_vector_typeIjLj3EEjjjS8_jjjS8_jjjj,comdat
	.globl	_ZL13mul_mat_vec_qIL9ggml_type6ELi4ELb0ELb0EEvPKvS2_PKi31ggml_cuda_mm_fusion_args_devicePfj15HIP_vector_typeIjLj3EEjjjS8_jjjS8_jjjj ; -- Begin function _ZL13mul_mat_vec_qIL9ggml_type6ELi4ELb0ELb0EEvPKvS2_PKi31ggml_cuda_mm_fusion_args_devicePfj15HIP_vector_typeIjLj3EEjjjS8_jjjS8_jjjj
	.p2align	8
	.type	_ZL13mul_mat_vec_qIL9ggml_type6ELi4ELb0ELb0EEvPKvS2_PKi31ggml_cuda_mm_fusion_args_devicePfj15HIP_vector_typeIjLj3EEjjjS8_jjjS8_jjjj,@function
_ZL13mul_mat_vec_qIL9ggml_type6ELi4ELb0ELb0EEvPKvS2_PKi31ggml_cuda_mm_fusion_args_devicePfj15HIP_vector_typeIjLj3EEjjjS8_jjjS8_jjjj: ; @_ZL13mul_mat_vec_qIL9ggml_type6ELi4ELb0ELb0EEvPKvS2_PKi31ggml_cuda_mm_fusion_args_devicePfj15HIP_vector_typeIjLj3EEjjjS8_jjjS8_jjjj
; %bb.0:
	s_clause 0x5
	s_load_dwordx4 s[16:19], s[4:5], 0x80
	s_load_dword s9, s[4:5], 0x40
	s_load_dwordx4 s[0:3], s[4:5], 0x50
	s_load_dword s24, s[4:5], 0x60
	;; [unrolled: 2-line block ×3, first 2 shown]
	v_lshl_or_b32 v2, v1, 5, v0
	v_mov_b32_e32 v4, 0
	v_mov_b32_e32 v5, 0
	;; [unrolled: 1-line block ×4, first 2 shown]
	v_lshrrev_b16 v3, 1, v2
	v_and_b32_e32 v7, 0xffff, v3
	s_waitcnt lgkmcnt(0)
	s_lshr_b32 s19, s9, 5
	s_mov_b32 s9, exec_lo
	v_cmpx_gt_u32_e64 s19, v7
	s_cbranch_execz .LBB43_4
; %bb.1:
	s_load_dwordx4 s[20:23], s[4:5], 0x0
	v_lshlrev_b32_e32 v3, 1, v0
	s_mul_i32 s10, s17, s8
	s_mul_i32 s11, s13, s7
	s_mul_hi_u32 s13, s15, s8
	v_and_b32_e32 v5, 1, v0
	s_mul_hi_u32 s15, s10, 36
	v_and_b32_e32 v6, 2, v3
	s_mul_i32 s10, s10, 36
	v_lshrrev_b32_e32 v2, 1, v2
	s_mul_hi_u32 s17, s11, 36
	s_mul_i32 s11, s11, 36
	s_mul_hi_u32 s3, s3, s7
	v_lshlrev_b32_e32 v9, 3, v5
	v_lshlrev_b32_e32 v5, 1, v6
	;; [unrolled: 1-line block ×3, first 2 shown]
	s_mul_i32 s0, s0, s6
	v_mov_b32_e32 v4, 0
	v_lshlrev_b32_e32 v13, 2, v6
	v_lshlrev_b32_e32 v12, 1, v5
	s_waitcnt lgkmcnt(0)
	s_add_u32 s10, s22, s10
	s_addc_u32 s15, s23, s15
	s_add_u32 s10, s10, s11
	s_addc_u32 s11, s15, s17
	s_add_i32 s3, s7, s3
	s_add_i32 s13, s8, s13
	s_lshr_b32 s3, s3, s24
	v_mad_u64_u32 v[2:3], null, v2, 36, s[10:11]
	s_lshr_b32 s13, s13, s25
	s_mul_i32 s3, s3, s12
	v_or_b32_e32 v11, 4, v10
	v_mov_b32_e32 v5, 0
	v_mov_b32_e32 v6, 0
	;; [unrolled: 1-line block ×3, first 2 shown]
	s_mul_i32 s12, s13, s16
	s_add_i32 s3, s3, s0
	s_mul_i32 s13, s1, 3
	s_add_i32 s0, s12, s3
	s_lshl_b32 s3, s1, 1
	s_mov_b32 s12, 0
.LBB43_2:                               ; =>This Inner Loop Header: Depth=1
	v_add_nc_u32_e32 v16, s0, v7
	v_add_co_u32 v14, vcc_lo, v2, v9
	v_add_co_ci_u32_e64 v15, null, 0, v3, vcc_lo
	v_mad_i64_i32 v[16:17], null, v16, 22, s[20:21]
	global_load_dword v36, v[2:3], off
	v_add_nc_u32_e32 v20, s1, v7
	s_clause 0x1
	global_load_dwordx2 v[18:19], v[14:15], off offset:4
	global_load_dwordx2 v[14:15], v[14:15], off offset:20
	v_add_nc_u32_e32 v22, s3, v7
	v_add_nc_u32_e32 v24, s13, v7
	v_mov_b32_e32 v40, 0
	global_load_dword v37, v[16:17], off offset:2
	v_mad_u64_u32 v[20:21], null, v20, 36, s[10:11]
	v_mad_u64_u32 v[22:23], null, v22, 36, s[10:11]
	;; [unrolled: 1-line block ×3, first 2 shown]
	v_add_co_u32 v26, vcc_lo, v16, v12
	v_add_co_ci_u32_e64 v27, null, 0, v17, vcc_lo
	v_add_co_u32 v28, vcc_lo, v20, v13
	v_add_co_ci_u32_e64 v29, null, 0, v21, vcc_lo
	;; [unrolled: 2-line block ×4, first 2 shown]
	global_load_dwordx2 v[26:27], v[26:27], off offset:6
	s_clause 0x8
	global_load_dwordx2 v[34:35], v[28:29], off offset:20
	global_load_dword v38, v[22:23], off
	global_load_dword v39, v[20:21], off
	global_load_dwordx2 v[20:21], v[28:29], off offset:4
	global_load_dwordx2 v[22:23], v[32:33], off offset:20
	global_load_dwordx2 v[28:29], v[30:31], off offset:4
	global_load_dwordx2 v[30:31], v[30:31], off offset:20
	global_load_dwordx2 v[32:33], v[32:33], off offset:4
	global_load_dword v24, v[24:25], off
	global_load_ushort v16, v[16:17], off
	v_mov_b32_e32 v17, 0
	v_mov_b32_e32 v25, 0
	;; [unrolled: 1-line block ×3, first 2 shown]
	v_add_nc_u32_e32 v7, 16, v7
	v_add_co_u32 v2, vcc_lo, 0x240, v2
	v_add_co_ci_u32_e64 v3, null, 0, v3, vcc_lo
	v_cmp_le_u32_e32 vcc_lo, s19, v7
	s_or_b32 s12, vcc_lo, s12
	s_waitcnt vmcnt(14)
	v_cvt_f32_f16_sdwa v42, v36 dst_sel:DWORD dst_unused:UNUSED_PAD src0_sel:WORD_1
	v_mul_f32_e32 v42, 0x41000000, v42
	s_waitcnt vmcnt(11)
	v_ashrrev_i32_e32 v43, v10, v37
	v_ashrrev_i32_e32 v37, v11, v37
	v_lshlrev_b32_e32 v45, 4, v43
	v_lshlrev_b32_e32 v46, 11, v43
	;; [unrolled: 1-line block ×4, first 2 shown]
	v_lshrrev_b32_e32 v49, 12, v43
	v_lshrrev_b32_e32 v50, 5, v43
	v_lshlrev_b32_e32 v51, 2, v43
	v_and_b32_e32 v45, 16, v45
	s_waitcnt vmcnt(10)
	v_and_b32_e32 v44, 0xf0f0f0f, v26
	v_and_b32_e32 v46, 0x1000, v46
	v_lshrrev_b32_e32 v26, 4, v26
	v_lshlrev_b32_e32 v43, 9, v43
	v_lshlrev_b32_e32 v53, 4, v37
	v_lshlrev_b32_e32 v54, 11, v37
	v_lshlrev_b32_e32 v55, 18, v37
	v_or3_b32 v44, v45, v44, v46
	v_and_b32_e32 v46, 0x100000, v47
	v_and_b32_e32 v47, 0x10000000, v48
	;; [unrolled: 1-line block ×5, first 2 shown]
	v_lshlrev_b32_e32 v56, 25, v37
	v_lshrrev_b32_e32 v57, 12, v37
	v_lshrrev_b32_e32 v58, 5, v37
	v_lshlrev_b32_e32 v59, 2, v37
	v_and_b32_e32 v26, 0xf0f0f0f, v26
	v_and_b32_e32 v43, 0x10000000, v43
	;; [unrolled: 1-line block ×5, first 2 shown]
	v_or3_b32 v48, v49, v48, v50
	v_or3_b32 v44, v44, v46, v47
	v_and_b32_e32 v52, 0xf0f0f0f, v27
	v_lshrrev_b32_e32 v27, 4, v27
	v_lshlrev_b32_e32 v37, 9, v37
	v_and_b32_e32 v55, 0x10000000, v56
	v_and_b32_e32 v56, 16, v57
	;; [unrolled: 1-line block ×4, first 2 shown]
	v_or3_b32 v49, v53, v51, v54
	v_or3_b32 v26, v48, v43, v26
	v_dot4c_i32_i8 v17, v44, v18
	s_waitcnt vmcnt(6)
	v_dot4c_i32_i8 v25, v44, v20
	s_waitcnt vmcnt(4)
	;; [unrolled: 2-line block ×3, first 2 shown]
	v_dot4c_i32_i8 v41, v44, v32
	v_and_b32_e32 v27, 0xf0f0f0f, v27
	v_and_b32_e32 v37, 0x10000000, v37
	v_or3_b32 v50, v57, v56, v58
	v_or3_b32 v43, v49, v55, v52
	v_dot4c_i32_i8 v17, v26, v14
	v_dot4c_i32_i8 v25, v26, v34
	;; [unrolled: 1-line block ×4, first 2 shown]
	v_or3_b32 v27, v50, v37, v27
	v_dot4c_i32_i8 v17, v43, v19
	v_dot4c_i32_i8 v25, v43, v21
	;; [unrolled: 1-line block ×4, first 2 shown]
	v_cvt_f32_f16_sdwa v60, v39 dst_sel:DWORD dst_unused:UNUSED_PAD src0_sel:WORD_1
	v_cvt_f32_f16_sdwa v61, v38 dst_sel:DWORD dst_unused:UNUSED_PAD src0_sel:WORD_1
	s_waitcnt vmcnt(1)
	v_cvt_f32_f16_sdwa v45, v24 dst_sel:DWORD dst_unused:UNUSED_PAD src0_sel:WORD_1
	v_dot4c_i32_i8 v17, v27, v15
	v_dot4c_i32_i8 v25, v27, v35
	;; [unrolled: 1-line block ×4, first 2 shown]
	v_mul_f32_e32 v59, 0x41000000, v60
	v_mul_f32_e32 v60, 0x41000000, v61
	;; [unrolled: 1-line block ×3, first 2 shown]
	v_cvt_f32_i32_e32 v14, v17
	v_cvt_f32_i32_e32 v15, v25
	;; [unrolled: 1-line block ×4, first 2 shown]
	v_fma_mix_f32 v14, v36, v14, -v42 op_sel_hi:[1,0,0]
	v_fma_mix_f32 v15, v39, v15, -v59 op_sel_hi:[1,0,0]
	v_fma_mix_f32 v17, v38, v17, -v60 op_sel_hi:[1,0,0]
	v_fma_mix_f32 v18, v24, v18, -v45 op_sel_hi:[1,0,0]
	s_waitcnt vmcnt(0)
	v_fma_mix_f32 v8, v14, v16, v8 op_sel_hi:[0,1,0]
	v_fma_mix_f32 v6, v15, v16, v6 op_sel_hi:[0,1,0]
	v_fma_mix_f32 v5, v17, v16, v5 op_sel_hi:[0,1,0]
	v_fma_mix_f32 v4, v18, v16, v4 op_sel_hi:[0,1,0]
	s_andn2_b32 exec_lo, exec_lo, s12
	s_cbranch_execnz .LBB43_2
; %bb.3:
	s_or_b32 exec_lo, exec_lo, s12
.LBB43_4:
	s_or_b32 exec_lo, exec_lo, s9
	s_mov_b32 s1, 0
	; wave barrier
	buffer_gl0_inv
	s_mov_b32 s0, exec_lo
	v_cmpx_eq_u32_e32 0, v1
	s_cbranch_execz .LBB43_13
; %bb.5:
	v_mbcnt_lo_u32_b32 v9, -1, 0
	s_load_dwordx2 s[4:5], s[4:5], 0x38
	s_mul_i32 s0, s14, s7
	s_mul_i32 s3, s18, s8
	s_add_i32 s0, s0, s6
	v_xor_b32_e32 v1, 16, v9
	v_xor_b32_e32 v2, 8, v9
	s_add_i32 s0, s0, s3
	s_lshl_b64 s[0:1], s[0:1], 2
	v_cmp_gt_i32_e32 vcc_lo, 32, v1
	v_cndmask_b32_e32 v1, v9, v1, vcc_lo
	v_cmp_gt_i32_e32 vcc_lo, 32, v2
	v_lshlrev_b32_e32 v1, 2, v1
	v_cndmask_b32_e32 v2, v9, v2, vcc_lo
	s_waitcnt lgkmcnt(0)
	s_add_u32 s0, s4, s0
	s_addc_u32 s1, s5, s1
	ds_bpermute_b32 v3, v1, v8
	v_lshlrev_b32_e32 v2, 2, v2
	s_waitcnt lgkmcnt(0)
	v_add_f32_e32 v7, v8, v3
	v_xor_b32_e32 v3, 4, v9
	ds_bpermute_b32 v8, v2, v7
	v_cmp_gt_i32_e32 vcc_lo, 32, v3
	v_cndmask_b32_e32 v3, v9, v3, vcc_lo
	v_lshlrev_b32_e32 v3, 2, v3
	s_waitcnt lgkmcnt(0)
	v_add_f32_e32 v8, v7, v8
	v_xor_b32_e32 v7, 2, v9
	ds_bpermute_b32 v10, v3, v8
	v_cmp_gt_i32_e32 vcc_lo, 32, v7
	v_cndmask_b32_e32 v7, v9, v7, vcc_lo
	;; [unrolled: 7-line block ×3, first 2 shown]
	v_cmp_eq_u32_e32 vcc_lo, 0, v0
	v_lshlrev_b32_e32 v8, 2, v8
	s_waitcnt lgkmcnt(0)
	v_add_f32_e32 v9, v10, v11
	ds_bpermute_b32 v10, v8, v9
	s_and_saveexec_b32 s3, vcc_lo
	s_cbranch_execz .LBB43_7
; %bb.6:
	s_waitcnt lgkmcnt(0)
	v_add_f32_e32 v0, v9, v10
	v_mov_b32_e32 v9, 0
	global_store_dword v9, v0, s[0:1]
.LBB43_7:
	s_or_b32 exec_lo, exec_lo, s3
	ds_bpermute_b32 v0, v1, v6
	s_waitcnt lgkmcnt(0)
	v_add_f32_e32 v0, v6, v0
	ds_bpermute_b32 v6, v2, v0
	s_waitcnt lgkmcnt(0)
	v_add_f32_e32 v0, v0, v6
	;; [unrolled: 3-line block ×4, first 2 shown]
	ds_bpermute_b32 v6, v8, v0
	s_and_saveexec_b32 s4, vcc_lo
	s_cbranch_execz .LBB43_9
; %bb.8:
	s_mov_b32 s3, 0
	s_waitcnt lgkmcnt(0)
	v_add_f32_e32 v0, v0, v6
	s_lshl_b64 s[6:7], s[2:3], 2
	v_mov_b32_e32 v6, 0
	s_add_u32 s6, s0, s6
	s_addc_u32 s7, s1, s7
	global_store_dword v6, v0, s[6:7]
.LBB43_9:
	s_or_b32 exec_lo, exec_lo, s4
	ds_bpermute_b32 v0, v1, v5
	s_waitcnt lgkmcnt(0)
	v_add_f32_e32 v0, v5, v0
	ds_bpermute_b32 v5, v2, v0
	s_waitcnt lgkmcnt(0)
	v_add_f32_e32 v0, v0, v5
	ds_bpermute_b32 v5, v3, v0
	s_waitcnt lgkmcnt(0)
	v_add_f32_e32 v0, v0, v5
	ds_bpermute_b32 v5, v7, v0
	s_waitcnt lgkmcnt(0)
	v_add_f32_e32 v0, v0, v5
	ds_bpermute_b32 v5, v8, v0
	s_and_saveexec_b32 s3, vcc_lo
	s_cbranch_execz .LBB43_11
; %bb.10:
	s_lshl_b32 s4, s2, 1
	s_mov_b32 s5, 0
	s_waitcnt lgkmcnt(0)
	v_add_f32_e32 v0, v0, v5
	s_lshl_b64 s[4:5], s[4:5], 2
	v_mov_b32_e32 v5, 0
	s_add_u32 s4, s0, s4
	s_addc_u32 s5, s1, s5
	global_store_dword v5, v0, s[4:5]
.LBB43_11:
	s_or_b32 exec_lo, exec_lo, s3
	ds_bpermute_b32 v0, v1, v4
	s_waitcnt lgkmcnt(0)
	v_add_f32_e32 v0, v4, v0
	ds_bpermute_b32 v1, v2, v0
	s_waitcnt lgkmcnt(0)
	v_add_f32_e32 v0, v0, v1
	;; [unrolled: 3-line block ×4, first 2 shown]
	ds_bpermute_b32 v1, v8, v0
	s_and_b32 exec_lo, exec_lo, vcc_lo
	s_cbranch_execz .LBB43_13
; %bb.12:
	s_mul_i32 s2, s2, 3
	s_mov_b32 s3, 0
	s_waitcnt lgkmcnt(0)
	v_add_f32_e32 v0, v0, v1
	s_lshl_b64 s[2:3], s[2:3], 2
	v_mov_b32_e32 v1, 0
	s_add_u32 s0, s0, s2
	s_addc_u32 s1, s1, s3
	global_store_dword v1, v0, s[0:1]
.LBB43_13:
	s_endpgm
	.section	.rodata,"a",@progbits
	.p2align	6, 0x0
	.amdhsa_kernel _ZL13mul_mat_vec_qIL9ggml_type6ELi4ELb0ELb0EEvPKvS2_PKi31ggml_cuda_mm_fusion_args_devicePfj15HIP_vector_typeIjLj3EEjjjS8_jjjS8_jjjj
		.amdhsa_group_segment_fixed_size 0
		.amdhsa_private_segment_fixed_size 0
		.amdhsa_kernarg_size 144
		.amdhsa_user_sgpr_count 6
		.amdhsa_user_sgpr_private_segment_buffer 1
		.amdhsa_user_sgpr_dispatch_ptr 0
		.amdhsa_user_sgpr_queue_ptr 0
		.amdhsa_user_sgpr_kernarg_segment_ptr 1
		.amdhsa_user_sgpr_dispatch_id 0
		.amdhsa_user_sgpr_flat_scratch_init 0
		.amdhsa_user_sgpr_private_segment_size 0
		.amdhsa_wavefront_size32 1
		.amdhsa_uses_dynamic_stack 0
		.amdhsa_system_sgpr_private_segment_wavefront_offset 0
		.amdhsa_system_sgpr_workgroup_id_x 1
		.amdhsa_system_sgpr_workgroup_id_y 1
		.amdhsa_system_sgpr_workgroup_id_z 1
		.amdhsa_system_sgpr_workgroup_info 0
		.amdhsa_system_vgpr_workitem_id 1
		.amdhsa_next_free_vgpr 62
		.amdhsa_next_free_sgpr 26
		.amdhsa_reserve_vcc 1
		.amdhsa_reserve_flat_scratch 0
		.amdhsa_float_round_mode_32 0
		.amdhsa_float_round_mode_16_64 0
		.amdhsa_float_denorm_mode_32 3
		.amdhsa_float_denorm_mode_16_64 3
		.amdhsa_dx10_clamp 1
		.amdhsa_ieee_mode 1
		.amdhsa_fp16_overflow 0
		.amdhsa_workgroup_processor_mode 1
		.amdhsa_memory_ordered 1
		.amdhsa_forward_progress 1
		.amdhsa_shared_vgpr_count 0
		.amdhsa_exception_fp_ieee_invalid_op 0
		.amdhsa_exception_fp_denorm_src 0
		.amdhsa_exception_fp_ieee_div_zero 0
		.amdhsa_exception_fp_ieee_overflow 0
		.amdhsa_exception_fp_ieee_underflow 0
		.amdhsa_exception_fp_ieee_inexact 0
		.amdhsa_exception_int_div_zero 0
	.end_amdhsa_kernel
	.section	.text._ZL13mul_mat_vec_qIL9ggml_type6ELi4ELb0ELb0EEvPKvS2_PKi31ggml_cuda_mm_fusion_args_devicePfj15HIP_vector_typeIjLj3EEjjjS8_jjjS8_jjjj,"axG",@progbits,_ZL13mul_mat_vec_qIL9ggml_type6ELi4ELb0ELb0EEvPKvS2_PKi31ggml_cuda_mm_fusion_args_devicePfj15HIP_vector_typeIjLj3EEjjjS8_jjjS8_jjjj,comdat
.Lfunc_end43:
	.size	_ZL13mul_mat_vec_qIL9ggml_type6ELi4ELb0ELb0EEvPKvS2_PKi31ggml_cuda_mm_fusion_args_devicePfj15HIP_vector_typeIjLj3EEjjjS8_jjjS8_jjjj, .Lfunc_end43-_ZL13mul_mat_vec_qIL9ggml_type6ELi4ELb0ELb0EEvPKvS2_PKi31ggml_cuda_mm_fusion_args_devicePfj15HIP_vector_typeIjLj3EEjjjS8_jjjS8_jjjj
                                        ; -- End function
	.set _ZL13mul_mat_vec_qIL9ggml_type6ELi4ELb0ELb0EEvPKvS2_PKi31ggml_cuda_mm_fusion_args_devicePfj15HIP_vector_typeIjLj3EEjjjS8_jjjS8_jjjj.num_vgpr, 62
	.set _ZL13mul_mat_vec_qIL9ggml_type6ELi4ELb0ELb0EEvPKvS2_PKi31ggml_cuda_mm_fusion_args_devicePfj15HIP_vector_typeIjLj3EEjjjS8_jjjS8_jjjj.num_agpr, 0
	.set _ZL13mul_mat_vec_qIL9ggml_type6ELi4ELb0ELb0EEvPKvS2_PKi31ggml_cuda_mm_fusion_args_devicePfj15HIP_vector_typeIjLj3EEjjjS8_jjjS8_jjjj.numbered_sgpr, 26
	.set _ZL13mul_mat_vec_qIL9ggml_type6ELi4ELb0ELb0EEvPKvS2_PKi31ggml_cuda_mm_fusion_args_devicePfj15HIP_vector_typeIjLj3EEjjjS8_jjjS8_jjjj.num_named_barrier, 0
	.set _ZL13mul_mat_vec_qIL9ggml_type6ELi4ELb0ELb0EEvPKvS2_PKi31ggml_cuda_mm_fusion_args_devicePfj15HIP_vector_typeIjLj3EEjjjS8_jjjS8_jjjj.private_seg_size, 0
	.set _ZL13mul_mat_vec_qIL9ggml_type6ELi4ELb0ELb0EEvPKvS2_PKi31ggml_cuda_mm_fusion_args_devicePfj15HIP_vector_typeIjLj3EEjjjS8_jjjS8_jjjj.uses_vcc, 1
	.set _ZL13mul_mat_vec_qIL9ggml_type6ELi4ELb0ELb0EEvPKvS2_PKi31ggml_cuda_mm_fusion_args_devicePfj15HIP_vector_typeIjLj3EEjjjS8_jjjS8_jjjj.uses_flat_scratch, 0
	.set _ZL13mul_mat_vec_qIL9ggml_type6ELi4ELb0ELb0EEvPKvS2_PKi31ggml_cuda_mm_fusion_args_devicePfj15HIP_vector_typeIjLj3EEjjjS8_jjjS8_jjjj.has_dyn_sized_stack, 0
	.set _ZL13mul_mat_vec_qIL9ggml_type6ELi4ELb0ELb0EEvPKvS2_PKi31ggml_cuda_mm_fusion_args_devicePfj15HIP_vector_typeIjLj3EEjjjS8_jjjS8_jjjj.has_recursion, 0
	.set _ZL13mul_mat_vec_qIL9ggml_type6ELi4ELb0ELb0EEvPKvS2_PKi31ggml_cuda_mm_fusion_args_devicePfj15HIP_vector_typeIjLj3EEjjjS8_jjjS8_jjjj.has_indirect_call, 0
	.section	.AMDGPU.csdata,"",@progbits
; Kernel info:
; codeLenInByte = 1764
; TotalNumSgprs: 28
; NumVgprs: 62
; ScratchSize: 0
; MemoryBound: 0
; FloatMode: 240
; IeeeMode: 1
; LDSByteSize: 0 bytes/workgroup (compile time only)
; SGPRBlocks: 0
; VGPRBlocks: 7
; NumSGPRsForWavesPerEU: 28
; NumVGPRsForWavesPerEU: 62
; Occupancy: 16
; WaveLimiterHint : 0
; COMPUTE_PGM_RSRC2:SCRATCH_EN: 0
; COMPUTE_PGM_RSRC2:USER_SGPR: 6
; COMPUTE_PGM_RSRC2:TRAP_HANDLER: 0
; COMPUTE_PGM_RSRC2:TGID_X_EN: 1
; COMPUTE_PGM_RSRC2:TGID_Y_EN: 1
; COMPUTE_PGM_RSRC2:TGID_Z_EN: 1
; COMPUTE_PGM_RSRC2:TIDIG_COMP_CNT: 1
	.section	.text._ZL13mul_mat_vec_qIL9ggml_type6ELi5ELb0ELb0EEvPKvS2_PKi31ggml_cuda_mm_fusion_args_devicePfj15HIP_vector_typeIjLj3EEjjjS8_jjjS8_jjjj,"axG",@progbits,_ZL13mul_mat_vec_qIL9ggml_type6ELi5ELb0ELb0EEvPKvS2_PKi31ggml_cuda_mm_fusion_args_devicePfj15HIP_vector_typeIjLj3EEjjjS8_jjjS8_jjjj,comdat
	.globl	_ZL13mul_mat_vec_qIL9ggml_type6ELi5ELb0ELb0EEvPKvS2_PKi31ggml_cuda_mm_fusion_args_devicePfj15HIP_vector_typeIjLj3EEjjjS8_jjjS8_jjjj ; -- Begin function _ZL13mul_mat_vec_qIL9ggml_type6ELi5ELb0ELb0EEvPKvS2_PKi31ggml_cuda_mm_fusion_args_devicePfj15HIP_vector_typeIjLj3EEjjjS8_jjjS8_jjjj
	.p2align	8
	.type	_ZL13mul_mat_vec_qIL9ggml_type6ELi5ELb0ELb0EEvPKvS2_PKi31ggml_cuda_mm_fusion_args_devicePfj15HIP_vector_typeIjLj3EEjjjS8_jjjS8_jjjj,@function
_ZL13mul_mat_vec_qIL9ggml_type6ELi5ELb0ELb0EEvPKvS2_PKi31ggml_cuda_mm_fusion_args_devicePfj15HIP_vector_typeIjLj3EEjjjS8_jjjS8_jjjj: ; @_ZL13mul_mat_vec_qIL9ggml_type6ELi5ELb0ELb0EEvPKvS2_PKi31ggml_cuda_mm_fusion_args_devicePfj15HIP_vector_typeIjLj3EEjjjS8_jjjS8_jjjj
; %bb.0:
	s_clause 0x5
	s_load_dwordx4 s[16:19], s[4:5], 0x80
	s_load_dword s9, s[4:5], 0x40
	s_load_dwordx4 s[0:3], s[4:5], 0x50
	s_load_dword s24, s[4:5], 0x60
	;; [unrolled: 2-line block ×3, first 2 shown]
	v_lshl_or_b32 v2, v1, 5, v0
	v_mov_b32_e32 v4, 0
	v_mov_b32_e32 v5, 0
	;; [unrolled: 1-line block ×4, first 2 shown]
	v_lshrrev_b16 v3, 1, v2
	v_mov_b32_e32 v9, 0
	v_and_b32_e32 v8, 0xffff, v3
	s_waitcnt lgkmcnt(0)
	s_lshr_b32 s19, s9, 5
	s_mov_b32 s9, exec_lo
	v_cmpx_gt_u32_e64 s19, v8
	s_cbranch_execz .LBB44_4
; %bb.1:
	s_load_dwordx4 s[20:23], s[4:5], 0x0
	v_lshlrev_b32_e32 v3, 1, v0
	s_mul_i32 s10, s17, s8
	s_mul_i32 s11, s13, s7
	s_mul_hi_u32 s13, s15, s8
	v_and_b32_e32 v5, 1, v0
	s_mul_hi_u32 s15, s10, 36
	v_and_b32_e32 v6, 2, v3
	s_mul_i32 s10, s10, 36
	v_lshrrev_b32_e32 v2, 1, v2
	s_mul_hi_u32 s17, s11, 36
	s_mul_i32 s11, s11, 36
	s_mul_hi_u32 s3, s3, s7
	v_lshlrev_b32_e32 v10, 3, v5
	v_lshlrev_b32_e32 v5, 1, v6
	;; [unrolled: 1-line block ×3, first 2 shown]
	s_mul_i32 s0, s0, s6
	v_mov_b32_e32 v4, 0
	v_lshlrev_b32_e32 v14, 2, v6
	v_lshlrev_b32_e32 v13, 1, v5
	s_waitcnt lgkmcnt(0)
	s_add_u32 s10, s22, s10
	s_addc_u32 s15, s23, s15
	s_add_u32 s10, s10, s11
	s_addc_u32 s11, s15, s17
	s_add_i32 s3, s7, s3
	s_add_i32 s13, s8, s13
	s_lshr_b32 s3, s3, s24
	v_mad_u64_u32 v[2:3], null, v2, 36, s[10:11]
	s_lshr_b32 s13, s13, s25
	s_mul_i32 s3, s3, s12
	v_or_b32_e32 v12, 4, v11
	v_mov_b32_e32 v5, 0
	v_mov_b32_e32 v6, 0
	;; [unrolled: 1-line block ×4, first 2 shown]
	s_mul_i32 s12, s13, s16
	s_add_i32 s3, s3, s0
	s_lshl_b32 s15, s1, 2
	s_add_i32 s0, s12, s3
	s_lshl_b32 s3, s1, 1
	s_mul_i32 s12, s1, 3
	s_mov_b32 s13, 0
.LBB44_2:                               ; =>This Inner Loop Header: Depth=1
	v_add_nc_u32_e32 v17, s0, v8
	v_add_co_u32 v15, vcc_lo, v2, v10
	v_add_co_ci_u32_e64 v16, null, 0, v3, vcc_lo
	v_mad_i64_i32 v[17:18], null, v17, 22, s[20:21]
	s_clause 0x2
	global_load_dword v41, v[2:3], off
	global_load_dwordx2 v[19:20], v[15:16], off offset:4
	global_load_dwordx2 v[15:16], v[15:16], off offset:20
	v_add_nc_u32_e32 v21, s1, v8
	v_add_nc_u32_e32 v23, s3, v8
	;; [unrolled: 1-line block ×4, first 2 shown]
	global_load_dword v42, v[17:18], off offset:2
	v_mad_u64_u32 v[21:22], null, v21, 36, s[10:11]
	v_mad_u64_u32 v[23:24], null, v23, 36, s[10:11]
	;; [unrolled: 1-line block ×4, first 2 shown]
	v_add_co_u32 v29, vcc_lo, v17, v13
	v_add_co_ci_u32_e64 v30, null, 0, v18, vcc_lo
	v_add_co_u32 v31, vcc_lo, v21, v14
	v_add_co_ci_u32_e64 v32, null, 0, v22, vcc_lo
	;; [unrolled: 2-line block ×5, first 2 shown]
	global_load_dwordx2 v[29:30], v[29:30], off offset:6
	s_clause 0xb
	global_load_dwordx2 v[39:40], v[31:32], off offset:20
	global_load_dword v43, v[23:24], off
	global_load_dword v44, v[21:22], off
	;; [unrolled: 1-line block ×3, first 2 shown]
	global_load_dwordx2 v[21:22], v[31:32], off offset:4
	global_load_dwordx2 v[23:24], v[33:34], off offset:4
	;; [unrolled: 1-line block ×7, first 2 shown]
	global_load_dword v27, v[27:28], off
	global_load_ushort v17, v[17:18], off
	v_mov_b32_e32 v18, 0
	v_mov_b32_e32 v28, 0
	;; [unrolled: 1-line block ×5, first 2 shown]
	v_add_nc_u32_e32 v8, 16, v8
	v_add_co_u32 v2, vcc_lo, 0x240, v2
	v_add_co_ci_u32_e64 v3, null, 0, v3, vcc_lo
	v_cmp_le_u32_e32 vcc_lo, s19, v8
	s_or_b32 s13, vcc_lo, s13
	s_waitcnt vmcnt(17)
	v_cvt_f32_f16_sdwa v49, v41 dst_sel:DWORD dst_unused:UNUSED_PAD src0_sel:WORD_1
	v_mul_f32_e32 v49, 0x41000000, v49
	s_waitcnt vmcnt(14)
	v_ashrrev_i32_e32 v50, v11, v42
	v_ashrrev_i32_e32 v42, v12, v42
	v_lshlrev_b32_e32 v52, 4, v50
	v_lshlrev_b32_e32 v53, 11, v50
	;; [unrolled: 1-line block ×4, first 2 shown]
	v_lshrrev_b32_e32 v56, 12, v50
	v_and_b32_e32 v52, 16, v52
	v_and_b32_e32 v53, 0x1000, v53
	v_lshrrev_b32_e32 v57, 5, v50
	v_lshlrev_b32_e32 v58, 2, v50
	v_lshlrev_b32_e32 v60, 4, v42
	;; [unrolled: 1-line block ×3, first 2 shown]
	s_waitcnt vmcnt(13)
	v_and_b32_e32 v51, 0xf0f0f0f, v29
	v_lshrrev_b32_e32 v29, 4, v29
	v_and_b32_e32 v56, 16, v56
	v_and_b32_e32 v57, 0x1000, v57
	;; [unrolled: 1-line block ×3, first 2 shown]
	v_or3_b32 v51, v52, v51, v53
	v_lshlrev_b32_e32 v52, 11, v42
	v_lshlrev_b32_e32 v53, 18, v42
	v_and_b32_e32 v60, 16, v60
	v_and_b32_e32 v54, 0x100000, v54
	;; [unrolled: 1-line block ×5, first 2 shown]
	v_lshlrev_b32_e32 v61, 25, v42
	v_or3_b32 v56, v57, v56, v58
	v_lshrrev_b32_e32 v57, 12, v42
	v_lshrrev_b32_e32 v58, 5, v42
	v_or3_b32 v52, v52, v60, v53
	v_lshlrev_b32_e32 v53, 2, v42
	v_or3_b32 v51, v51, v54, v55
	v_and_b32_e32 v29, 0xf0f0f0f, v29
	v_and_b32_e32 v50, 0x10000000, v50
	;; [unrolled: 1-line block ×3, first 2 shown]
	v_lshrrev_b32_e32 v30, 4, v30
	v_lshlrev_b32_e32 v42, 9, v42
	v_and_b32_e32 v57, 16, v57
	v_and_b32_e32 v58, 0x1000, v58
	;; [unrolled: 1-line block ×4, first 2 shown]
	v_or3_b32 v29, v56, v50, v29
	v_dot4c_i32_i8 v18, v51, v19
	s_waitcnt vmcnt(8)
	v_dot4c_i32_i8 v28, v51, v21
	s_waitcnt vmcnt(7)
	;; [unrolled: 2-line block ×4, first 2 shown]
	v_dot4c_i32_i8 v48, v51, v35
	v_or3_b32 v53, v58, v57, v53
	v_and_b32_e32 v30, 0xf0f0f0f, v30
	v_and_b32_e32 v42, 0x10000000, v42
	v_or3_b32 v50, v52, v55, v59
	v_dot4c_i32_i8 v18, v29, v15
	v_dot4c_i32_i8 v28, v29, v39
	;; [unrolled: 1-line block ×4, first 2 shown]
	s_waitcnt vmcnt(2)
	v_dot4c_i32_i8 v48, v29, v37
	v_or3_b32 v30, v53, v42, v30
	v_dot4c_i32_i8 v18, v50, v20
	v_dot4c_i32_i8 v28, v50, v22
	;; [unrolled: 1-line block ×5, first 2 shown]
	v_cvt_f32_f16_sdwa v60, v44 dst_sel:DWORD dst_unused:UNUSED_PAD src0_sel:WORD_1
	v_cvt_f32_f16_sdwa v57, v43 dst_sel:DWORD dst_unused:UNUSED_PAD src0_sel:WORD_1
	;; [unrolled: 1-line block ×3, first 2 shown]
	s_waitcnt vmcnt(1)
	v_cvt_f32_f16_sdwa v54, v27 dst_sel:DWORD dst_unused:UNUSED_PAD src0_sel:WORD_1
	v_dot4c_i32_i8 v18, v30, v16
	v_dot4c_i32_i8 v28, v30, v40
	;; [unrolled: 1-line block ×5, first 2 shown]
	v_mul_f32_e32 v60, 0x41000000, v60
	v_mul_f32_e32 v57, 0x41000000, v57
	v_mul_f32_e32 v58, 0x41000000, v58
	v_mul_f32_e32 v54, 0x41000000, v54
	v_cvt_f32_i32_e32 v15, v18
	v_cvt_f32_i32_e32 v16, v28
	;; [unrolled: 1-line block ×5, first 2 shown]
	v_fma_mix_f32 v15, v41, v15, -v49 op_sel_hi:[1,0,0]
	v_fma_mix_f32 v16, v44, v16, -v60 op_sel_hi:[1,0,0]
	;; [unrolled: 1-line block ×5, first 2 shown]
	s_waitcnt vmcnt(0)
	v_fma_mix_f32 v9, v15, v17, v9 op_sel_hi:[0,1,0]
	v_fma_mix_f32 v7, v16, v17, v7 op_sel_hi:[0,1,0]
	;; [unrolled: 1-line block ×5, first 2 shown]
	s_andn2_b32 exec_lo, exec_lo, s13
	s_cbranch_execnz .LBB44_2
; %bb.3:
	s_or_b32 exec_lo, exec_lo, s13
.LBB44_4:
	s_or_b32 exec_lo, exec_lo, s9
	s_mov_b32 s1, 0
	; wave barrier
	buffer_gl0_inv
	s_mov_b32 s0, exec_lo
	v_cmpx_eq_u32_e32 0, v1
	s_cbranch_execz .LBB44_15
; %bb.5:
	v_mbcnt_lo_u32_b32 v10, -1, 0
	s_load_dwordx2 s[4:5], s[4:5], 0x38
	s_mul_i32 s0, s14, s7
	s_mul_i32 s3, s18, s8
	s_add_i32 s0, s0, s6
	v_xor_b32_e32 v1, 16, v10
	v_xor_b32_e32 v2, 8, v10
	s_add_i32 s0, s0, s3
	s_lshl_b64 s[0:1], s[0:1], 2
	v_cmp_gt_i32_e32 vcc_lo, 32, v1
	v_cndmask_b32_e32 v1, v10, v1, vcc_lo
	v_cmp_gt_i32_e32 vcc_lo, 32, v2
	v_lshlrev_b32_e32 v1, 2, v1
	v_cndmask_b32_e32 v2, v10, v2, vcc_lo
	s_waitcnt lgkmcnt(0)
	s_add_u32 s0, s4, s0
	s_addc_u32 s1, s5, s1
	ds_bpermute_b32 v3, v1, v9
	v_lshlrev_b32_e32 v2, 2, v2
	s_waitcnt lgkmcnt(0)
	v_add_f32_e32 v8, v9, v3
	v_xor_b32_e32 v3, 4, v10
	ds_bpermute_b32 v9, v2, v8
	v_cmp_gt_i32_e32 vcc_lo, 32, v3
	v_cndmask_b32_e32 v3, v10, v3, vcc_lo
	v_lshlrev_b32_e32 v3, 2, v3
	s_waitcnt lgkmcnt(0)
	v_add_f32_e32 v9, v8, v9
	v_xor_b32_e32 v8, 2, v10
	ds_bpermute_b32 v11, v3, v9
	v_cmp_gt_i32_e32 vcc_lo, 32, v8
	v_cndmask_b32_e32 v8, v10, v8, vcc_lo
	;; [unrolled: 7-line block ×3, first 2 shown]
	v_cmp_eq_u32_e32 vcc_lo, 0, v0
	v_lshlrev_b32_e32 v9, 2, v9
	s_waitcnt lgkmcnt(0)
	v_add_f32_e32 v10, v11, v12
	ds_bpermute_b32 v11, v9, v10
	s_and_saveexec_b32 s3, vcc_lo
	s_cbranch_execz .LBB44_7
; %bb.6:
	s_waitcnt lgkmcnt(0)
	v_add_f32_e32 v0, v10, v11
	v_mov_b32_e32 v10, 0
	global_store_dword v10, v0, s[0:1]
.LBB44_7:
	s_or_b32 exec_lo, exec_lo, s3
	ds_bpermute_b32 v0, v1, v7
	s_waitcnt lgkmcnt(0)
	v_add_f32_e32 v0, v7, v0
	ds_bpermute_b32 v7, v2, v0
	s_waitcnt lgkmcnt(0)
	v_add_f32_e32 v0, v0, v7
	;; [unrolled: 3-line block ×4, first 2 shown]
	ds_bpermute_b32 v7, v9, v0
	s_and_saveexec_b32 s4, vcc_lo
	s_cbranch_execz .LBB44_9
; %bb.8:
	s_mov_b32 s3, 0
	s_waitcnt lgkmcnt(0)
	v_add_f32_e32 v0, v0, v7
	s_lshl_b64 s[6:7], s[2:3], 2
	v_mov_b32_e32 v7, 0
	s_add_u32 s6, s0, s6
	s_addc_u32 s7, s1, s7
	global_store_dword v7, v0, s[6:7]
.LBB44_9:
	s_or_b32 exec_lo, exec_lo, s4
	ds_bpermute_b32 v0, v1, v6
	s_waitcnt lgkmcnt(0)
	v_add_f32_e32 v0, v6, v0
	ds_bpermute_b32 v6, v2, v0
	s_waitcnt lgkmcnt(0)
	v_add_f32_e32 v0, v0, v6
	;; [unrolled: 3-line block ×4, first 2 shown]
	ds_bpermute_b32 v6, v9, v0
	s_and_saveexec_b32 s3, vcc_lo
	s_cbranch_execz .LBB44_11
; %bb.10:
	s_lshl_b32 s4, s2, 1
	s_mov_b32 s5, 0
	s_waitcnt lgkmcnt(0)
	v_add_f32_e32 v0, v0, v6
	s_lshl_b64 s[4:5], s[4:5], 2
	v_mov_b32_e32 v6, 0
	s_add_u32 s4, s0, s4
	s_addc_u32 s5, s1, s5
	global_store_dword v6, v0, s[4:5]
.LBB44_11:
	s_or_b32 exec_lo, exec_lo, s3
	ds_bpermute_b32 v0, v1, v5
	s_waitcnt lgkmcnt(0)
	v_add_f32_e32 v0, v5, v0
	ds_bpermute_b32 v5, v2, v0
	s_waitcnt lgkmcnt(0)
	v_add_f32_e32 v0, v0, v5
	;; [unrolled: 3-line block ×4, first 2 shown]
	ds_bpermute_b32 v5, v9, v0
	s_and_saveexec_b32 s3, vcc_lo
	s_cbranch_execz .LBB44_13
; %bb.12:
	s_mul_i32 s4, s2, 3
	s_mov_b32 s5, 0
	s_waitcnt lgkmcnt(0)
	v_add_f32_e32 v0, v0, v5
	s_lshl_b64 s[4:5], s[4:5], 2
	v_mov_b32_e32 v5, 0
	s_add_u32 s4, s0, s4
	s_addc_u32 s5, s1, s5
	global_store_dword v5, v0, s[4:5]
.LBB44_13:
	s_or_b32 exec_lo, exec_lo, s3
	ds_bpermute_b32 v0, v1, v4
	s_waitcnt lgkmcnt(0)
	v_add_f32_e32 v0, v4, v0
	ds_bpermute_b32 v1, v2, v0
	s_waitcnt lgkmcnt(0)
	v_add_f32_e32 v0, v0, v1
	;; [unrolled: 3-line block ×4, first 2 shown]
	ds_bpermute_b32 v1, v9, v0
	s_and_b32 exec_lo, exec_lo, vcc_lo
	s_cbranch_execz .LBB44_15
; %bb.14:
	s_lshl_b32 s2, s2, 2
	s_mov_b32 s3, 0
	s_waitcnt lgkmcnt(0)
	v_add_f32_e32 v0, v0, v1
	s_lshl_b64 s[2:3], s[2:3], 2
	v_mov_b32_e32 v1, 0
	s_add_u32 s0, s0, s2
	s_addc_u32 s1, s1, s3
	global_store_dword v1, v0, s[0:1]
.LBB44_15:
	s_endpgm
	.section	.rodata,"a",@progbits
	.p2align	6, 0x0
	.amdhsa_kernel _ZL13mul_mat_vec_qIL9ggml_type6ELi5ELb0ELb0EEvPKvS2_PKi31ggml_cuda_mm_fusion_args_devicePfj15HIP_vector_typeIjLj3EEjjjS8_jjjS8_jjjj
		.amdhsa_group_segment_fixed_size 0
		.amdhsa_private_segment_fixed_size 0
		.amdhsa_kernarg_size 144
		.amdhsa_user_sgpr_count 6
		.amdhsa_user_sgpr_private_segment_buffer 1
		.amdhsa_user_sgpr_dispatch_ptr 0
		.amdhsa_user_sgpr_queue_ptr 0
		.amdhsa_user_sgpr_kernarg_segment_ptr 1
		.amdhsa_user_sgpr_dispatch_id 0
		.amdhsa_user_sgpr_flat_scratch_init 0
		.amdhsa_user_sgpr_private_segment_size 0
		.amdhsa_wavefront_size32 1
		.amdhsa_uses_dynamic_stack 0
		.amdhsa_system_sgpr_private_segment_wavefront_offset 0
		.amdhsa_system_sgpr_workgroup_id_x 1
		.amdhsa_system_sgpr_workgroup_id_y 1
		.amdhsa_system_sgpr_workgroup_id_z 1
		.amdhsa_system_sgpr_workgroup_info 0
		.amdhsa_system_vgpr_workitem_id 1
		.amdhsa_next_free_vgpr 62
		.amdhsa_next_free_sgpr 26
		.amdhsa_reserve_vcc 1
		.amdhsa_reserve_flat_scratch 0
		.amdhsa_float_round_mode_32 0
		.amdhsa_float_round_mode_16_64 0
		.amdhsa_float_denorm_mode_32 3
		.amdhsa_float_denorm_mode_16_64 3
		.amdhsa_dx10_clamp 1
		.amdhsa_ieee_mode 1
		.amdhsa_fp16_overflow 0
		.amdhsa_workgroup_processor_mode 1
		.amdhsa_memory_ordered 1
		.amdhsa_forward_progress 1
		.amdhsa_shared_vgpr_count 0
		.amdhsa_exception_fp_ieee_invalid_op 0
		.amdhsa_exception_fp_denorm_src 0
		.amdhsa_exception_fp_ieee_div_zero 0
		.amdhsa_exception_fp_ieee_overflow 0
		.amdhsa_exception_fp_ieee_underflow 0
		.amdhsa_exception_fp_ieee_inexact 0
		.amdhsa_exception_int_div_zero 0
	.end_amdhsa_kernel
	.section	.text._ZL13mul_mat_vec_qIL9ggml_type6ELi5ELb0ELb0EEvPKvS2_PKi31ggml_cuda_mm_fusion_args_devicePfj15HIP_vector_typeIjLj3EEjjjS8_jjjS8_jjjj,"axG",@progbits,_ZL13mul_mat_vec_qIL9ggml_type6ELi5ELb0ELb0EEvPKvS2_PKi31ggml_cuda_mm_fusion_args_devicePfj15HIP_vector_typeIjLj3EEjjjS8_jjjS8_jjjj,comdat
.Lfunc_end44:
	.size	_ZL13mul_mat_vec_qIL9ggml_type6ELi5ELb0ELb0EEvPKvS2_PKi31ggml_cuda_mm_fusion_args_devicePfj15HIP_vector_typeIjLj3EEjjjS8_jjjS8_jjjj, .Lfunc_end44-_ZL13mul_mat_vec_qIL9ggml_type6ELi5ELb0ELb0EEvPKvS2_PKi31ggml_cuda_mm_fusion_args_devicePfj15HIP_vector_typeIjLj3EEjjjS8_jjjS8_jjjj
                                        ; -- End function
	.set _ZL13mul_mat_vec_qIL9ggml_type6ELi5ELb0ELb0EEvPKvS2_PKi31ggml_cuda_mm_fusion_args_devicePfj15HIP_vector_typeIjLj3EEjjjS8_jjjS8_jjjj.num_vgpr, 62
	.set _ZL13mul_mat_vec_qIL9ggml_type6ELi5ELb0ELb0EEvPKvS2_PKi31ggml_cuda_mm_fusion_args_devicePfj15HIP_vector_typeIjLj3EEjjjS8_jjjS8_jjjj.num_agpr, 0
	.set _ZL13mul_mat_vec_qIL9ggml_type6ELi5ELb0ELb0EEvPKvS2_PKi31ggml_cuda_mm_fusion_args_devicePfj15HIP_vector_typeIjLj3EEjjjS8_jjjS8_jjjj.numbered_sgpr, 26
	.set _ZL13mul_mat_vec_qIL9ggml_type6ELi5ELb0ELb0EEvPKvS2_PKi31ggml_cuda_mm_fusion_args_devicePfj15HIP_vector_typeIjLj3EEjjjS8_jjjS8_jjjj.num_named_barrier, 0
	.set _ZL13mul_mat_vec_qIL9ggml_type6ELi5ELb0ELb0EEvPKvS2_PKi31ggml_cuda_mm_fusion_args_devicePfj15HIP_vector_typeIjLj3EEjjjS8_jjjS8_jjjj.private_seg_size, 0
	.set _ZL13mul_mat_vec_qIL9ggml_type6ELi5ELb0ELb0EEvPKvS2_PKi31ggml_cuda_mm_fusion_args_devicePfj15HIP_vector_typeIjLj3EEjjjS8_jjjS8_jjjj.uses_vcc, 1
	.set _ZL13mul_mat_vec_qIL9ggml_type6ELi5ELb0ELb0EEvPKvS2_PKi31ggml_cuda_mm_fusion_args_devicePfj15HIP_vector_typeIjLj3EEjjjS8_jjjS8_jjjj.uses_flat_scratch, 0
	.set _ZL13mul_mat_vec_qIL9ggml_type6ELi5ELb0ELb0EEvPKvS2_PKi31ggml_cuda_mm_fusion_args_devicePfj15HIP_vector_typeIjLj3EEjjjS8_jjjS8_jjjj.has_dyn_sized_stack, 0
	.set _ZL13mul_mat_vec_qIL9ggml_type6ELi5ELb0ELb0EEvPKvS2_PKi31ggml_cuda_mm_fusion_args_devicePfj15HIP_vector_typeIjLj3EEjjjS8_jjjS8_jjjj.has_recursion, 0
	.set _ZL13mul_mat_vec_qIL9ggml_type6ELi5ELb0ELb0EEvPKvS2_PKi31ggml_cuda_mm_fusion_args_devicePfj15HIP_vector_typeIjLj3EEjjjS8_jjjS8_jjjj.has_indirect_call, 0
	.section	.AMDGPU.csdata,"",@progbits
; Kernel info:
; codeLenInByte = 2016
; TotalNumSgprs: 28
; NumVgprs: 62
; ScratchSize: 0
; MemoryBound: 0
; FloatMode: 240
; IeeeMode: 1
; LDSByteSize: 0 bytes/workgroup (compile time only)
; SGPRBlocks: 0
; VGPRBlocks: 7
; NumSGPRsForWavesPerEU: 28
; NumVGPRsForWavesPerEU: 62
; Occupancy: 16
; WaveLimiterHint : 0
; COMPUTE_PGM_RSRC2:SCRATCH_EN: 0
; COMPUTE_PGM_RSRC2:USER_SGPR: 6
; COMPUTE_PGM_RSRC2:TRAP_HANDLER: 0
; COMPUTE_PGM_RSRC2:TGID_X_EN: 1
; COMPUTE_PGM_RSRC2:TGID_Y_EN: 1
; COMPUTE_PGM_RSRC2:TGID_Z_EN: 1
; COMPUTE_PGM_RSRC2:TIDIG_COMP_CNT: 1
	.section	.text._ZL13mul_mat_vec_qIL9ggml_type6ELi6ELb0ELb0EEvPKvS2_PKi31ggml_cuda_mm_fusion_args_devicePfj15HIP_vector_typeIjLj3EEjjjS8_jjjS8_jjjj,"axG",@progbits,_ZL13mul_mat_vec_qIL9ggml_type6ELi6ELb0ELb0EEvPKvS2_PKi31ggml_cuda_mm_fusion_args_devicePfj15HIP_vector_typeIjLj3EEjjjS8_jjjS8_jjjj,comdat
	.globl	_ZL13mul_mat_vec_qIL9ggml_type6ELi6ELb0ELb0EEvPKvS2_PKi31ggml_cuda_mm_fusion_args_devicePfj15HIP_vector_typeIjLj3EEjjjS8_jjjS8_jjjj ; -- Begin function _ZL13mul_mat_vec_qIL9ggml_type6ELi6ELb0ELb0EEvPKvS2_PKi31ggml_cuda_mm_fusion_args_devicePfj15HIP_vector_typeIjLj3EEjjjS8_jjjS8_jjjj
	.p2align	8
	.type	_ZL13mul_mat_vec_qIL9ggml_type6ELi6ELb0ELb0EEvPKvS2_PKi31ggml_cuda_mm_fusion_args_devicePfj15HIP_vector_typeIjLj3EEjjjS8_jjjS8_jjjj,@function
_ZL13mul_mat_vec_qIL9ggml_type6ELi6ELb0ELb0EEvPKvS2_PKi31ggml_cuda_mm_fusion_args_devicePfj15HIP_vector_typeIjLj3EEjjjS8_jjjS8_jjjj: ; @_ZL13mul_mat_vec_qIL9ggml_type6ELi6ELb0ELb0EEvPKvS2_PKi31ggml_cuda_mm_fusion_args_devicePfj15HIP_vector_typeIjLj3EEjjjS8_jjjS8_jjjj
; %bb.0:
	s_clause 0x5
	s_load_dwordx4 s[16:19], s[4:5], 0x80
	s_load_dword s9, s[4:5], 0x40
	s_load_dwordx4 s[0:3], s[4:5], 0x50
	s_load_dword s24, s[4:5], 0x60
	;; [unrolled: 2-line block ×3, first 2 shown]
	v_lshl_or_b32 v2, v1, 5, v0
	v_mov_b32_e32 v4, 0
	v_mov_b32_e32 v5, 0
	;; [unrolled: 1-line block ×4, first 2 shown]
	v_lshrrev_b16 v3, 1, v2
	v_mov_b32_e32 v8, 0
	v_mov_b32_e32 v10, 0
	v_and_b32_e32 v9, 0xffff, v3
	s_waitcnt lgkmcnt(0)
	s_lshr_b32 s19, s9, 5
	s_mov_b32 s9, exec_lo
	v_cmpx_gt_u32_e64 s19, v9
	s_cbranch_execz .LBB45_4
; %bb.1:
	s_load_dwordx4 s[20:23], s[4:5], 0x0
	v_lshlrev_b32_e32 v3, 1, v0
	s_mul_i32 s10, s17, s8
	s_mul_i32 s11, s13, s7
	s_mul_hi_u32 s13, s15, s8
	v_and_b32_e32 v5, 1, v0
	s_mul_hi_u32 s15, s10, 36
	v_and_b32_e32 v6, 2, v3
	s_mul_i32 s10, s10, 36
	v_lshrrev_b32_e32 v2, 1, v2
	s_mul_hi_u32 s17, s11, 36
	s_mul_i32 s11, s11, 36
	s_mul_hi_u32 s3, s3, s7
	v_lshlrev_b32_e32 v11, 3, v5
	v_lshlrev_b32_e32 v5, 1, v6
	;; [unrolled: 1-line block ×3, first 2 shown]
	s_mul_i32 s0, s0, s6
	v_mov_b32_e32 v4, 0
	v_lshlrev_b32_e32 v15, 2, v6
	v_lshlrev_b32_e32 v14, 1, v5
	s_waitcnt lgkmcnt(0)
	s_add_u32 s10, s22, s10
	s_addc_u32 s15, s23, s15
	s_add_u32 s10, s10, s11
	s_addc_u32 s11, s15, s17
	s_add_i32 s3, s7, s3
	s_add_i32 s13, s8, s13
	s_lshr_b32 s3, s3, s24
	v_mad_u64_u32 v[2:3], null, v2, 36, s[10:11]
	s_lshr_b32 s13, s13, s25
	s_mul_i32 s3, s3, s12
	v_or_b32_e32 v13, 4, v12
	v_mov_b32_e32 v5, 0
	v_mov_b32_e32 v6, 0
	;; [unrolled: 1-line block ×5, first 2 shown]
	s_mul_i32 s12, s13, s16
	s_add_i32 s3, s3, s0
	s_lshl_b32 s13, s1, 2
	s_add_i32 s0, s12, s3
	s_lshl_b32 s3, s1, 1
	s_mul_i32 s12, s1, 3
	s_mul_i32 s16, s1, 5
	s_mov_b32 s15, 0
.LBB45_2:                               ; =>This Inner Loop Header: Depth=1
	v_add_nc_u32_e32 v18, s0, v9
	v_add_co_u32 v16, vcc_lo, v2, v11
	v_add_co_ci_u32_e64 v17, null, 0, v3, vcc_lo
	v_mad_i64_i32 v[18:19], null, v18, 22, s[20:21]
	s_clause 0x2
	global_load_dword v46, v[2:3], off
	global_load_dwordx2 v[20:21], v[16:17], off offset:4
	global_load_dwordx2 v[16:17], v[16:17], off offset:20
	v_add_nc_u32_e32 v22, s1, v9
	v_add_nc_u32_e32 v24, s3, v9
	;; [unrolled: 1-line block ×4, first 2 shown]
	global_load_dword v47, v[18:19], off offset:2
	v_mad_u64_u32 v[22:23], null, v22, 36, s[10:11]
	v_mad_u64_u32 v[24:25], null, v24, 36, s[10:11]
	v_add_nc_u32_e32 v30, s16, v9
	v_mad_u64_u32 v[26:27], null, v26, 36, s[10:11]
	v_mad_u64_u32 v[28:29], null, v28, 36, s[10:11]
	v_add_co_u32 v32, vcc_lo, v18, v14
	v_mad_u64_u32 v[30:31], null, v30, 36, s[10:11]
	v_add_co_ci_u32_e64 v33, null, 0, v19, vcc_lo
	v_add_co_u32 v34, vcc_lo, v22, v15
	v_add_co_ci_u32_e64 v35, null, 0, v23, vcc_lo
	v_add_co_u32 v36, vcc_lo, v24, v15
	;; [unrolled: 2-line block ×5, first 2 shown]
	v_add_co_ci_u32_e64 v43, null, 0, v31, vcc_lo
	global_load_dwordx2 v[32:33], v[32:33], off offset:6
	s_clause 0xe
	global_load_dwordx2 v[44:45], v[34:35], off offset:20
	global_load_dword v48, v[24:25], off
	global_load_dword v49, v[22:23], off
	global_load_dwordx2 v[22:23], v[34:35], off offset:4
	global_load_dwordx2 v[24:25], v[40:41], off offset:20
	global_load_dword v50, v[28:29], off
	global_load_dword v51, v[26:27], off
	global_load_dwordx2 v[26:27], v[36:37], off offset:4
	global_load_dwordx2 v[28:29], v[36:37], off offset:20
	;; [unrolled: 1-line block ×7, first 2 shown]
	global_load_dword v30, v[30:31], off
	global_load_ushort v18, v[18:19], off
	v_mov_b32_e32 v19, 0
	v_mov_b32_e32 v31, 0
	;; [unrolled: 1-line block ×5, first 2 shown]
	v_add_nc_u32_e32 v9, 16, v9
	v_add_co_u32 v2, vcc_lo, 0x240, v2
	v_add_co_ci_u32_e64 v3, null, 0, v3, vcc_lo
	v_cmp_le_u32_e32 vcc_lo, s19, v9
	s_or_b32 s15, vcc_lo, s15
	s_waitcnt vmcnt(17)
	v_ashrrev_i32_e32 v55, v12, v47
	v_ashrrev_i32_e32 v47, v13, v47
	v_lshlrev_b32_e32 v57, 4, v55
	v_lshlrev_b32_e32 v58, 11, v55
	v_lshrrev_b32_e32 v59, 12, v55
	v_lshrrev_b32_e32 v60, 5, v55
	v_lshlrev_b32_e32 v61, 2, v55
	v_and_b32_e32 v57, 16, v57
	v_and_b32_e32 v58, 0x1000, v58
	;; [unrolled: 1-line block ×5, first 2 shown]
	v_or3_b32 v59, v60, v59, v61
	s_waitcnt vmcnt(16)
	v_and_b32_e32 v56, 0xf0f0f0f, v32
	v_lshlrev_b32_e32 v60, 18, v47
	v_lshrrev_b32_e32 v61, 12, v47
	v_lshrrev_b32_e32 v32, 4, v32
	v_or3_b32 v56, v57, v56, v58
	v_lshlrev_b32_e32 v57, 4, v47
	v_lshlrev_b32_e32 v58, 11, v47
	v_and_b32_e32 v60, 0x100000, v60
	v_and_b32_e32 v61, 16, v61
	v_and_b32_e32 v32, 0xf0f0f0f, v32
	v_and_b32_e32 v57, 16, v57
	v_and_b32_e32 v58, 0x1000, v58
	v_or3_b32 v57, v58, v57, v60
	v_lshrrev_b32_e32 v58, 5, v47
	v_lshlrev_b32_e32 v60, 2, v47
	v_and_b32_e32 v58, 0x1000, v58
	v_and_b32_e32 v60, 0x100000, v60
	v_or3_b32 v58, v58, v61, v60
	v_lshlrev_b32_e32 v60, 18, v55
	v_lshlrev_b32_e32 v61, 25, v55
	;; [unrolled: 1-line block ×3, first 2 shown]
	v_and_b32_e32 v60, 0x100000, v60
	v_and_b32_e32 v61, 0x10000000, v61
	;; [unrolled: 1-line block ×3, first 2 shown]
	v_or3_b32 v56, v56, v60, v61
	v_mov_b32_e32 v60, 0
	v_lshlrev_b32_e32 v61, 25, v47
	v_or3_b32 v32, v59, v55, v32
	v_and_b32_e32 v59, 0xf0f0f0f, v33
	v_lshrrev_b32_e32 v33, 4, v33
	v_lshlrev_b32_e32 v47, 9, v47
	v_and_b32_e32 v61, 0x10000000, v61
	v_dot4c_i32_i8 v19, v56, v20
	s_waitcnt vmcnt(12)
	v_dot4c_i32_i8 v31, v56, v22
	s_waitcnt vmcnt(8)
	;; [unrolled: 2-line block ×5, first 2 shown]
	v_dot4c_i32_i8 v60, v56, v40
	v_or3_b32 v57, v57, v61, v59
	v_and_b32_e32 v33, 0xf0f0f0f, v33
	v_and_b32_e32 v47, 0x10000000, v47
	v_dot4c_i32_i8 v19, v32, v16
	v_dot4c_i32_i8 v31, v32, v44
	v_dot4c_i32_i8 v52, v32, v28
	v_dot4c_i32_i8 v53, v32, v38
	v_dot4c_i32_i8 v54, v32, v24
	s_waitcnt vmcnt(2)
	v_dot4c_i32_i8 v60, v32, v42
	v_or3_b32 v33, v58, v47, v33
	v_dot4c_i32_i8 v19, v57, v21
	v_dot4c_i32_i8 v31, v57, v23
	v_dot4c_i32_i8 v52, v57, v27
	v_dot4c_i32_i8 v53, v57, v35
	v_dot4c_i32_i8 v54, v57, v37
	v_dot4c_i32_i8 v60, v57, v41
	v_cvt_f32_f16_sdwa v55, v46 dst_sel:DWORD dst_unused:UNUSED_PAD src0_sel:WORD_1
	v_cvt_f32_f16_sdwa v59, v49 dst_sel:DWORD dst_unused:UNUSED_PAD src0_sel:WORD_1
	;; [unrolled: 1-line block ×5, first 2 shown]
	s_waitcnt vmcnt(1)
	v_cvt_f32_f16_sdwa v20, v30 dst_sel:DWORD dst_unused:UNUSED_PAD src0_sel:WORD_1
	v_dot4c_i32_i8 v19, v33, v17
	v_dot4c_i32_i8 v31, v33, v45
	;; [unrolled: 1-line block ×6, first 2 shown]
	v_mul_f32_e32 v55, 0x41000000, v55
	v_mul_f32_e32 v22, 0x41000000, v59
	v_mul_f32_e32 v26, 0x41000000, v61
	v_mul_f32_e32 v34, 0x41000000, v47
	v_mul_f32_e32 v36, 0x41000000, v58
	v_mul_f32_e32 v20, 0x41000000, v20
	v_cvt_f32_i32_e32 v16, v19
	v_cvt_f32_i32_e32 v17, v31
	;; [unrolled: 1-line block ×6, first 2 shown]
	v_fma_mix_f32 v16, v46, v16, -v55 op_sel_hi:[1,0,0]
	v_fma_mix_f32 v17, v49, v17, -v22 op_sel_hi:[1,0,0]
	;; [unrolled: 1-line block ×6, first 2 shown]
	s_waitcnt vmcnt(0)
	v_fma_mix_f32 v10, v16, v18, v10 op_sel_hi:[0,1,0]
	v_fma_mix_f32 v8, v17, v18, v8 op_sel_hi:[0,1,0]
	v_fma_mix_f32 v7, v19, v18, v7 op_sel_hi:[0,1,0]
	v_fma_mix_f32 v6, v21, v18, v6 op_sel_hi:[0,1,0]
	v_fma_mix_f32 v5, v22, v18, v5 op_sel_hi:[0,1,0]
	v_fma_mix_f32 v4, v20, v18, v4 op_sel_hi:[0,1,0]
	s_andn2_b32 exec_lo, exec_lo, s15
	s_cbranch_execnz .LBB45_2
; %bb.3:
	s_or_b32 exec_lo, exec_lo, s15
.LBB45_4:
	s_or_b32 exec_lo, exec_lo, s9
	s_mov_b32 s1, 0
	; wave barrier
	buffer_gl0_inv
	s_mov_b32 s0, exec_lo
	v_cmpx_eq_u32_e32 0, v1
	s_cbranch_execz .LBB45_17
; %bb.5:
	v_mbcnt_lo_u32_b32 v11, -1, 0
	s_load_dwordx2 s[4:5], s[4:5], 0x38
	s_mul_i32 s0, s14, s7
	s_mul_i32 s3, s18, s8
	s_add_i32 s0, s0, s6
	v_xor_b32_e32 v1, 16, v11
	v_xor_b32_e32 v2, 8, v11
	s_add_i32 s0, s0, s3
	s_lshl_b64 s[0:1], s[0:1], 2
	v_cmp_gt_i32_e32 vcc_lo, 32, v1
	v_cndmask_b32_e32 v1, v11, v1, vcc_lo
	v_cmp_gt_i32_e32 vcc_lo, 32, v2
	v_lshlrev_b32_e32 v1, 2, v1
	v_cndmask_b32_e32 v2, v11, v2, vcc_lo
	s_waitcnt lgkmcnt(0)
	s_add_u32 s0, s4, s0
	s_addc_u32 s1, s5, s1
	ds_bpermute_b32 v3, v1, v10
	v_lshlrev_b32_e32 v2, 2, v2
	s_waitcnt lgkmcnt(0)
	v_add_f32_e32 v9, v10, v3
	v_xor_b32_e32 v3, 4, v11
	ds_bpermute_b32 v10, v2, v9
	v_cmp_gt_i32_e32 vcc_lo, 32, v3
	v_cndmask_b32_e32 v3, v11, v3, vcc_lo
	v_lshlrev_b32_e32 v3, 2, v3
	s_waitcnt lgkmcnt(0)
	v_add_f32_e32 v10, v9, v10
	v_xor_b32_e32 v9, 2, v11
	ds_bpermute_b32 v12, v3, v10
	v_cmp_gt_i32_e32 vcc_lo, 32, v9
	v_cndmask_b32_e32 v9, v11, v9, vcc_lo
	;; [unrolled: 7-line block ×3, first 2 shown]
	v_cmp_eq_u32_e32 vcc_lo, 0, v0
	v_lshlrev_b32_e32 v10, 2, v10
	s_waitcnt lgkmcnt(0)
	v_add_f32_e32 v11, v12, v13
	ds_bpermute_b32 v12, v10, v11
	s_and_saveexec_b32 s3, vcc_lo
	s_cbranch_execz .LBB45_7
; %bb.6:
	s_waitcnt lgkmcnt(0)
	v_add_f32_e32 v0, v11, v12
	v_mov_b32_e32 v11, 0
	global_store_dword v11, v0, s[0:1]
.LBB45_7:
	s_or_b32 exec_lo, exec_lo, s3
	ds_bpermute_b32 v0, v1, v8
	s_waitcnt lgkmcnt(0)
	v_add_f32_e32 v0, v8, v0
	ds_bpermute_b32 v8, v2, v0
	s_waitcnt lgkmcnt(0)
	v_add_f32_e32 v0, v0, v8
	;; [unrolled: 3-line block ×4, first 2 shown]
	ds_bpermute_b32 v8, v10, v0
	s_and_saveexec_b32 s4, vcc_lo
	s_cbranch_execz .LBB45_9
; %bb.8:
	s_mov_b32 s3, 0
	s_waitcnt lgkmcnt(0)
	v_add_f32_e32 v0, v0, v8
	s_lshl_b64 s[6:7], s[2:3], 2
	v_mov_b32_e32 v8, 0
	s_add_u32 s6, s0, s6
	s_addc_u32 s7, s1, s7
	global_store_dword v8, v0, s[6:7]
.LBB45_9:
	s_or_b32 exec_lo, exec_lo, s4
	ds_bpermute_b32 v0, v1, v7
	s_waitcnt lgkmcnt(0)
	v_add_f32_e32 v0, v7, v0
	ds_bpermute_b32 v7, v2, v0
	s_waitcnt lgkmcnt(0)
	v_add_f32_e32 v0, v0, v7
	;; [unrolled: 3-line block ×4, first 2 shown]
	ds_bpermute_b32 v7, v10, v0
	s_and_saveexec_b32 s3, vcc_lo
	s_cbranch_execz .LBB45_11
; %bb.10:
	s_lshl_b32 s4, s2, 1
	s_mov_b32 s5, 0
	s_waitcnt lgkmcnt(0)
	v_add_f32_e32 v0, v0, v7
	s_lshl_b64 s[4:5], s[4:5], 2
	v_mov_b32_e32 v7, 0
	s_add_u32 s4, s0, s4
	s_addc_u32 s5, s1, s5
	global_store_dword v7, v0, s[4:5]
.LBB45_11:
	s_or_b32 exec_lo, exec_lo, s3
	ds_bpermute_b32 v0, v1, v6
	s_waitcnt lgkmcnt(0)
	v_add_f32_e32 v0, v6, v0
	ds_bpermute_b32 v6, v2, v0
	s_waitcnt lgkmcnt(0)
	v_add_f32_e32 v0, v0, v6
	;; [unrolled: 3-line block ×4, first 2 shown]
	ds_bpermute_b32 v6, v10, v0
	s_and_saveexec_b32 s3, vcc_lo
	s_cbranch_execz .LBB45_13
; %bb.12:
	s_mul_i32 s4, s2, 3
	s_mov_b32 s5, 0
	s_waitcnt lgkmcnt(0)
	v_add_f32_e32 v0, v0, v6
	s_lshl_b64 s[4:5], s[4:5], 2
	v_mov_b32_e32 v6, 0
	s_add_u32 s4, s0, s4
	s_addc_u32 s5, s1, s5
	global_store_dword v6, v0, s[4:5]
.LBB45_13:
	s_or_b32 exec_lo, exec_lo, s3
	ds_bpermute_b32 v0, v1, v5
	s_waitcnt lgkmcnt(0)
	v_add_f32_e32 v0, v5, v0
	ds_bpermute_b32 v5, v2, v0
	s_waitcnt lgkmcnt(0)
	v_add_f32_e32 v0, v0, v5
	;; [unrolled: 3-line block ×4, first 2 shown]
	ds_bpermute_b32 v5, v10, v0
	s_and_saveexec_b32 s3, vcc_lo
	s_cbranch_execz .LBB45_15
; %bb.14:
	s_lshl_b32 s4, s2, 2
	s_mov_b32 s5, 0
	s_waitcnt lgkmcnt(0)
	v_add_f32_e32 v0, v0, v5
	s_lshl_b64 s[4:5], s[4:5], 2
	v_mov_b32_e32 v5, 0
	s_add_u32 s4, s0, s4
	s_addc_u32 s5, s1, s5
	global_store_dword v5, v0, s[4:5]
.LBB45_15:
	s_or_b32 exec_lo, exec_lo, s3
	ds_bpermute_b32 v0, v1, v4
	s_waitcnt lgkmcnt(0)
	v_add_f32_e32 v0, v4, v0
	ds_bpermute_b32 v1, v2, v0
	s_waitcnt lgkmcnt(0)
	v_add_f32_e32 v0, v0, v1
	;; [unrolled: 3-line block ×4, first 2 shown]
	ds_bpermute_b32 v1, v10, v0
	s_and_b32 exec_lo, exec_lo, vcc_lo
	s_cbranch_execz .LBB45_17
; %bb.16:
	s_mul_i32 s2, s2, 5
	s_mov_b32 s3, 0
	s_waitcnt lgkmcnt(0)
	v_add_f32_e32 v0, v0, v1
	s_lshl_b64 s[2:3], s[2:3], 2
	v_mov_b32_e32 v1, 0
	s_add_u32 s0, s0, s2
	s_addc_u32 s1, s1, s3
	global_store_dword v1, v0, s[0:1]
.LBB45_17:
	s_endpgm
	.section	.rodata,"a",@progbits
	.p2align	6, 0x0
	.amdhsa_kernel _ZL13mul_mat_vec_qIL9ggml_type6ELi6ELb0ELb0EEvPKvS2_PKi31ggml_cuda_mm_fusion_args_devicePfj15HIP_vector_typeIjLj3EEjjjS8_jjjS8_jjjj
		.amdhsa_group_segment_fixed_size 0
		.amdhsa_private_segment_fixed_size 0
		.amdhsa_kernarg_size 144
		.amdhsa_user_sgpr_count 6
		.amdhsa_user_sgpr_private_segment_buffer 1
		.amdhsa_user_sgpr_dispatch_ptr 0
		.amdhsa_user_sgpr_queue_ptr 0
		.amdhsa_user_sgpr_kernarg_segment_ptr 1
		.amdhsa_user_sgpr_dispatch_id 0
		.amdhsa_user_sgpr_flat_scratch_init 0
		.amdhsa_user_sgpr_private_segment_size 0
		.amdhsa_wavefront_size32 1
		.amdhsa_uses_dynamic_stack 0
		.amdhsa_system_sgpr_private_segment_wavefront_offset 0
		.amdhsa_system_sgpr_workgroup_id_x 1
		.amdhsa_system_sgpr_workgroup_id_y 1
		.amdhsa_system_sgpr_workgroup_id_z 1
		.amdhsa_system_sgpr_workgroup_info 0
		.amdhsa_system_vgpr_workitem_id 1
		.amdhsa_next_free_vgpr 62
		.amdhsa_next_free_sgpr 26
		.amdhsa_reserve_vcc 1
		.amdhsa_reserve_flat_scratch 0
		.amdhsa_float_round_mode_32 0
		.amdhsa_float_round_mode_16_64 0
		.amdhsa_float_denorm_mode_32 3
		.amdhsa_float_denorm_mode_16_64 3
		.amdhsa_dx10_clamp 1
		.amdhsa_ieee_mode 1
		.amdhsa_fp16_overflow 0
		.amdhsa_workgroup_processor_mode 1
		.amdhsa_memory_ordered 1
		.amdhsa_forward_progress 1
		.amdhsa_shared_vgpr_count 0
		.amdhsa_exception_fp_ieee_invalid_op 0
		.amdhsa_exception_fp_denorm_src 0
		.amdhsa_exception_fp_ieee_div_zero 0
		.amdhsa_exception_fp_ieee_overflow 0
		.amdhsa_exception_fp_ieee_underflow 0
		.amdhsa_exception_fp_ieee_inexact 0
		.amdhsa_exception_int_div_zero 0
	.end_amdhsa_kernel
	.section	.text._ZL13mul_mat_vec_qIL9ggml_type6ELi6ELb0ELb0EEvPKvS2_PKi31ggml_cuda_mm_fusion_args_devicePfj15HIP_vector_typeIjLj3EEjjjS8_jjjS8_jjjj,"axG",@progbits,_ZL13mul_mat_vec_qIL9ggml_type6ELi6ELb0ELb0EEvPKvS2_PKi31ggml_cuda_mm_fusion_args_devicePfj15HIP_vector_typeIjLj3EEjjjS8_jjjS8_jjjj,comdat
.Lfunc_end45:
	.size	_ZL13mul_mat_vec_qIL9ggml_type6ELi6ELb0ELb0EEvPKvS2_PKi31ggml_cuda_mm_fusion_args_devicePfj15HIP_vector_typeIjLj3EEjjjS8_jjjS8_jjjj, .Lfunc_end45-_ZL13mul_mat_vec_qIL9ggml_type6ELi6ELb0ELb0EEvPKvS2_PKi31ggml_cuda_mm_fusion_args_devicePfj15HIP_vector_typeIjLj3EEjjjS8_jjjS8_jjjj
                                        ; -- End function
	.set _ZL13mul_mat_vec_qIL9ggml_type6ELi6ELb0ELb0EEvPKvS2_PKi31ggml_cuda_mm_fusion_args_devicePfj15HIP_vector_typeIjLj3EEjjjS8_jjjS8_jjjj.num_vgpr, 62
	.set _ZL13mul_mat_vec_qIL9ggml_type6ELi6ELb0ELb0EEvPKvS2_PKi31ggml_cuda_mm_fusion_args_devicePfj15HIP_vector_typeIjLj3EEjjjS8_jjjS8_jjjj.num_agpr, 0
	.set _ZL13mul_mat_vec_qIL9ggml_type6ELi6ELb0ELb0EEvPKvS2_PKi31ggml_cuda_mm_fusion_args_devicePfj15HIP_vector_typeIjLj3EEjjjS8_jjjS8_jjjj.numbered_sgpr, 26
	.set _ZL13mul_mat_vec_qIL9ggml_type6ELi6ELb0ELb0EEvPKvS2_PKi31ggml_cuda_mm_fusion_args_devicePfj15HIP_vector_typeIjLj3EEjjjS8_jjjS8_jjjj.num_named_barrier, 0
	.set _ZL13mul_mat_vec_qIL9ggml_type6ELi6ELb0ELb0EEvPKvS2_PKi31ggml_cuda_mm_fusion_args_devicePfj15HIP_vector_typeIjLj3EEjjjS8_jjjS8_jjjj.private_seg_size, 0
	.set _ZL13mul_mat_vec_qIL9ggml_type6ELi6ELb0ELb0EEvPKvS2_PKi31ggml_cuda_mm_fusion_args_devicePfj15HIP_vector_typeIjLj3EEjjjS8_jjjS8_jjjj.uses_vcc, 1
	.set _ZL13mul_mat_vec_qIL9ggml_type6ELi6ELb0ELb0EEvPKvS2_PKi31ggml_cuda_mm_fusion_args_devicePfj15HIP_vector_typeIjLj3EEjjjS8_jjjS8_jjjj.uses_flat_scratch, 0
	.set _ZL13mul_mat_vec_qIL9ggml_type6ELi6ELb0ELb0EEvPKvS2_PKi31ggml_cuda_mm_fusion_args_devicePfj15HIP_vector_typeIjLj3EEjjjS8_jjjS8_jjjj.has_dyn_sized_stack, 0
	.set _ZL13mul_mat_vec_qIL9ggml_type6ELi6ELb0ELb0EEvPKvS2_PKi31ggml_cuda_mm_fusion_args_devicePfj15HIP_vector_typeIjLj3EEjjjS8_jjjS8_jjjj.has_recursion, 0
	.set _ZL13mul_mat_vec_qIL9ggml_type6ELi6ELb0ELb0EEvPKvS2_PKi31ggml_cuda_mm_fusion_args_devicePfj15HIP_vector_typeIjLj3EEjjjS8_jjjS8_jjjj.has_indirect_call, 0
	.section	.AMDGPU.csdata,"",@progbits
; Kernel info:
; codeLenInByte = 2260
; TotalNumSgprs: 28
; NumVgprs: 62
; ScratchSize: 0
; MemoryBound: 0
; FloatMode: 240
; IeeeMode: 1
; LDSByteSize: 0 bytes/workgroup (compile time only)
; SGPRBlocks: 0
; VGPRBlocks: 7
; NumSGPRsForWavesPerEU: 28
; NumVGPRsForWavesPerEU: 62
; Occupancy: 16
; WaveLimiterHint : 0
; COMPUTE_PGM_RSRC2:SCRATCH_EN: 0
; COMPUTE_PGM_RSRC2:USER_SGPR: 6
; COMPUTE_PGM_RSRC2:TRAP_HANDLER: 0
; COMPUTE_PGM_RSRC2:TGID_X_EN: 1
; COMPUTE_PGM_RSRC2:TGID_Y_EN: 1
; COMPUTE_PGM_RSRC2:TGID_Z_EN: 1
; COMPUTE_PGM_RSRC2:TIDIG_COMP_CNT: 1
	.section	.text._ZL13mul_mat_vec_qIL9ggml_type6ELi7ELb0ELb0EEvPKvS2_PKi31ggml_cuda_mm_fusion_args_devicePfj15HIP_vector_typeIjLj3EEjjjS8_jjjS8_jjjj,"axG",@progbits,_ZL13mul_mat_vec_qIL9ggml_type6ELi7ELb0ELb0EEvPKvS2_PKi31ggml_cuda_mm_fusion_args_devicePfj15HIP_vector_typeIjLj3EEjjjS8_jjjS8_jjjj,comdat
	.globl	_ZL13mul_mat_vec_qIL9ggml_type6ELi7ELb0ELb0EEvPKvS2_PKi31ggml_cuda_mm_fusion_args_devicePfj15HIP_vector_typeIjLj3EEjjjS8_jjjS8_jjjj ; -- Begin function _ZL13mul_mat_vec_qIL9ggml_type6ELi7ELb0ELb0EEvPKvS2_PKi31ggml_cuda_mm_fusion_args_devicePfj15HIP_vector_typeIjLj3EEjjjS8_jjjS8_jjjj
	.p2align	8
	.type	_ZL13mul_mat_vec_qIL9ggml_type6ELi7ELb0ELb0EEvPKvS2_PKi31ggml_cuda_mm_fusion_args_devicePfj15HIP_vector_typeIjLj3EEjjjS8_jjjS8_jjjj,@function
_ZL13mul_mat_vec_qIL9ggml_type6ELi7ELb0ELb0EEvPKvS2_PKi31ggml_cuda_mm_fusion_args_devicePfj15HIP_vector_typeIjLj3EEjjjS8_jjjS8_jjjj: ; @_ZL13mul_mat_vec_qIL9ggml_type6ELi7ELb0ELb0EEvPKvS2_PKi31ggml_cuda_mm_fusion_args_devicePfj15HIP_vector_typeIjLj3EEjjjS8_jjjS8_jjjj
; %bb.0:
	s_clause 0x5
	s_load_dwordx4 s[16:19], s[4:5], 0x80
	s_load_dword s9, s[4:5], 0x40
	s_load_dwordx4 s[0:3], s[4:5], 0x50
	s_load_dword s24, s[4:5], 0x60
	;; [unrolled: 2-line block ×3, first 2 shown]
	v_lshl_or_b32 v2, v1, 5, v0
	v_mov_b32_e32 v4, 0
	v_mov_b32_e32 v5, 0
	;; [unrolled: 1-line block ×4, first 2 shown]
	v_lshrrev_b16 v3, 1, v2
	v_mov_b32_e32 v8, 0
	v_mov_b32_e32 v9, 0
	;; [unrolled: 1-line block ×3, first 2 shown]
	v_and_b32_e32 v10, 0xffff, v3
	s_waitcnt lgkmcnt(0)
	s_lshr_b32 s19, s9, 5
	s_mov_b32 s9, exec_lo
	v_cmpx_gt_u32_e64 s19, v10
	s_cbranch_execz .LBB46_4
; %bb.1:
	s_load_dwordx4 s[20:23], s[4:5], 0x0
	v_lshlrev_b32_e32 v3, 1, v0
	s_mul_i32 s10, s17, s8
	s_mul_i32 s11, s13, s7
	s_mul_hi_u32 s13, s15, s8
	v_and_b32_e32 v5, 1, v0
	s_mul_hi_u32 s15, s10, 36
	v_and_b32_e32 v6, 2, v3
	s_mul_i32 s10, s10, 36
	v_lshrrev_b32_e32 v2, 1, v2
	s_mul_hi_u32 s17, s11, 36
	s_mul_i32 s11, s11, 36
	s_mul_hi_u32 s3, s3, s7
	v_lshlrev_b32_e32 v12, 3, v5
	v_lshlrev_b32_e32 v5, 1, v6
	v_lshlrev_b32_e32 v13, 2, v6
	s_mul_i32 s0, s0, s6
	v_mov_b32_e32 v4, 0
	v_lshlrev_b32_e32 v16, 2, v6
	v_lshlrev_b32_e32 v15, 1, v5
	s_waitcnt lgkmcnt(0)
	s_add_u32 s10, s22, s10
	s_addc_u32 s15, s23, s15
	s_add_u32 s10, s10, s11
	s_addc_u32 s11, s15, s17
	s_add_i32 s3, s7, s3
	s_add_i32 s13, s8, s13
	s_lshr_b32 s3, s3, s24
	v_mad_u64_u32 v[2:3], null, v2, 36, s[10:11]
	s_lshr_b32 s13, s13, s25
	s_mul_i32 s3, s3, s12
	v_or_b32_e32 v14, 4, v13
	v_mov_b32_e32 v5, 0
	v_mov_b32_e32 v6, 0
	;; [unrolled: 1-line block ×6, first 2 shown]
	s_mul_i32 s12, s13, s16
	s_add_i32 s3, s3, s0
	s_lshl_b32 s13, s1, 2
	s_add_i32 s0, s12, s3
	s_lshl_b32 s3, s1, 1
	s_mul_i32 s12, s1, 3
	s_mul_i32 s15, s1, 5
	;; [unrolled: 1-line block ×3, first 2 shown]
	s_mov_b32 s16, 0
.LBB46_2:                               ; =>This Inner Loop Header: Depth=1
	v_add_nc_u32_e32 v19, s0, v10
	v_add_co_u32 v17, vcc_lo, v2, v12
	v_add_co_ci_u32_e64 v18, null, 0, v3, vcc_lo
	v_mad_i64_i32 v[19:20], null, v19, 22, s[20:21]
	global_load_dword v49, v[2:3], off
	v_add_nc_u32_e32 v23, s1, v10
	s_clause 0x1
	global_load_dwordx2 v[21:22], v[17:18], off offset:4
	global_load_dwordx2 v[17:18], v[17:18], off offset:20
	v_add_nc_u32_e32 v25, s3, v10
	v_add_nc_u32_e32 v27, s12, v10
	;; [unrolled: 1-line block ×3, first 2 shown]
	global_load_dword v50, v[19:20], off offset:2
	v_mad_u64_u32 v[23:24], null, v23, 36, s[10:11]
	v_mad_u64_u32 v[25:26], null, v25, 36, s[10:11]
	v_add_nc_u32_e32 v31, s15, v10
	v_mad_u64_u32 v[27:28], null, v27, 36, s[10:11]
	v_add_nc_u32_e32 v33, s17, v10
	v_mad_u64_u32 v[29:30], null, v29, 36, s[10:11]
	v_add_co_u32 v35, vcc_lo, v19, v15
	v_mad_u64_u32 v[31:32], null, v31, 36, s[10:11]
	v_add_co_ci_u32_e64 v36, null, 0, v20, vcc_lo
	v_add_co_u32 v37, vcc_lo, v23, v16
	v_mad_u64_u32 v[33:34], null, v33, 36, s[10:11]
	v_add_co_ci_u32_e64 v38, null, 0, v24, vcc_lo
	v_add_co_u32 v39, vcc_lo, v25, v16
	v_add_co_ci_u32_e64 v40, null, 0, v26, vcc_lo
	v_add_co_u32 v41, vcc_lo, v27, v16
	;; [unrolled: 2-line block ×5, first 2 shown]
	v_add_co_ci_u32_e64 v48, null, 0, v34, vcc_lo
	s_clause 0x1
	global_load_dwordx2 v[35:36], v[35:36], off offset:6
	global_load_ushort v51, v[19:20], off
	s_clause 0xe
	global_load_dwordx2 v[19:20], v[37:38], off offset:4
	global_load_dwordx2 v[37:38], v[37:38], off offset:20
	global_load_dword v52, v[25:26], off
	global_load_dword v53, v[23:24], off
	global_load_dwordx2 v[23:24], v[39:40], off offset:4
	global_load_dwordx2 v[25:26], v[39:40], off offset:20
	;; [unrolled: 1-line block ×3, first 2 shown]
	global_load_dword v54, v[27:28], off
	global_load_dwordx2 v[27:28], v[41:42], off offset:20
	global_load_dwordx2 v[41:42], v[43:44], off offset:4
	;; [unrolled: 1-line block ×3, first 2 shown]
	global_load_dword v55, v[29:30], off
	global_load_dwordx2 v[29:30], v[47:48], off offset:4
	global_load_dwordx2 v[47:48], v[47:48], off offset:20
	global_load_dword v56, v[33:34], off
	v_add_nc_u32_e32 v10, 16, v10
	v_add_co_u32 v2, vcc_lo, 0x240, v2
	v_add_co_ci_u32_e64 v3, null, 0, v3, vcc_lo
	v_cmp_le_u32_e32 vcc_lo, s19, v10
	s_or_b32 s16, vcc_lo, s16
	s_waitcnt vmcnt(17)
	v_ashrrev_i32_e32 v57, v13, v50
	v_ashrrev_i32_e32 v50, v14, v50
	v_lshlrev_b32_e32 v34, 4, v57
	v_lshlrev_b32_e32 v58, 11, v57
	v_lshrrev_b32_e32 v59, 12, v57
	v_lshrrev_b32_e32 v60, 5, v57
	v_lshlrev_b32_e32 v61, 2, v57
	v_and_b32_e32 v34, 16, v34
	v_and_b32_e32 v58, 0x1000, v58
	v_and_b32_e32 v59, 16, v59
	v_and_b32_e32 v60, 0x1000, v60
	v_and_b32_e32 v61, 0x100000, v61
	v_or3_b32 v59, v60, v59, v61
	v_lshlrev_b32_e32 v60, 18, v50
	v_lshrrev_b32_e32 v61, 12, v50
	v_and_b32_e32 v60, 0x100000, v60
	v_and_b32_e32 v61, 16, v61
	s_waitcnt vmcnt(16)
	v_and_b32_e32 v33, 0xf0f0f0f, v35
	v_or3_b32 v33, v34, v33, v58
	v_lshlrev_b32_e32 v34, 4, v50
	v_lshlrev_b32_e32 v58, 11, v50
	v_and_b32_e32 v34, 16, v34
	v_and_b32_e32 v58, 0x1000, v58
	v_or3_b32 v58, v58, v34, v60
	v_lshrrev_b32_e32 v34, 5, v50
	v_lshlrev_b32_e32 v60, 2, v50
	v_and_b32_e32 v34, 0x1000, v34
	v_and_b32_e32 v60, 0x100000, v60
	v_or3_b32 v60, v34, v61, v60
	v_lshlrev_b32_e32 v34, 18, v57
	v_lshlrev_b32_e32 v61, 25, v57
	v_and_b32_e32 v34, 0x100000, v34
	v_and_b32_e32 v61, 0x10000000, v61
	v_or3_b32 v61, v33, v34, v61
	s_clause 0x2
	global_load_dwordx2 v[33:34], v[45:46], off offset:4
	global_load_dwordx2 v[45:46], v[45:46], off offset:20
	global_load_dword v31, v[31:32], off
	v_lshrrev_b32_e32 v32, 4, v35
	v_lshlrev_b32_e32 v35, 9, v57
	v_and_b32_e32 v57, 0xf0f0f0f, v36
	v_lshrrev_b32_e32 v36, 4, v36
	v_and_b32_e32 v32, 0xf0f0f0f, v32
	v_and_b32_e32 v35, 0x10000000, v35
	;; [unrolled: 1-line block ×3, first 2 shown]
	v_or3_b32 v32, v59, v35, v32
	v_lshlrev_b32_e32 v35, 25, v50
	v_lshlrev_b32_e32 v50, 9, v50
	v_mov_b32_e32 v59, 0
	v_and_b32_e32 v35, 0x10000000, v35
	v_and_b32_e32 v50, 0x10000000, v50
	s_waitcnt vmcnt(13)
	v_dot4c_i32_i8 v59, v61, v23
	s_waitcnt vmcnt(10)
	v_cvt_f32_f16_sdwa v23, v54 dst_sel:DWORD dst_unused:UNUSED_PAD src0_sel:WORD_1
	v_or3_b32 v35, v58, v35, v57
	v_mov_b32_e32 v57, 0
	v_mov_b32_e32 v58, 0
	v_or3_b32 v36, v60, v50, v36
	v_mov_b32_e32 v50, 0
	v_mov_b32_e32 v60, 0
	v_dot4c_i32_i8 v57, v61, v21
	v_mov_b32_e32 v21, 0
	v_dot4c_i32_i8 v58, v61, v19
	v_dot4c_i32_i8 v50, v61, v39
	s_waitcnt vmcnt(8)
	v_dot4c_i32_i8 v60, v61, v41
	v_dot4c_i32_i8 v57, v32, v17
	v_mov_b32_e32 v17, 0
	s_waitcnt vmcnt(5)
	v_dot4c_i32_i8 v21, v61, v29
	v_dot4c_i32_i8 v58, v32, v37
	;; [unrolled: 1-line block ×5, first 2 shown]
	s_waitcnt vmcnt(4)
	v_dot4c_i32_i8 v21, v32, v47
	v_dot4c_i32_i8 v57, v35, v22
	;; [unrolled: 1-line block ×7, first 2 shown]
	v_cvt_f32_f16_sdwa v19, v49 dst_sel:DWORD dst_unused:UNUSED_PAD src0_sel:WORD_1
	v_cvt_f32_f16_sdwa v20, v53 dst_sel:DWORD dst_unused:UNUSED_PAD src0_sel:WORD_1
	;; [unrolled: 1-line block ×4, first 2 shown]
	s_waitcnt vmcnt(3)
	v_cvt_f32_f16_sdwa v27, v56 dst_sel:DWORD dst_unused:UNUSED_PAD src0_sel:WORD_1
	v_dot4c_i32_i8 v57, v36, v18
	v_dot4c_i32_i8 v58, v36, v38
	;; [unrolled: 1-line block ×6, first 2 shown]
	v_mul_f32_e32 v19, 0x41000000, v19
	v_mul_f32_e32 v20, 0x41000000, v20
	;; [unrolled: 1-line block ×6, first 2 shown]
	v_cvt_f32_i32_e32 v18, v57
	v_cvt_f32_i32_e32 v26, v58
	;; [unrolled: 1-line block ×6, first 2 shown]
	v_fma_mix_f32 v18, v49, v18, -v19 op_sel_hi:[1,0,0]
	v_fma_mix_f32 v19, v53, v26, -v20 op_sel_hi:[1,0,0]
	;; [unrolled: 1-line block ×6, first 2 shown]
	v_fma_mix_f32 v11, v18, v51, v11 op_sel_hi:[0,1,0]
	v_fma_mix_f32 v9, v19, v51, v9 op_sel_hi:[0,1,0]
	;; [unrolled: 1-line block ×6, first 2 shown]
	s_waitcnt vmcnt(2)
	v_dot4c_i32_i8 v17, v61, v33
	s_waitcnt vmcnt(0)
	v_cvt_f32_f16_sdwa v25, v31 dst_sel:DWORD dst_unused:UNUSED_PAD src0_sel:WORD_1
	v_dot4c_i32_i8 v17, v32, v45
	v_mul_f32_e32 v25, 0x41000000, v25
	v_dot4c_i32_i8 v17, v35, v34
	v_dot4c_i32_i8 v17, v36, v46
	v_cvt_f32_i32_e32 v17, v17
	v_fma_mix_f32 v17, v31, v17, -v25 op_sel_hi:[1,0,0]
	v_fma_mix_f32 v5, v17, v51, v5 op_sel_hi:[0,1,0]
	s_andn2_b32 exec_lo, exec_lo, s16
	s_cbranch_execnz .LBB46_2
; %bb.3:
	s_or_b32 exec_lo, exec_lo, s16
.LBB46_4:
	s_or_b32 exec_lo, exec_lo, s9
	s_mov_b32 s1, 0
	; wave barrier
	buffer_gl0_inv
	s_mov_b32 s0, exec_lo
	v_cmpx_eq_u32_e32 0, v1
	s_cbranch_execz .LBB46_19
; %bb.5:
	v_mbcnt_lo_u32_b32 v12, -1, 0
	s_load_dwordx2 s[4:5], s[4:5], 0x38
	s_mul_i32 s0, s14, s7
	s_mul_i32 s3, s18, s8
	s_add_i32 s0, s0, s6
	v_xor_b32_e32 v1, 16, v12
	v_xor_b32_e32 v2, 8, v12
	s_add_i32 s0, s0, s3
	s_lshl_b64 s[0:1], s[0:1], 2
	v_cmp_gt_i32_e32 vcc_lo, 32, v1
	v_cndmask_b32_e32 v1, v12, v1, vcc_lo
	v_cmp_gt_i32_e32 vcc_lo, 32, v2
	v_lshlrev_b32_e32 v1, 2, v1
	v_cndmask_b32_e32 v2, v12, v2, vcc_lo
	s_waitcnt lgkmcnt(0)
	s_add_u32 s0, s4, s0
	s_addc_u32 s1, s5, s1
	ds_bpermute_b32 v3, v1, v11
	v_lshlrev_b32_e32 v2, 2, v2
	s_waitcnt lgkmcnt(0)
	v_add_f32_e32 v10, v11, v3
	v_xor_b32_e32 v3, 4, v12
	ds_bpermute_b32 v11, v2, v10
	v_cmp_gt_i32_e32 vcc_lo, 32, v3
	v_cndmask_b32_e32 v3, v12, v3, vcc_lo
	v_lshlrev_b32_e32 v3, 2, v3
	s_waitcnt lgkmcnt(0)
	v_add_f32_e32 v11, v10, v11
	v_xor_b32_e32 v10, 2, v12
	ds_bpermute_b32 v13, v3, v11
	v_cmp_gt_i32_e32 vcc_lo, 32, v10
	v_cndmask_b32_e32 v10, v12, v10, vcc_lo
	;; [unrolled: 7-line block ×3, first 2 shown]
	v_cmp_eq_u32_e32 vcc_lo, 0, v0
	v_lshlrev_b32_e32 v11, 2, v11
	s_waitcnt lgkmcnt(0)
	v_add_f32_e32 v12, v13, v14
	ds_bpermute_b32 v13, v11, v12
	s_and_saveexec_b32 s3, vcc_lo
	s_cbranch_execz .LBB46_7
; %bb.6:
	s_waitcnt lgkmcnt(0)
	v_add_f32_e32 v0, v12, v13
	v_mov_b32_e32 v12, 0
	global_store_dword v12, v0, s[0:1]
.LBB46_7:
	s_or_b32 exec_lo, exec_lo, s3
	ds_bpermute_b32 v0, v1, v9
	s_waitcnt lgkmcnt(0)
	v_add_f32_e32 v0, v9, v0
	ds_bpermute_b32 v9, v2, v0
	s_waitcnt lgkmcnt(0)
	v_add_f32_e32 v0, v0, v9
	;; [unrolled: 3-line block ×4, first 2 shown]
	ds_bpermute_b32 v9, v11, v0
	s_and_saveexec_b32 s4, vcc_lo
	s_cbranch_execz .LBB46_9
; %bb.8:
	s_mov_b32 s3, 0
	s_waitcnt lgkmcnt(0)
	v_add_f32_e32 v0, v0, v9
	s_lshl_b64 s[6:7], s[2:3], 2
	v_mov_b32_e32 v9, 0
	s_add_u32 s6, s0, s6
	s_addc_u32 s7, s1, s7
	global_store_dword v9, v0, s[6:7]
.LBB46_9:
	s_or_b32 exec_lo, exec_lo, s4
	ds_bpermute_b32 v0, v1, v8
	s_waitcnt lgkmcnt(0)
	v_add_f32_e32 v0, v8, v0
	ds_bpermute_b32 v8, v2, v0
	s_waitcnt lgkmcnt(0)
	v_add_f32_e32 v0, v0, v8
	;; [unrolled: 3-line block ×4, first 2 shown]
	ds_bpermute_b32 v8, v11, v0
	s_and_saveexec_b32 s3, vcc_lo
	s_cbranch_execz .LBB46_11
; %bb.10:
	s_lshl_b32 s4, s2, 1
	s_mov_b32 s5, 0
	s_waitcnt lgkmcnt(0)
	v_add_f32_e32 v0, v0, v8
	s_lshl_b64 s[4:5], s[4:5], 2
	v_mov_b32_e32 v8, 0
	s_add_u32 s4, s0, s4
	s_addc_u32 s5, s1, s5
	global_store_dword v8, v0, s[4:5]
.LBB46_11:
	s_or_b32 exec_lo, exec_lo, s3
	ds_bpermute_b32 v0, v1, v7
	s_waitcnt lgkmcnt(0)
	v_add_f32_e32 v0, v7, v0
	ds_bpermute_b32 v7, v2, v0
	s_waitcnt lgkmcnt(0)
	v_add_f32_e32 v0, v0, v7
	;; [unrolled: 3-line block ×4, first 2 shown]
	ds_bpermute_b32 v7, v11, v0
	s_and_saveexec_b32 s3, vcc_lo
	s_cbranch_execz .LBB46_13
; %bb.12:
	s_mul_i32 s4, s2, 3
	s_mov_b32 s5, 0
	s_waitcnt lgkmcnt(0)
	v_add_f32_e32 v0, v0, v7
	s_lshl_b64 s[4:5], s[4:5], 2
	v_mov_b32_e32 v7, 0
	s_add_u32 s4, s0, s4
	s_addc_u32 s5, s1, s5
	global_store_dword v7, v0, s[4:5]
.LBB46_13:
	s_or_b32 exec_lo, exec_lo, s3
	ds_bpermute_b32 v0, v1, v6
	s_waitcnt lgkmcnt(0)
	v_add_f32_e32 v0, v6, v0
	ds_bpermute_b32 v6, v2, v0
	s_waitcnt lgkmcnt(0)
	v_add_f32_e32 v0, v0, v6
	;; [unrolled: 3-line block ×4, first 2 shown]
	ds_bpermute_b32 v6, v11, v0
	s_and_saveexec_b32 s3, vcc_lo
	s_cbranch_execz .LBB46_15
; %bb.14:
	s_lshl_b32 s4, s2, 2
	s_mov_b32 s5, 0
	s_waitcnt lgkmcnt(0)
	v_add_f32_e32 v0, v0, v6
	s_lshl_b64 s[4:5], s[4:5], 2
	v_mov_b32_e32 v6, 0
	s_add_u32 s4, s0, s4
	s_addc_u32 s5, s1, s5
	global_store_dword v6, v0, s[4:5]
.LBB46_15:
	s_or_b32 exec_lo, exec_lo, s3
	ds_bpermute_b32 v0, v1, v5
	s_waitcnt lgkmcnt(0)
	v_add_f32_e32 v0, v5, v0
	ds_bpermute_b32 v5, v2, v0
	s_waitcnt lgkmcnt(0)
	v_add_f32_e32 v0, v0, v5
	;; [unrolled: 3-line block ×4, first 2 shown]
	ds_bpermute_b32 v5, v11, v0
	s_and_saveexec_b32 s3, vcc_lo
	s_cbranch_execz .LBB46_17
; %bb.16:
	s_mul_i32 s4, s2, 5
	s_mov_b32 s5, 0
	s_waitcnt lgkmcnt(0)
	v_add_f32_e32 v0, v0, v5
	s_lshl_b64 s[4:5], s[4:5], 2
	v_mov_b32_e32 v5, 0
	s_add_u32 s4, s0, s4
	s_addc_u32 s5, s1, s5
	global_store_dword v5, v0, s[4:5]
.LBB46_17:
	s_or_b32 exec_lo, exec_lo, s3
	ds_bpermute_b32 v0, v1, v4
	s_waitcnt lgkmcnt(0)
	v_add_f32_e32 v0, v4, v0
	ds_bpermute_b32 v1, v2, v0
	s_waitcnt lgkmcnt(0)
	v_add_f32_e32 v0, v0, v1
	;; [unrolled: 3-line block ×4, first 2 shown]
	ds_bpermute_b32 v1, v11, v0
	s_and_b32 exec_lo, exec_lo, vcc_lo
	s_cbranch_execz .LBB46_19
; %bb.18:
	s_mul_i32 s2, s2, 6
	s_mov_b32 s3, 0
	s_waitcnt lgkmcnt(0)
	v_add_f32_e32 v0, v0, v1
	s_lshl_b64 s[2:3], s[2:3], 2
	v_mov_b32_e32 v1, 0
	s_add_u32 s0, s0, s2
	s_addc_u32 s1, s1, s3
	global_store_dword v1, v0, s[0:1]
.LBB46_19:
	s_endpgm
	.section	.rodata,"a",@progbits
	.p2align	6, 0x0
	.amdhsa_kernel _ZL13mul_mat_vec_qIL9ggml_type6ELi7ELb0ELb0EEvPKvS2_PKi31ggml_cuda_mm_fusion_args_devicePfj15HIP_vector_typeIjLj3EEjjjS8_jjjS8_jjjj
		.amdhsa_group_segment_fixed_size 0
		.amdhsa_private_segment_fixed_size 0
		.amdhsa_kernarg_size 144
		.amdhsa_user_sgpr_count 6
		.amdhsa_user_sgpr_private_segment_buffer 1
		.amdhsa_user_sgpr_dispatch_ptr 0
		.amdhsa_user_sgpr_queue_ptr 0
		.amdhsa_user_sgpr_kernarg_segment_ptr 1
		.amdhsa_user_sgpr_dispatch_id 0
		.amdhsa_user_sgpr_flat_scratch_init 0
		.amdhsa_user_sgpr_private_segment_size 0
		.amdhsa_wavefront_size32 1
		.amdhsa_uses_dynamic_stack 0
		.amdhsa_system_sgpr_private_segment_wavefront_offset 0
		.amdhsa_system_sgpr_workgroup_id_x 1
		.amdhsa_system_sgpr_workgroup_id_y 1
		.amdhsa_system_sgpr_workgroup_id_z 1
		.amdhsa_system_sgpr_workgroup_info 0
		.amdhsa_system_vgpr_workitem_id 1
		.amdhsa_next_free_vgpr 62
		.amdhsa_next_free_sgpr 26
		.amdhsa_reserve_vcc 1
		.amdhsa_reserve_flat_scratch 0
		.amdhsa_float_round_mode_32 0
		.amdhsa_float_round_mode_16_64 0
		.amdhsa_float_denorm_mode_32 3
		.amdhsa_float_denorm_mode_16_64 3
		.amdhsa_dx10_clamp 1
		.amdhsa_ieee_mode 1
		.amdhsa_fp16_overflow 0
		.amdhsa_workgroup_processor_mode 1
		.amdhsa_memory_ordered 1
		.amdhsa_forward_progress 1
		.amdhsa_shared_vgpr_count 0
		.amdhsa_exception_fp_ieee_invalid_op 0
		.amdhsa_exception_fp_denorm_src 0
		.amdhsa_exception_fp_ieee_div_zero 0
		.amdhsa_exception_fp_ieee_overflow 0
		.amdhsa_exception_fp_ieee_underflow 0
		.amdhsa_exception_fp_ieee_inexact 0
		.amdhsa_exception_int_div_zero 0
	.end_amdhsa_kernel
	.section	.text._ZL13mul_mat_vec_qIL9ggml_type6ELi7ELb0ELb0EEvPKvS2_PKi31ggml_cuda_mm_fusion_args_devicePfj15HIP_vector_typeIjLj3EEjjjS8_jjjS8_jjjj,"axG",@progbits,_ZL13mul_mat_vec_qIL9ggml_type6ELi7ELb0ELb0EEvPKvS2_PKi31ggml_cuda_mm_fusion_args_devicePfj15HIP_vector_typeIjLj3EEjjjS8_jjjS8_jjjj,comdat
.Lfunc_end46:
	.size	_ZL13mul_mat_vec_qIL9ggml_type6ELi7ELb0ELb0EEvPKvS2_PKi31ggml_cuda_mm_fusion_args_devicePfj15HIP_vector_typeIjLj3EEjjjS8_jjjS8_jjjj, .Lfunc_end46-_ZL13mul_mat_vec_qIL9ggml_type6ELi7ELb0ELb0EEvPKvS2_PKi31ggml_cuda_mm_fusion_args_devicePfj15HIP_vector_typeIjLj3EEjjjS8_jjjS8_jjjj
                                        ; -- End function
	.set _ZL13mul_mat_vec_qIL9ggml_type6ELi7ELb0ELb0EEvPKvS2_PKi31ggml_cuda_mm_fusion_args_devicePfj15HIP_vector_typeIjLj3EEjjjS8_jjjS8_jjjj.num_vgpr, 62
	.set _ZL13mul_mat_vec_qIL9ggml_type6ELi7ELb0ELb0EEvPKvS2_PKi31ggml_cuda_mm_fusion_args_devicePfj15HIP_vector_typeIjLj3EEjjjS8_jjjS8_jjjj.num_agpr, 0
	.set _ZL13mul_mat_vec_qIL9ggml_type6ELi7ELb0ELb0EEvPKvS2_PKi31ggml_cuda_mm_fusion_args_devicePfj15HIP_vector_typeIjLj3EEjjjS8_jjjS8_jjjj.numbered_sgpr, 26
	.set _ZL13mul_mat_vec_qIL9ggml_type6ELi7ELb0ELb0EEvPKvS2_PKi31ggml_cuda_mm_fusion_args_devicePfj15HIP_vector_typeIjLj3EEjjjS8_jjjS8_jjjj.num_named_barrier, 0
	.set _ZL13mul_mat_vec_qIL9ggml_type6ELi7ELb0ELb0EEvPKvS2_PKi31ggml_cuda_mm_fusion_args_devicePfj15HIP_vector_typeIjLj3EEjjjS8_jjjS8_jjjj.private_seg_size, 0
	.set _ZL13mul_mat_vec_qIL9ggml_type6ELi7ELb0ELb0EEvPKvS2_PKi31ggml_cuda_mm_fusion_args_devicePfj15HIP_vector_typeIjLj3EEjjjS8_jjjS8_jjjj.uses_vcc, 1
	.set _ZL13mul_mat_vec_qIL9ggml_type6ELi7ELb0ELb0EEvPKvS2_PKi31ggml_cuda_mm_fusion_args_devicePfj15HIP_vector_typeIjLj3EEjjjS8_jjjS8_jjjj.uses_flat_scratch, 0
	.set _ZL13mul_mat_vec_qIL9ggml_type6ELi7ELb0ELb0EEvPKvS2_PKi31ggml_cuda_mm_fusion_args_devicePfj15HIP_vector_typeIjLj3EEjjjS8_jjjS8_jjjj.has_dyn_sized_stack, 0
	.set _ZL13mul_mat_vec_qIL9ggml_type6ELi7ELb0ELb0EEvPKvS2_PKi31ggml_cuda_mm_fusion_args_devicePfj15HIP_vector_typeIjLj3EEjjjS8_jjjS8_jjjj.has_recursion, 0
	.set _ZL13mul_mat_vec_qIL9ggml_type6ELi7ELb0ELb0EEvPKvS2_PKi31ggml_cuda_mm_fusion_args_devicePfj15HIP_vector_typeIjLj3EEjjjS8_jjjS8_jjjj.has_indirect_call, 0
	.section	.AMDGPU.csdata,"",@progbits
; Kernel info:
; codeLenInByte = 2512
; TotalNumSgprs: 28
; NumVgprs: 62
; ScratchSize: 0
; MemoryBound: 0
; FloatMode: 240
; IeeeMode: 1
; LDSByteSize: 0 bytes/workgroup (compile time only)
; SGPRBlocks: 0
; VGPRBlocks: 7
; NumSGPRsForWavesPerEU: 28
; NumVGPRsForWavesPerEU: 62
; Occupancy: 16
; WaveLimiterHint : 0
; COMPUTE_PGM_RSRC2:SCRATCH_EN: 0
; COMPUTE_PGM_RSRC2:USER_SGPR: 6
; COMPUTE_PGM_RSRC2:TRAP_HANDLER: 0
; COMPUTE_PGM_RSRC2:TGID_X_EN: 1
; COMPUTE_PGM_RSRC2:TGID_Y_EN: 1
; COMPUTE_PGM_RSRC2:TGID_Z_EN: 1
; COMPUTE_PGM_RSRC2:TIDIG_COMP_CNT: 1
	.section	.text._ZL13mul_mat_vec_qIL9ggml_type6ELi8ELb0ELb0EEvPKvS2_PKi31ggml_cuda_mm_fusion_args_devicePfj15HIP_vector_typeIjLj3EEjjjS8_jjjS8_jjjj,"axG",@progbits,_ZL13mul_mat_vec_qIL9ggml_type6ELi8ELb0ELb0EEvPKvS2_PKi31ggml_cuda_mm_fusion_args_devicePfj15HIP_vector_typeIjLj3EEjjjS8_jjjS8_jjjj,comdat
	.globl	_ZL13mul_mat_vec_qIL9ggml_type6ELi8ELb0ELb0EEvPKvS2_PKi31ggml_cuda_mm_fusion_args_devicePfj15HIP_vector_typeIjLj3EEjjjS8_jjjS8_jjjj ; -- Begin function _ZL13mul_mat_vec_qIL9ggml_type6ELi8ELb0ELb0EEvPKvS2_PKi31ggml_cuda_mm_fusion_args_devicePfj15HIP_vector_typeIjLj3EEjjjS8_jjjS8_jjjj
	.p2align	8
	.type	_ZL13mul_mat_vec_qIL9ggml_type6ELi8ELb0ELb0EEvPKvS2_PKi31ggml_cuda_mm_fusion_args_devicePfj15HIP_vector_typeIjLj3EEjjjS8_jjjS8_jjjj,@function
_ZL13mul_mat_vec_qIL9ggml_type6ELi8ELb0ELb0EEvPKvS2_PKi31ggml_cuda_mm_fusion_args_devicePfj15HIP_vector_typeIjLj3EEjjjS8_jjjS8_jjjj: ; @_ZL13mul_mat_vec_qIL9ggml_type6ELi8ELb0ELb0EEvPKvS2_PKi31ggml_cuda_mm_fusion_args_devicePfj15HIP_vector_typeIjLj3EEjjjS8_jjjS8_jjjj
; %bb.0:
	s_clause 0x5
	s_load_dwordx4 s[16:19], s[4:5], 0x80
	s_load_dword s9, s[4:5], 0x40
	s_load_dwordx4 s[0:3], s[4:5], 0x50
	s_load_dword s24, s[4:5], 0x60
	;; [unrolled: 2-line block ×3, first 2 shown]
	v_lshl_or_b32 v2, v1, 5, v0
	v_mov_b32_e32 v4, 0
	v_mov_b32_e32 v5, 0
	;; [unrolled: 1-line block ×4, first 2 shown]
	v_lshrrev_b16 v3, 1, v2
	v_mov_b32_e32 v8, 0
	v_mov_b32_e32 v9, 0
	;; [unrolled: 1-line block ×4, first 2 shown]
	v_and_b32_e32 v11, 0xffff, v3
	s_waitcnt lgkmcnt(0)
	s_lshr_b32 s19, s9, 5
	s_mov_b32 s9, exec_lo
	v_cmpx_gt_u32_e64 s19, v11
	s_cbranch_execz .LBB47_4
; %bb.1:
	s_load_dwordx4 s[20:23], s[4:5], 0x0
	v_lshlrev_b32_e32 v3, 1, v0
	s_mul_i32 s10, s17, s8
	s_mul_i32 s11, s13, s7
	s_mul_hi_u32 s13, s15, s8
	v_and_b32_e32 v5, 1, v0
	s_mul_hi_u32 s15, s10, 36
	v_and_b32_e32 v6, 2, v3
	s_mul_i32 s10, s10, 36
	v_lshrrev_b32_e32 v2, 1, v2
	s_mul_hi_u32 s17, s11, 36
	s_mul_i32 s11, s11, 36
	s_mul_hi_u32 s3, s3, s7
	v_lshlrev_b32_e32 v13, 3, v5
	v_lshlrev_b32_e32 v5, 1, v6
	v_lshlrev_b32_e32 v14, 2, v6
	s_mul_i32 s0, s0, s6
	v_mov_b32_e32 v4, 0
	v_lshlrev_b32_e32 v17, 2, v6
	v_lshlrev_b32_e32 v16, 1, v5
	s_waitcnt lgkmcnt(0)
	s_add_u32 s10, s22, s10
	s_addc_u32 s15, s23, s15
	s_add_u32 s10, s10, s11
	s_addc_u32 s11, s15, s17
	s_add_i32 s3, s7, s3
	s_add_i32 s13, s8, s13
	s_lshr_b32 s3, s3, s24
	v_mad_u64_u32 v[2:3], null, v2, 36, s[10:11]
	s_lshr_b32 s13, s13, s25
	s_mul_i32 s3, s3, s12
	v_or_b32_e32 v15, 4, v14
	v_mov_b32_e32 v5, 0
	v_mov_b32_e32 v6, 0
	;; [unrolled: 1-line block ×7, first 2 shown]
	s_mul_i32 s12, s13, s16
	s_add_i32 s3, s3, s0
	s_lshl_b32 s13, s1, 2
	s_add_i32 s0, s12, s3
	s_lshl_b32 s3, s1, 1
	s_mul_i32 s12, s1, 3
	s_mul_i32 s15, s1, 5
	;; [unrolled: 1-line block ×4, first 2 shown]
	s_mov_b32 s17, 0
.LBB47_2:                               ; =>This Inner Loop Header: Depth=1
	v_add_nc_u32_e32 v20, s0, v11
	v_add_co_u32 v18, vcc_lo, v2, v13
	v_add_co_ci_u32_e64 v19, null, 0, v3, vcc_lo
	v_mad_i64_i32 v[20:21], null, v20, 22, s[20:21]
	v_add_nc_u32_e32 v24, s1, v11
	v_add_nc_u32_e32 v26, s3, v11
	s_clause 0x2
	global_load_dword v52, v[2:3], off
	global_load_dwordx2 v[22:23], v[18:19], off offset:4
	global_load_dwordx2 v[18:19], v[18:19], off offset:20
	v_add_nc_u32_e32 v28, s12, v11
	v_mad_u64_u32 v[24:25], null, v24, 36, s[10:11]
	global_load_dword v57, v[20:21], off offset:2
	v_add_nc_u32_e32 v30, s13, v11
	v_mad_u64_u32 v[26:27], null, v26, 36, s[10:11]
	v_mad_u64_u32 v[28:29], null, v28, 36, s[10:11]
	;; [unrolled: 1-line block ×3, first 2 shown]
	v_add_co_u32 v38, vcc_lo, v20, v16
	v_add_co_ci_u32_e64 v39, null, 0, v21, vcc_lo
	v_add_co_u32 v40, vcc_lo, v24, v17
	v_add_co_ci_u32_e64 v41, null, 0, v25, vcc_lo
	v_add_co_u32 v42, vcc_lo, v26, v17
	v_add_nc_u32_e32 v34, s16, v11
	v_add_co_ci_u32_e64 v43, null, 0, v27, vcc_lo
	v_add_co_u32 v44, vcc_lo, v28, v17
	v_add_co_ci_u32_e64 v45, null, 0, v29, vcc_lo
	v_add_co_u32 v46, vcc_lo, v30, v17
	v_mad_u64_u32 v[34:35], null, v34, 36, s[10:11]
	v_add_co_ci_u32_e64 v47, null, 0, v31, vcc_lo
	s_clause 0x1
	global_load_dwordx2 v[38:39], v[38:39], off offset:6
	global_load_ushort v58, v[20:21], off
	s_clause 0x6
	global_load_dwordx2 v[20:21], v[40:41], off offset:20
	global_load_dword v59, v[26:27], off
	global_load_dword v60, v[24:25], off
	;; [unrolled: 1-line block ×3, first 2 shown]
	global_load_dwordx2 v[24:25], v[46:47], off offset:20
	global_load_dword v62, v[30:31], off
	global_load_dword v63, v[34:35], off
	v_add_nc_u32_e32 v32, s15, v11
	v_mov_b32_e32 v53, 0
	v_mov_b32_e32 v54, 0
	;; [unrolled: 1-line block ×3, first 2 shown]
	v_add_nc_u32_e32 v36, s22, v11
	v_mad_u64_u32 v[32:33], null, v32, 36, s[10:11]
	v_mov_b32_e32 v56, 0
	v_add_nc_u32_e32 v11, 16, v11
	v_mad_u64_u32 v[36:37], null, v36, 36, s[10:11]
	v_add_co_u32 v48, vcc_lo, v32, v17
	v_add_co_ci_u32_e64 v49, null, 0, v33, vcc_lo
	v_add_co_u32 v50, vcc_lo, v34, v17
	v_add_co_ci_u32_e64 v51, null, 0, v35, vcc_lo
	s_waitcnt vmcnt(9)
	v_ashrrev_i32_e32 v28, v14, v57
	v_ashrrev_i32_e32 v57, v15, v57
	v_lshlrev_b32_e32 v26, 4, v28
	v_lshlrev_b32_e32 v27, 11, v28
	v_lshrrev_b32_e32 v30, 12, v28
	v_lshrrev_b32_e32 v31, 5, v28
	v_and_b32_e32 v26, 16, v26
	v_and_b32_e32 v27, 0x1000, v27
	;; [unrolled: 1-line block ×4, first 2 shown]
	s_waitcnt vmcnt(8)
	v_and_b32_e32 v29, 0xf0f0f0f, v38
	v_or3_b32 v26, v26, v29, v27
	v_lshlrev_b32_e32 v27, 2, v28
	v_lshlrev_b32_e32 v29, 4, v57
	v_and_b32_e32 v27, 0x100000, v27
	v_and_b32_e32 v29, 16, v29
	v_or3_b32 v30, v31, v30, v27
	v_lshlrev_b32_e32 v27, 11, v57
	v_lshlrev_b32_e32 v31, 18, v57
	v_and_b32_e32 v27, 0x1000, v27
	v_and_b32_e32 v31, 0x100000, v31
	v_or3_b32 v29, v27, v29, v31
	v_lshlrev_b32_e32 v27, 18, v28
	v_lshlrev_b32_e32 v31, 25, v28
	;; [unrolled: 1-line block ×3, first 2 shown]
	v_and_b32_e32 v27, 0x100000, v27
	v_and_b32_e32 v31, 0x10000000, v31
	;; [unrolled: 1-line block ×3, first 2 shown]
	v_or3_b32 v64, v26, v27, v31
	v_lshrrev_b32_e32 v31, 4, v38
	s_clause 0x1
	global_load_dwordx2 v[26:27], v[48:49], off offset:20
	global_load_dword v65, v[32:33], off
	v_dot4c_i32_i8 v53, v64, v22
	v_and_b32_e32 v31, 0xf0f0f0f, v31
	v_or3_b32 v38, v30, v28, v31
	v_lshlrev_b32_e32 v28, 25, v57
	v_and_b32_e32 v30, 0xf0f0f0f, v39
	v_dot4c_i32_i8 v53, v38, v18
	v_and_b32_e32 v28, 0x10000000, v28
	v_or3_b32 v66, v29, v28, v30
	global_load_dwordx2 v[30:31], v[40:41], off offset:4
	v_add_co_u32 v28, vcc_lo, v36, v17
	v_add_co_ci_u32_e64 v29, null, 0, v37, vcc_lo
	v_dot4c_i32_i8 v53, v66, v23
	s_clause 0x1
	global_load_dwordx2 v[22:23], v[42:43], off offset:4
	global_load_dwordx2 v[32:33], v[42:43], off offset:20
	v_add_co_u32 v2, vcc_lo, 0x240, v2
	v_add_co_ci_u32_e64 v3, null, 0, v3, vcc_lo
	v_cmp_le_u32_e32 vcc_lo, s19, v11
	s_or_b32 s17, vcc_lo, s17
	s_waitcnt vmcnt(2)
	v_dot4c_i32_i8 v54, v64, v30
	v_dot4c_i32_i8 v54, v38, v20
	s_waitcnt vmcnt(1)
	v_dot4c_i32_i8 v55, v64, v22
	v_mov_b32_e32 v20, 0
	v_dot4c_i32_i8 v54, v66, v31
	s_clause 0x3
	global_load_dwordx2 v[30:31], v[44:45], off offset:4
	global_load_dwordx2 v[34:35], v[44:45], off offset:20
	;; [unrolled: 1-line block ×4, first 2 shown]
	s_waitcnt vmcnt(4)
	v_dot4c_i32_i8 v55, v38, v32
	v_mov_b32_e32 v32, 0
	v_dot4c_i32_i8 v55, v66, v23
	s_clause 0x1
	global_load_dwordx2 v[22:23], v[50:51], off offset:4
	global_load_dwordx2 v[44:45], v[50:51], off offset:20
	s_waitcnt vmcnt(5)
	v_dot4c_i32_i8 v56, v64, v30
	s_waitcnt vmcnt(3)
	v_dot4c_i32_i8 v20, v64, v40
	v_cvt_f32_f16_sdwa v40, v65 dst_sel:DWORD dst_unused:UNUSED_PAD src0_sel:WORD_1
	v_dot4c_i32_i8 v56, v38, v34
	v_cvt_f32_f16_sdwa v34, v52 dst_sel:DWORD dst_unused:UNUSED_PAD src0_sel:WORD_1
	v_dot4c_i32_i8 v20, v38, v24
	v_mov_b32_e32 v24, 0
	s_waitcnt vmcnt(1)
	v_dot4c_i32_i8 v32, v64, v22
	v_dot4c_i32_i8 v56, v66, v31
	s_clause 0x2
	global_load_dwordx2 v[30:31], v[28:29], off offset:4
	global_load_dwordx2 v[28:29], v[28:29], off offset:20
	global_load_dword v18, v[36:37], off
	v_lshrrev_b32_e32 v37, 12, v57
	v_dot4c_i32_i8 v24, v64, v42
	s_waitcnt vmcnt(3)
	v_dot4c_i32_i8 v32, v38, v44
	v_lshrrev_b32_e32 v22, 5, v57
	v_lshrrev_b32_e32 v36, 4, v39
	v_lshlrev_b32_e32 v39, 9, v57
	v_dot4c_i32_i8 v24, v38, v26
	v_mov_b32_e32 v26, 0
	v_dot4c_i32_i8 v32, v66, v23
	v_lshlrev_b32_e32 v23, 2, v57
	v_and_b32_e32 v37, 16, v37
	v_and_b32_e32 v22, 0x1000, v22
	;; [unrolled: 1-line block ×5, first 2 shown]
	v_dot4c_i32_i8 v20, v66, v41
	v_dot4c_i32_i8 v24, v66, v43
	v_mul_f32_e32 v34, 0x41000000, v34
	v_mul_f32_e32 v40, 0x41000000, v40
	v_or3_b32 v22, v22, v37, v23
	v_cvt_f32_f16_sdwa v23, v63 dst_sel:DWORD dst_unused:UNUSED_PAD src0_sel:WORD_1
	v_or3_b32 v22, v22, v39, v36
	v_mul_f32_e32 v23, 0x41000000, v23
	v_dot4c_i32_i8 v53, v22, v19
	v_dot4c_i32_i8 v54, v22, v21
	;; [unrolled: 1-line block ×7, first 2 shown]
	v_cvt_f32_i32_e32 v19, v53
	v_cvt_f32_i32_e32 v21, v54
	v_cvt_f32_i32_e32 v25, v56
	v_cvt_f32_i32_e32 v20, v20
	v_cvt_f32_i32_e32 v24, v24
	v_cvt_f32_i32_e32 v27, v32
	v_fma_mix_f32 v19, v52, v19, -v34 op_sel_hi:[1,0,0]
	v_fma_mix_f32 v24, v65, v24, -v40 op_sel_hi:[1,0,0]
	;; [unrolled: 1-line block ×3, first 2 shown]
	v_fma_mix_f32 v12, v19, v58, v12 op_sel_hi:[0,1,0]
	v_fma_mix_f32 v6, v24, v58, v6 op_sel_hi:[0,1,0]
	;; [unrolled: 1-line block ×3, first 2 shown]
	s_waitcnt vmcnt(2)
	v_dot4c_i32_i8 v26, v64, v30
	v_cvt_f32_f16_sdwa v30, v60 dst_sel:DWORD dst_unused:UNUSED_PAD src0_sel:WORD_1
	s_waitcnt vmcnt(0)
	v_cvt_f32_f16_sdwa v37, v18 dst_sel:DWORD dst_unused:UNUSED_PAD src0_sel:WORD_1
	v_dot4c_i32_i8 v26, v38, v28
	v_cvt_f32_f16_sdwa v28, v59 dst_sel:DWORD dst_unused:UNUSED_PAD src0_sel:WORD_1
	v_cvt_f32_f16_sdwa v38, v62 dst_sel:DWORD dst_unused:UNUSED_PAD src0_sel:WORD_1
	v_mul_f32_e32 v30, 0x41000000, v30
	v_mul_f32_e32 v37, 0x41000000, v37
	v_dot4c_i32_i8 v26, v66, v31
	v_cvt_f32_f16_sdwa v31, v61 dst_sel:DWORD dst_unused:UNUSED_PAD src0_sel:WORD_1
	v_mul_f32_e32 v28, 0x41000000, v28
	v_mul_f32_e32 v38, 0x41000000, v38
	v_fma_mix_f32 v21, v60, v21, -v30 op_sel_hi:[1,0,0]
	v_dot4c_i32_i8 v26, v22, v29
	v_mul_f32_e32 v31, 0x41000000, v31
	v_cvt_f32_i32_e32 v22, v55
	v_fma_mix_f32 v20, v62, v20, -v38 op_sel_hi:[1,0,0]
	v_fma_mix_f32 v10, v21, v58, v10 op_sel_hi:[0,1,0]
	v_cvt_f32_i32_e32 v26, v26
	v_fma_mix_f32 v25, v61, v25, -v31 op_sel_hi:[1,0,0]
	v_fma_mix_f32 v22, v59, v22, -v28 op_sel_hi:[1,0,0]
	v_fma_mix_f32 v7, v20, v58, v7 op_sel_hi:[0,1,0]
	v_fma_mix_f32 v18, v18, v26, -v37 op_sel_hi:[1,0,0]
	v_fma_mix_f32 v8, v25, v58, v8 op_sel_hi:[0,1,0]
	v_fma_mix_f32 v9, v22, v58, v9 op_sel_hi:[0,1,0]
	;; [unrolled: 1-line block ×3, first 2 shown]
	s_andn2_b32 exec_lo, exec_lo, s17
	s_cbranch_execnz .LBB47_2
; %bb.3:
	s_or_b32 exec_lo, exec_lo, s17
.LBB47_4:
	s_or_b32 exec_lo, exec_lo, s9
	s_mov_b32 s1, 0
	; wave barrier
	buffer_gl0_inv
	s_mov_b32 s0, exec_lo
	v_cmpx_eq_u32_e32 0, v1
	s_cbranch_execz .LBB47_21
; %bb.5:
	v_mbcnt_lo_u32_b32 v13, -1, 0
	s_load_dwordx2 s[4:5], s[4:5], 0x38
	s_mul_i32 s0, s14, s7
	s_mul_i32 s3, s18, s8
	s_add_i32 s0, s0, s6
	v_xor_b32_e32 v1, 16, v13
	v_xor_b32_e32 v2, 8, v13
	s_add_i32 s0, s0, s3
	s_lshl_b64 s[0:1], s[0:1], 2
	v_cmp_gt_i32_e32 vcc_lo, 32, v1
	v_cndmask_b32_e32 v1, v13, v1, vcc_lo
	v_cmp_gt_i32_e32 vcc_lo, 32, v2
	v_lshlrev_b32_e32 v1, 2, v1
	v_cndmask_b32_e32 v2, v13, v2, vcc_lo
	s_waitcnt lgkmcnt(0)
	s_add_u32 s0, s4, s0
	s_addc_u32 s1, s5, s1
	ds_bpermute_b32 v3, v1, v12
	v_lshlrev_b32_e32 v2, 2, v2
	s_waitcnt lgkmcnt(0)
	v_add_f32_e32 v11, v12, v3
	v_xor_b32_e32 v3, 4, v13
	ds_bpermute_b32 v12, v2, v11
	v_cmp_gt_i32_e32 vcc_lo, 32, v3
	v_cndmask_b32_e32 v3, v13, v3, vcc_lo
	v_lshlrev_b32_e32 v3, 2, v3
	s_waitcnt lgkmcnt(0)
	v_add_f32_e32 v12, v11, v12
	v_xor_b32_e32 v11, 2, v13
	ds_bpermute_b32 v14, v3, v12
	v_cmp_gt_i32_e32 vcc_lo, 32, v11
	v_cndmask_b32_e32 v11, v13, v11, vcc_lo
	;; [unrolled: 7-line block ×3, first 2 shown]
	v_cmp_eq_u32_e32 vcc_lo, 0, v0
	v_lshlrev_b32_e32 v12, 2, v12
	s_waitcnt lgkmcnt(0)
	v_add_f32_e32 v13, v14, v15
	ds_bpermute_b32 v14, v12, v13
	s_and_saveexec_b32 s3, vcc_lo
	s_cbranch_execz .LBB47_7
; %bb.6:
	s_waitcnt lgkmcnt(0)
	v_add_f32_e32 v0, v13, v14
	v_mov_b32_e32 v13, 0
	global_store_dword v13, v0, s[0:1]
.LBB47_7:
	s_or_b32 exec_lo, exec_lo, s3
	ds_bpermute_b32 v0, v1, v10
	s_waitcnt lgkmcnt(0)
	v_add_f32_e32 v0, v10, v0
	ds_bpermute_b32 v10, v2, v0
	s_waitcnt lgkmcnt(0)
	v_add_f32_e32 v0, v0, v10
	;; [unrolled: 3-line block ×4, first 2 shown]
	ds_bpermute_b32 v10, v12, v0
	s_and_saveexec_b32 s4, vcc_lo
	s_cbranch_execz .LBB47_9
; %bb.8:
	s_mov_b32 s3, 0
	s_waitcnt lgkmcnt(0)
	v_add_f32_e32 v0, v0, v10
	s_lshl_b64 s[6:7], s[2:3], 2
	v_mov_b32_e32 v10, 0
	s_add_u32 s6, s0, s6
	s_addc_u32 s7, s1, s7
	global_store_dword v10, v0, s[6:7]
.LBB47_9:
	s_or_b32 exec_lo, exec_lo, s4
	ds_bpermute_b32 v0, v1, v9
	s_waitcnt lgkmcnt(0)
	v_add_f32_e32 v0, v9, v0
	ds_bpermute_b32 v9, v2, v0
	s_waitcnt lgkmcnt(0)
	v_add_f32_e32 v0, v0, v9
	;; [unrolled: 3-line block ×4, first 2 shown]
	ds_bpermute_b32 v9, v12, v0
	s_and_saveexec_b32 s3, vcc_lo
	s_cbranch_execz .LBB47_11
; %bb.10:
	s_lshl_b32 s4, s2, 1
	s_mov_b32 s5, 0
	s_waitcnt lgkmcnt(0)
	v_add_f32_e32 v0, v0, v9
	s_lshl_b64 s[4:5], s[4:5], 2
	v_mov_b32_e32 v9, 0
	s_add_u32 s4, s0, s4
	s_addc_u32 s5, s1, s5
	global_store_dword v9, v0, s[4:5]
.LBB47_11:
	s_or_b32 exec_lo, exec_lo, s3
	ds_bpermute_b32 v0, v1, v8
	s_waitcnt lgkmcnt(0)
	v_add_f32_e32 v0, v8, v0
	ds_bpermute_b32 v8, v2, v0
	s_waitcnt lgkmcnt(0)
	v_add_f32_e32 v0, v0, v8
	;; [unrolled: 3-line block ×4, first 2 shown]
	ds_bpermute_b32 v8, v12, v0
	s_and_saveexec_b32 s3, vcc_lo
	s_cbranch_execz .LBB47_13
; %bb.12:
	s_mul_i32 s4, s2, 3
	s_mov_b32 s5, 0
	s_waitcnt lgkmcnt(0)
	v_add_f32_e32 v0, v0, v8
	s_lshl_b64 s[4:5], s[4:5], 2
	v_mov_b32_e32 v8, 0
	s_add_u32 s4, s0, s4
	s_addc_u32 s5, s1, s5
	global_store_dword v8, v0, s[4:5]
.LBB47_13:
	s_or_b32 exec_lo, exec_lo, s3
	ds_bpermute_b32 v0, v1, v7
	s_waitcnt lgkmcnt(0)
	v_add_f32_e32 v0, v7, v0
	ds_bpermute_b32 v7, v2, v0
	s_waitcnt lgkmcnt(0)
	v_add_f32_e32 v0, v0, v7
	;; [unrolled: 3-line block ×4, first 2 shown]
	ds_bpermute_b32 v7, v12, v0
	s_and_saveexec_b32 s3, vcc_lo
	s_cbranch_execz .LBB47_15
; %bb.14:
	s_lshl_b32 s4, s2, 2
	s_mov_b32 s5, 0
	s_waitcnt lgkmcnt(0)
	v_add_f32_e32 v0, v0, v7
	s_lshl_b64 s[4:5], s[4:5], 2
	v_mov_b32_e32 v7, 0
	s_add_u32 s4, s0, s4
	s_addc_u32 s5, s1, s5
	global_store_dword v7, v0, s[4:5]
.LBB47_15:
	s_or_b32 exec_lo, exec_lo, s3
	ds_bpermute_b32 v0, v1, v6
	s_waitcnt lgkmcnt(0)
	v_add_f32_e32 v0, v6, v0
	ds_bpermute_b32 v6, v2, v0
	s_waitcnt lgkmcnt(0)
	v_add_f32_e32 v0, v0, v6
	;; [unrolled: 3-line block ×4, first 2 shown]
	ds_bpermute_b32 v6, v12, v0
	s_and_saveexec_b32 s3, vcc_lo
	s_cbranch_execz .LBB47_17
; %bb.16:
	s_mul_i32 s4, s2, 5
	s_mov_b32 s5, 0
	s_waitcnt lgkmcnt(0)
	v_add_f32_e32 v0, v0, v6
	s_lshl_b64 s[4:5], s[4:5], 2
	v_mov_b32_e32 v6, 0
	s_add_u32 s4, s0, s4
	s_addc_u32 s5, s1, s5
	global_store_dword v6, v0, s[4:5]
.LBB47_17:
	s_or_b32 exec_lo, exec_lo, s3
	ds_bpermute_b32 v0, v1, v5
	s_waitcnt lgkmcnt(0)
	v_add_f32_e32 v0, v5, v0
	ds_bpermute_b32 v5, v2, v0
	s_waitcnt lgkmcnt(0)
	v_add_f32_e32 v0, v0, v5
	;; [unrolled: 3-line block ×4, first 2 shown]
	ds_bpermute_b32 v5, v12, v0
	s_and_saveexec_b32 s3, vcc_lo
	s_cbranch_execz .LBB47_19
; %bb.18:
	s_mul_i32 s4, s2, 6
	s_mov_b32 s5, 0
	s_waitcnt lgkmcnt(0)
	v_add_f32_e32 v0, v0, v5
	s_lshl_b64 s[4:5], s[4:5], 2
	v_mov_b32_e32 v5, 0
	s_add_u32 s4, s0, s4
	s_addc_u32 s5, s1, s5
	global_store_dword v5, v0, s[4:5]
.LBB47_19:
	s_or_b32 exec_lo, exec_lo, s3
	ds_bpermute_b32 v0, v1, v4
	s_waitcnt lgkmcnt(0)
	v_add_f32_e32 v0, v4, v0
	ds_bpermute_b32 v1, v2, v0
	s_waitcnt lgkmcnt(0)
	v_add_f32_e32 v0, v0, v1
	;; [unrolled: 3-line block ×4, first 2 shown]
	ds_bpermute_b32 v1, v12, v0
	s_and_b32 exec_lo, exec_lo, vcc_lo
	s_cbranch_execz .LBB47_21
; %bb.20:
	s_mul_i32 s2, s2, 7
	s_mov_b32 s3, 0
	s_waitcnt lgkmcnt(0)
	v_add_f32_e32 v0, v0, v1
	s_lshl_b64 s[2:3], s[2:3], 2
	v_mov_b32_e32 v1, 0
	s_add_u32 s0, s0, s2
	s_addc_u32 s1, s1, s3
	global_store_dword v1, v0, s[0:1]
.LBB47_21:
	s_endpgm
	.section	.rodata,"a",@progbits
	.p2align	6, 0x0
	.amdhsa_kernel _ZL13mul_mat_vec_qIL9ggml_type6ELi8ELb0ELb0EEvPKvS2_PKi31ggml_cuda_mm_fusion_args_devicePfj15HIP_vector_typeIjLj3EEjjjS8_jjjS8_jjjj
		.amdhsa_group_segment_fixed_size 0
		.amdhsa_private_segment_fixed_size 0
		.amdhsa_kernarg_size 144
		.amdhsa_user_sgpr_count 6
		.amdhsa_user_sgpr_private_segment_buffer 1
		.amdhsa_user_sgpr_dispatch_ptr 0
		.amdhsa_user_sgpr_queue_ptr 0
		.amdhsa_user_sgpr_kernarg_segment_ptr 1
		.amdhsa_user_sgpr_dispatch_id 0
		.amdhsa_user_sgpr_flat_scratch_init 0
		.amdhsa_user_sgpr_private_segment_size 0
		.amdhsa_wavefront_size32 1
		.amdhsa_uses_dynamic_stack 0
		.amdhsa_system_sgpr_private_segment_wavefront_offset 0
		.amdhsa_system_sgpr_workgroup_id_x 1
		.amdhsa_system_sgpr_workgroup_id_y 1
		.amdhsa_system_sgpr_workgroup_id_z 1
		.amdhsa_system_sgpr_workgroup_info 0
		.amdhsa_system_vgpr_workitem_id 1
		.amdhsa_next_free_vgpr 67
		.amdhsa_next_free_sgpr 26
		.amdhsa_reserve_vcc 1
		.amdhsa_reserve_flat_scratch 0
		.amdhsa_float_round_mode_32 0
		.amdhsa_float_round_mode_16_64 0
		.amdhsa_float_denorm_mode_32 3
		.amdhsa_float_denorm_mode_16_64 3
		.amdhsa_dx10_clamp 1
		.amdhsa_ieee_mode 1
		.amdhsa_fp16_overflow 0
		.amdhsa_workgroup_processor_mode 1
		.amdhsa_memory_ordered 1
		.amdhsa_forward_progress 1
		.amdhsa_shared_vgpr_count 0
		.amdhsa_exception_fp_ieee_invalid_op 0
		.amdhsa_exception_fp_denorm_src 0
		.amdhsa_exception_fp_ieee_div_zero 0
		.amdhsa_exception_fp_ieee_overflow 0
		.amdhsa_exception_fp_ieee_underflow 0
		.amdhsa_exception_fp_ieee_inexact 0
		.amdhsa_exception_int_div_zero 0
	.end_amdhsa_kernel
	.section	.text._ZL13mul_mat_vec_qIL9ggml_type6ELi8ELb0ELb0EEvPKvS2_PKi31ggml_cuda_mm_fusion_args_devicePfj15HIP_vector_typeIjLj3EEjjjS8_jjjS8_jjjj,"axG",@progbits,_ZL13mul_mat_vec_qIL9ggml_type6ELi8ELb0ELb0EEvPKvS2_PKi31ggml_cuda_mm_fusion_args_devicePfj15HIP_vector_typeIjLj3EEjjjS8_jjjS8_jjjj,comdat
.Lfunc_end47:
	.size	_ZL13mul_mat_vec_qIL9ggml_type6ELi8ELb0ELb0EEvPKvS2_PKi31ggml_cuda_mm_fusion_args_devicePfj15HIP_vector_typeIjLj3EEjjjS8_jjjS8_jjjj, .Lfunc_end47-_ZL13mul_mat_vec_qIL9ggml_type6ELi8ELb0ELb0EEvPKvS2_PKi31ggml_cuda_mm_fusion_args_devicePfj15HIP_vector_typeIjLj3EEjjjS8_jjjS8_jjjj
                                        ; -- End function
	.set _ZL13mul_mat_vec_qIL9ggml_type6ELi8ELb0ELb0EEvPKvS2_PKi31ggml_cuda_mm_fusion_args_devicePfj15HIP_vector_typeIjLj3EEjjjS8_jjjS8_jjjj.num_vgpr, 67
	.set _ZL13mul_mat_vec_qIL9ggml_type6ELi8ELb0ELb0EEvPKvS2_PKi31ggml_cuda_mm_fusion_args_devicePfj15HIP_vector_typeIjLj3EEjjjS8_jjjS8_jjjj.num_agpr, 0
	.set _ZL13mul_mat_vec_qIL9ggml_type6ELi8ELb0ELb0EEvPKvS2_PKi31ggml_cuda_mm_fusion_args_devicePfj15HIP_vector_typeIjLj3EEjjjS8_jjjS8_jjjj.numbered_sgpr, 26
	.set _ZL13mul_mat_vec_qIL9ggml_type6ELi8ELb0ELb0EEvPKvS2_PKi31ggml_cuda_mm_fusion_args_devicePfj15HIP_vector_typeIjLj3EEjjjS8_jjjS8_jjjj.num_named_barrier, 0
	.set _ZL13mul_mat_vec_qIL9ggml_type6ELi8ELb0ELb0EEvPKvS2_PKi31ggml_cuda_mm_fusion_args_devicePfj15HIP_vector_typeIjLj3EEjjjS8_jjjS8_jjjj.private_seg_size, 0
	.set _ZL13mul_mat_vec_qIL9ggml_type6ELi8ELb0ELb0EEvPKvS2_PKi31ggml_cuda_mm_fusion_args_devicePfj15HIP_vector_typeIjLj3EEjjjS8_jjjS8_jjjj.uses_vcc, 1
	.set _ZL13mul_mat_vec_qIL9ggml_type6ELi8ELb0ELb0EEvPKvS2_PKi31ggml_cuda_mm_fusion_args_devicePfj15HIP_vector_typeIjLj3EEjjjS8_jjjS8_jjjj.uses_flat_scratch, 0
	.set _ZL13mul_mat_vec_qIL9ggml_type6ELi8ELb0ELb0EEvPKvS2_PKi31ggml_cuda_mm_fusion_args_devicePfj15HIP_vector_typeIjLj3EEjjjS8_jjjS8_jjjj.has_dyn_sized_stack, 0
	.set _ZL13mul_mat_vec_qIL9ggml_type6ELi8ELb0ELb0EEvPKvS2_PKi31ggml_cuda_mm_fusion_args_devicePfj15HIP_vector_typeIjLj3EEjjjS8_jjjS8_jjjj.has_recursion, 0
	.set _ZL13mul_mat_vec_qIL9ggml_type6ELi8ELb0ELb0EEvPKvS2_PKi31ggml_cuda_mm_fusion_args_devicePfj15HIP_vector_typeIjLj3EEjjjS8_jjjS8_jjjj.has_indirect_call, 0
	.section	.AMDGPU.csdata,"",@progbits
; Kernel info:
; codeLenInByte = 2776
; TotalNumSgprs: 28
; NumVgprs: 67
; ScratchSize: 0
; MemoryBound: 0
; FloatMode: 240
; IeeeMode: 1
; LDSByteSize: 0 bytes/workgroup (compile time only)
; SGPRBlocks: 0
; VGPRBlocks: 8
; NumSGPRsForWavesPerEU: 28
; NumVGPRsForWavesPerEU: 67
; Occupancy: 12
; WaveLimiterHint : 0
; COMPUTE_PGM_RSRC2:SCRATCH_EN: 0
; COMPUTE_PGM_RSRC2:USER_SGPR: 6
; COMPUTE_PGM_RSRC2:TRAP_HANDLER: 0
; COMPUTE_PGM_RSRC2:TGID_X_EN: 1
; COMPUTE_PGM_RSRC2:TGID_Y_EN: 1
; COMPUTE_PGM_RSRC2:TGID_Z_EN: 1
; COMPUTE_PGM_RSRC2:TIDIG_COMP_CNT: 1
	.section	.text._ZL17mul_mat_vec_q_moeIL9ggml_type7ELi2EEvPKvS2_PKiPfj15HIP_vector_typeIjLj3EEjjjjjjjjj,"axG",@progbits,_ZL17mul_mat_vec_q_moeIL9ggml_type7ELi2EEvPKvS2_PKiPfj15HIP_vector_typeIjLj3EEjjjjjjjjj,comdat
	.globl	_ZL17mul_mat_vec_q_moeIL9ggml_type7ELi2EEvPKvS2_PKiPfj15HIP_vector_typeIjLj3EEjjjjjjjjj ; -- Begin function _ZL17mul_mat_vec_q_moeIL9ggml_type7ELi2EEvPKvS2_PKiPfj15HIP_vector_typeIjLj3EEjjjjjjjjj
	.p2align	8
	.type	_ZL17mul_mat_vec_q_moeIL9ggml_type7ELi2EEvPKvS2_PKiPfj15HIP_vector_typeIjLj3EEjjjjjjjjj,@function
_ZL17mul_mat_vec_q_moeIL9ggml_type7ELi2EEvPKvS2_PKiPfj15HIP_vector_typeIjLj3EEjjjjjjjjj: ; @_ZL17mul_mat_vec_q_moeIL9ggml_type7ELi2EEvPKvS2_PKiPfj15HIP_vector_typeIjLj3EEjjjjjjjjj
; %bb.0:
	s_load_dwordx8 s[16:23], s[4:5], 0x30
	s_mov_b32 s0, exec_lo
	s_waitcnt lgkmcnt(0)
	v_cmpx_gt_u32_e64 s23, v1
	s_cbranch_execz .LBB48_7
; %bb.1:
	s_clause 0x2
	s_load_dword s1, s[4:5], 0x20
	s_load_dword s0, s[4:5], 0x50
	s_load_dwordx8 s[8:15], s[4:5], 0x0
	v_lshrrev_b32_e32 v8, 1, v0
	v_mov_b32_e32 v2, 0
	v_mov_b32_e32 v3, 0
	s_mov_b32 s2, s7
	s_waitcnt lgkmcnt(0)
	s_lshr_b32 s3, s1, 5
	s_lshl_b32 s1, s6, 1
	s_mov_b32 s6, exec_lo
	v_cmpx_gt_u32_e64 s3, v8
	s_cbranch_execz .LBB48_5
; %bb.2:
	v_mad_u64_u32 v[2:3], null, s0, v1, s[2:3]
	v_mov_b32_e32 v3, 0
	s_load_dwordx4 s[24:27], s[4:5], 0x24
	v_lshrrev_b32_e32 v7, 1, v0
	v_and_b32_e32 v6, 1, v0
	s_add_i32 s0, s1, 1
	v_lshlrev_b64 v[4:5], 2, v[2:3]
	v_lshlrev_b32_e32 v10, 3, v6
	v_add_co_u32 v4, vcc_lo, s12, v4
	v_add_co_ci_u32_e64 v5, null, s13, v5, vcc_lo
	global_load_dword v2, v[4:5], off
	v_mul_lo_u32 v5, s18, v1
	v_lshlrev_b32_e32 v4, 1, v0
	s_waitcnt lgkmcnt(0)
	s_mul_hi_u32 s4, s24, s2
	s_add_i32 s4, s2, s4
	v_and_b32_e32 v14, 2, v4
	s_lshr_b32 s4, s4, s25
	v_mad_u64_u32 v[4:5], null, v5, 36, 0
	s_mul_i32 s4, s4, s26
	v_lshlrev_b32_e32 v9, 2, v14
	s_sub_i32 s4, s2, s4
	s_mul_i32 s4, s4, s21
	v_mad_u64_u32 v[12:13], null, v7, 36, v[4:5]
	s_mul_i32 s5, s4, 36
	s_mul_hi_u32 s4, s4, 36
	s_add_u32 s5, s10, s5
	s_addc_u32 s4, s11, s4
	v_or_b32_e32 v11, 4, v9
	s_waitcnt vmcnt(0)
	v_mul_lo_u32 v2, v2, s20
	v_mad_u64_u32 v[4:5], null, s1, s17, v[2:3]
	v_mad_u64_u32 v[5:6], null, s17, s0, v[2:3]
	v_add_co_u32 v6, vcc_lo, s5, v12
	v_add_co_ci_u32_e64 v7, null, s4, v13, vcc_lo
	v_lshlrev_b32_e32 v12, 2, v14
	v_mov_b32_e32 v2, v3
	s_mov_b32 s4, 0
.LBB48_3:                               ; =>This Inner Loop Header: Depth=1
	v_add_nc_u32_e32 v15, v4, v8
	v_add_nc_u32_e32 v17, v5, v8
	v_add_co_u32 v13, vcc_lo, v6, v10
	v_add_co_ci_u32_e64 v14, null, 0, v7, vcc_lo
	v_mad_i64_i32 v[15:16], null, v15, 24, s[8:9]
	v_mad_i64_i32 v[17:18], null, v17, 24, s[8:9]
	s_clause 0x1
	global_load_dwordx2 v[19:20], v[13:14], off offset:4
	global_load_dwordx2 v[13:14], v[13:14], off offset:20
	v_mov_b32_e32 v26, 0
	v_mov_b32_e32 v27, 0
	v_add_nc_u32_e32 v8, 16, v8
	v_add_co_u32 v21, vcc_lo, v15, v12
	v_add_co_ci_u32_e64 v22, null, 0, v16, vcc_lo
	v_add_co_u32 v23, vcc_lo, v17, v12
	v_add_co_ci_u32_e64 v24, null, 0, v18, vcc_lo
	s_clause 0x3
	global_load_dwordx2 v[15:16], v[15:16], off
	global_load_dwordx2 v[21:22], v[21:22], off offset:8
	global_load_dwordx2 v[17:18], v[17:18], off
	global_load_dwordx2 v[23:24], v[23:24], off offset:8
	global_load_dword v25, v[6:7], off
	v_add_co_u32 v6, vcc_lo, 0x240, v6
	v_cmp_le_u32_e64 s0, s3, v8
	v_add_co_ci_u32_e64 v7, null, 0, v7, vcc_lo
	s_or_b32 s4, s0, s4
	s_waitcnt vmcnt(4)
	v_ashrrev_i32_e32 v28, v9, v16
	v_ashrrev_i32_e32 v16, v11, v16
	s_waitcnt vmcnt(2)
	v_ashrrev_i32_e32 v45, v9, v18
	v_and_b32_e32 v29, 0xf0f0f0f, v21
	v_ashrrev_i32_e32 v18, v11, v18
	v_lshlrev_b32_e32 v30, 4, v28
	v_lshlrev_b32_e32 v38, 4, v16
	;; [unrolled: 1-line block ×4, first 2 shown]
	v_lshrrev_b32_e32 v42, 12, v16
	v_lshrrev_b32_e32 v43, 5, v16
	v_lshlrev_b32_e32 v44, 2, v16
	v_lshlrev_b32_e32 v31, 11, v28
	v_and_b32_e32 v38, 16, v38
	v_and_b32_e32 v39, 0x1000, v39
	;; [unrolled: 1-line block ×6, first 2 shown]
	v_lshlrev_b32_e32 v48, 4, v45
	v_lshlrev_b32_e32 v49, 11, v45
	;; [unrolled: 1-line block ×4, first 2 shown]
	v_lshrrev_b32_e32 v34, 12, v28
	v_lshrrev_b32_e32 v35, 5, v28
	v_lshlrev_b32_e32 v36, 2, v28
	s_waitcnt vmcnt(1)
	v_and_b32_e32 v46, 0xf0f0f0f, v23
	v_and_b32_e32 v30, 16, v30
	;; [unrolled: 1-line block ×3, first 2 shown]
	v_lshlrev_b32_e32 v50, 18, v45
	v_lshlrev_b32_e32 v51, 25, v45
	v_lshrrev_b32_e32 v52, 12, v45
	v_lshrrev_b32_e32 v53, 5, v45
	v_lshlrev_b32_e32 v54, 2, v45
	v_or3_b32 v38, v39, v38, v40
	v_or3_b32 v39, v43, v42, v44
	v_and_b32_e32 v40, 16, v48
	v_and_b32_e32 v42, 0x1000, v49
	v_lshrrev_b32_e32 v21, 4, v21
	v_lshlrev_b32_e32 v28, 9, v28
	v_lshrrev_b32_e32 v23, 4, v23
	v_and_b32_e32 v32, 0x100000, v32
	v_and_b32_e32 v33, 0x10000000, v33
	;; [unrolled: 1-line block ×5, first 2 shown]
	v_lshlrev_b32_e32 v45, 9, v45
	v_lshlrev_b32_e32 v55, 4, v18
	;; [unrolled: 1-line block ×4, first 2 shown]
	v_or3_b32 v29, v30, v29, v31
	v_and_b32_e32 v43, 0x100000, v50
	v_and_b32_e32 v44, 0x10000000, v51
	;; [unrolled: 1-line block ×5, first 2 shown]
	v_or3_b32 v40, v40, v46, v42
	v_lshlrev_b32_e32 v41, 25, v16
	v_and_b32_e32 v21, 0xf0f0f0f, v21
	v_and_b32_e32 v28, 0x10000000, v28
	;; [unrolled: 1-line block ×3, first 2 shown]
	v_lshlrev_b32_e32 v30, 25, v18
	v_lshrrev_b32_e32 v31, 12, v18
	v_or3_b32 v34, v35, v34, v36
	v_lshrrev_b32_e32 v35, 5, v18
	v_lshlrev_b32_e32 v36, 2, v18
	v_and_b32_e32 v45, 0x10000000, v45
	v_and_b32_e32 v51, 16, v55
	;; [unrolled: 1-line block ×4, first 2 shown]
	v_or3_b32 v29, v29, v32, v33
	v_or3_b32 v32, v49, v48, v50
	;; [unrolled: 1-line block ×3, first 2 shown]
	v_and_b32_e32 v37, 0xf0f0f0f, v22
	v_lshrrev_b32_e32 v22, 4, v22
	v_lshlrev_b32_e32 v16, 9, v16
	v_and_b32_e32 v47, 0xf0f0f0f, v24
	v_lshrrev_b32_e32 v24, 4, v24
	v_and_b32_e32 v41, 0x10000000, v41
	v_lshlrev_b32_e32 v18, 9, v18
	v_and_b32_e32 v30, 0x10000000, v30
	v_and_b32_e32 v31, 16, v31
	;; [unrolled: 1-line block ×4, first 2 shown]
	v_or3_b32 v21, v34, v28, v21
	v_or3_b32 v28, v52, v51, v53
	v_dot4c_i32_i8 v26, v29, v19
	v_or3_b32 v23, v32, v45, v23
	v_dot4c_i32_i8 v27, v33, v19
	v_and_b32_e32 v22, 0xf0f0f0f, v22
	v_and_b32_e32 v16, 0x10000000, v16
	;; [unrolled: 1-line block ×4, first 2 shown]
	v_or3_b32 v19, v38, v41, v37
	v_or3_b32 v29, v35, v31, v36
	;; [unrolled: 1-line block ×3, first 2 shown]
	v_dot4c_i32_i8 v26, v21, v13
	v_dot4c_i32_i8 v27, v23, v13
	s_waitcnt vmcnt(0)
	v_pk_mul_f16 v15, v15, v25
	v_pk_mul_f16 v13, v17, v25
	v_or3_b32 v16, v39, v16, v22
	v_or3_b32 v17, v29, v18, v24
	v_dot4c_i32_i8 v26, v19, v20
	v_dot4c_i32_i8 v27, v28, v20
	v_cvt_f32_f16_sdwa v18, v15 dst_sel:DWORD dst_unused:UNUSED_PAD src0_sel:WORD_1
	v_cvt_f32_f16_sdwa v19, v13 dst_sel:DWORD dst_unused:UNUSED_PAD src0_sel:WORD_1
	v_dot4c_i32_i8 v26, v16, v14
	v_dot4c_i32_i8 v27, v17, v14
	v_mul_f32_e32 v14, 0.5, v18
	v_mul_f32_e32 v16, 0.5, v19
	v_cvt_f32_i32_e32 v17, v26
	v_cvt_f32_i32_e32 v18, v27
	v_fma_mix_f32 v14, v17, v15, v14 op_sel_hi:[0,1,0]
	v_fma_mix_f32 v13, v18, v13, v16 op_sel_hi:[0,1,0]
	v_add_f32_e32 v3, v3, v14
	v_add_f32_e32 v2, v2, v13
	s_andn2_b32 exec_lo, exec_lo, s4
	s_cbranch_execnz .LBB48_3
; %bb.4:
	s_or_b32 exec_lo, exec_lo, s4
.LBB48_5:
	s_or_b32 exec_lo, exec_lo, s6
	v_mbcnt_lo_u32_b32 v4, -1, 0
	v_xor_b32_e32 v5, 16, v4
	v_xor_b32_e32 v7, 8, v4
	v_cmp_gt_i32_e32 vcc_lo, 32, v5
	v_cndmask_b32_e32 v5, v4, v5, vcc_lo
	v_cmp_gt_i32_e32 vcc_lo, 32, v7
	v_lshlrev_b32_e32 v5, 2, v5
	v_cndmask_b32_e32 v7, v4, v7, vcc_lo
	ds_bpermute_b32 v6, v5, v3
	ds_bpermute_b32 v5, v5, v2
	v_lshlrev_b32_e32 v7, 2, v7
	s_waitcnt lgkmcnt(1)
	v_add_f32_e32 v3, v3, v6
	s_waitcnt lgkmcnt(0)
	v_add_f32_e32 v2, v2, v5
	ds_bpermute_b32 v5, v7, v3
	ds_bpermute_b32 v6, v7, v2
	v_xor_b32_e32 v7, 4, v4
	v_cmp_gt_i32_e32 vcc_lo, 32, v7
	v_cndmask_b32_e32 v7, v4, v7, vcc_lo
	v_lshlrev_b32_e32 v7, 2, v7
	s_waitcnt lgkmcnt(1)
	v_add_f32_e32 v3, v3, v5
	s_waitcnt lgkmcnt(0)
	v_add_f32_e32 v2, v2, v6
	ds_bpermute_b32 v5, v7, v3
	ds_bpermute_b32 v6, v7, v2
	v_xor_b32_e32 v7, 2, v4
	v_cmp_gt_i32_e32 vcc_lo, 32, v7
	v_cndmask_b32_e32 v7, v4, v7, vcc_lo
	;; [unrolled: 10-line block ×3, first 2 shown]
	v_cmp_gt_u32_e32 vcc_lo, 2, v0
	v_lshlrev_b32_e32 v7, 2, v4
	s_waitcnt lgkmcnt(1)
	v_add_f32_e32 v2, v3, v2
	s_waitcnt lgkmcnt(0)
	v_add_f32_e32 v3, v5, v6
	v_add_nc_u32_e32 v6, s1, v0
	ds_bpermute_b32 v4, v7, v2
	ds_bpermute_b32 v5, v7, v3
	v_cmp_gt_u32_e64 s0, s16, v6
	s_and_b32 s0, vcc_lo, s0
	s_and_b32 exec_lo, exec_lo, s0
	s_cbranch_execz .LBB48_7
; %bb.6:
	v_mul_lo_u32 v1, s19, v1
	v_or_b32_e32 v6, s1, v0
	s_mul_i32 s0, s22, s2
	v_mov_b32_e32 v7, 0
	s_waitcnt lgkmcnt(1)
	v_add_f32_e32 v4, v2, v4
	s_waitcnt lgkmcnt(0)
	v_add_f32_e32 v3, v3, v5
	v_cmp_eq_u32_e32 vcc_lo, 1, v0
	v_add3_u32 v6, v6, v1, s0
	v_cndmask_b32_e32 v3, v4, v3, vcc_lo
	v_lshlrev_b64 v[1:2], 2, v[6:7]
	v_add_co_u32 v0, vcc_lo, s14, v1
	v_add_co_ci_u32_e64 v1, null, s15, v2, vcc_lo
	global_store_dword v[0:1], v3, off
.LBB48_7:
	s_endpgm
	.section	.rodata,"a",@progbits
	.p2align	6, 0x0
	.amdhsa_kernel _ZL17mul_mat_vec_q_moeIL9ggml_type7ELi2EEvPKvS2_PKiPfj15HIP_vector_typeIjLj3EEjjjjjjjjj
		.amdhsa_group_segment_fixed_size 0
		.amdhsa_private_segment_fixed_size 0
		.amdhsa_kernarg_size 84
		.amdhsa_user_sgpr_count 6
		.amdhsa_user_sgpr_private_segment_buffer 1
		.amdhsa_user_sgpr_dispatch_ptr 0
		.amdhsa_user_sgpr_queue_ptr 0
		.amdhsa_user_sgpr_kernarg_segment_ptr 1
		.amdhsa_user_sgpr_dispatch_id 0
		.amdhsa_user_sgpr_flat_scratch_init 0
		.amdhsa_user_sgpr_private_segment_size 0
		.amdhsa_wavefront_size32 1
		.amdhsa_uses_dynamic_stack 0
		.amdhsa_system_sgpr_private_segment_wavefront_offset 0
		.amdhsa_system_sgpr_workgroup_id_x 1
		.amdhsa_system_sgpr_workgroup_id_y 1
		.amdhsa_system_sgpr_workgroup_id_z 0
		.amdhsa_system_sgpr_workgroup_info 0
		.amdhsa_system_vgpr_workitem_id 1
		.amdhsa_next_free_vgpr 58
		.amdhsa_next_free_sgpr 28
		.amdhsa_reserve_vcc 1
		.amdhsa_reserve_flat_scratch 0
		.amdhsa_float_round_mode_32 0
		.amdhsa_float_round_mode_16_64 0
		.amdhsa_float_denorm_mode_32 3
		.amdhsa_float_denorm_mode_16_64 3
		.amdhsa_dx10_clamp 1
		.amdhsa_ieee_mode 1
		.amdhsa_fp16_overflow 0
		.amdhsa_workgroup_processor_mode 1
		.amdhsa_memory_ordered 1
		.amdhsa_forward_progress 1
		.amdhsa_shared_vgpr_count 0
		.amdhsa_exception_fp_ieee_invalid_op 0
		.amdhsa_exception_fp_denorm_src 0
		.amdhsa_exception_fp_ieee_div_zero 0
		.amdhsa_exception_fp_ieee_overflow 0
		.amdhsa_exception_fp_ieee_underflow 0
		.amdhsa_exception_fp_ieee_inexact 0
		.amdhsa_exception_int_div_zero 0
	.end_amdhsa_kernel
	.section	.text._ZL17mul_mat_vec_q_moeIL9ggml_type7ELi2EEvPKvS2_PKiPfj15HIP_vector_typeIjLj3EEjjjjjjjjj,"axG",@progbits,_ZL17mul_mat_vec_q_moeIL9ggml_type7ELi2EEvPKvS2_PKiPfj15HIP_vector_typeIjLj3EEjjjjjjjjj,comdat
.Lfunc_end48:
	.size	_ZL17mul_mat_vec_q_moeIL9ggml_type7ELi2EEvPKvS2_PKiPfj15HIP_vector_typeIjLj3EEjjjjjjjjj, .Lfunc_end48-_ZL17mul_mat_vec_q_moeIL9ggml_type7ELi2EEvPKvS2_PKiPfj15HIP_vector_typeIjLj3EEjjjjjjjjj
                                        ; -- End function
	.set _ZL17mul_mat_vec_q_moeIL9ggml_type7ELi2EEvPKvS2_PKiPfj15HIP_vector_typeIjLj3EEjjjjjjjjj.num_vgpr, 58
	.set _ZL17mul_mat_vec_q_moeIL9ggml_type7ELi2EEvPKvS2_PKiPfj15HIP_vector_typeIjLj3EEjjjjjjjjj.num_agpr, 0
	.set _ZL17mul_mat_vec_q_moeIL9ggml_type7ELi2EEvPKvS2_PKiPfj15HIP_vector_typeIjLj3EEjjjjjjjjj.numbered_sgpr, 28
	.set _ZL17mul_mat_vec_q_moeIL9ggml_type7ELi2EEvPKvS2_PKiPfj15HIP_vector_typeIjLj3EEjjjjjjjjj.num_named_barrier, 0
	.set _ZL17mul_mat_vec_q_moeIL9ggml_type7ELi2EEvPKvS2_PKiPfj15HIP_vector_typeIjLj3EEjjjjjjjjj.private_seg_size, 0
	.set _ZL17mul_mat_vec_q_moeIL9ggml_type7ELi2EEvPKvS2_PKiPfj15HIP_vector_typeIjLj3EEjjjjjjjjj.uses_vcc, 1
	.set _ZL17mul_mat_vec_q_moeIL9ggml_type7ELi2EEvPKvS2_PKiPfj15HIP_vector_typeIjLj3EEjjjjjjjjj.uses_flat_scratch, 0
	.set _ZL17mul_mat_vec_q_moeIL9ggml_type7ELi2EEvPKvS2_PKiPfj15HIP_vector_typeIjLj3EEjjjjjjjjj.has_dyn_sized_stack, 0
	.set _ZL17mul_mat_vec_q_moeIL9ggml_type7ELi2EEvPKvS2_PKiPfj15HIP_vector_typeIjLj3EEjjjjjjjjj.has_recursion, 0
	.set _ZL17mul_mat_vec_q_moeIL9ggml_type7ELi2EEvPKvS2_PKiPfj15HIP_vector_typeIjLj3EEjjjjjjjjj.has_indirect_call, 0
	.section	.AMDGPU.csdata,"",@progbits
; Kernel info:
; codeLenInByte = 1548
; TotalNumSgprs: 30
; NumVgprs: 58
; ScratchSize: 0
; MemoryBound: 0
; FloatMode: 240
; IeeeMode: 1
; LDSByteSize: 0 bytes/workgroup (compile time only)
; SGPRBlocks: 0
; VGPRBlocks: 7
; NumSGPRsForWavesPerEU: 30
; NumVGPRsForWavesPerEU: 58
; Occupancy: 16
; WaveLimiterHint : 1
; COMPUTE_PGM_RSRC2:SCRATCH_EN: 0
; COMPUTE_PGM_RSRC2:USER_SGPR: 6
; COMPUTE_PGM_RSRC2:TRAP_HANDLER: 0
; COMPUTE_PGM_RSRC2:TGID_X_EN: 1
; COMPUTE_PGM_RSRC2:TGID_Y_EN: 1
; COMPUTE_PGM_RSRC2:TGID_Z_EN: 0
; COMPUTE_PGM_RSRC2:TIDIG_COMP_CNT: 1
	.section	.text._ZL13mul_mat_vec_qIL9ggml_type7ELi1ELb1ELb1EEvPKvS2_PKi31ggml_cuda_mm_fusion_args_devicePfj15HIP_vector_typeIjLj3EEjjjS8_jjjS8_jjjj,"axG",@progbits,_ZL13mul_mat_vec_qIL9ggml_type7ELi1ELb1ELb1EEvPKvS2_PKi31ggml_cuda_mm_fusion_args_devicePfj15HIP_vector_typeIjLj3EEjjjS8_jjjS8_jjjj,comdat
	.globl	_ZL13mul_mat_vec_qIL9ggml_type7ELi1ELb1ELb1EEvPKvS2_PKi31ggml_cuda_mm_fusion_args_devicePfj15HIP_vector_typeIjLj3EEjjjS8_jjjS8_jjjj ; -- Begin function _ZL13mul_mat_vec_qIL9ggml_type7ELi1ELb1ELb1EEvPKvS2_PKi31ggml_cuda_mm_fusion_args_devicePfj15HIP_vector_typeIjLj3EEjjjS8_jjjS8_jjjj
	.p2align	8
	.type	_ZL13mul_mat_vec_qIL9ggml_type7ELi1ELb1ELb1EEvPKvS2_PKi31ggml_cuda_mm_fusion_args_devicePfj15HIP_vector_typeIjLj3EEjjjS8_jjjS8_jjjj,@function
_ZL13mul_mat_vec_qIL9ggml_type7ELi1ELb1ELb1EEvPKvS2_PKi31ggml_cuda_mm_fusion_args_devicePfj15HIP_vector_typeIjLj3EEjjjS8_jjjS8_jjjj: ; @_ZL13mul_mat_vec_qIL9ggml_type7ELi1ELb1ELb1EEvPKvS2_PKi31ggml_cuda_mm_fusion_args_devicePfj15HIP_vector_typeIjLj3EEjjjS8_jjjS8_jjjj
; %bb.0:
	s_clause 0x3
	s_load_dwordx8 s[12:19], s[4:5], 0x0
	s_load_dwordx4 s[28:31], s[4:5], 0x20
	s_load_dwordx4 s[36:39], s[4:5], 0x40
	;; [unrolled: 1-line block ×3, first 2 shown]
	s_mov_b32 s10, s7
	s_waitcnt lgkmcnt(0)
	s_cmp_lg_u64 s[16:17], 0
	s_cselect_b32 s0, -1, 0
	s_cmp_eq_u64 s[16:17], 0
	s_cbranch_scc1 .LBB49_5
; %bb.1:
	s_mov_b32 s11, 0
	s_lshl_b64 s[2:3], s[10:11], 2
	s_add_u32 s2, s16, s2
	s_addc_u32 s3, s17, s3
	s_load_dword s33, s[2:3], 0x0
	s_clause 0x1
	s_load_dword s34, s[4:5], 0x50
	s_load_dword s35, s[4:5], 0x78
	s_cbranch_execnz .LBB49_3
.LBB49_2:
	s_load_dwordx2 s[2:3], s[4:5], 0x5c
	s_waitcnt lgkmcnt(0)
	s_mul_hi_u32 s1, s2, s10
	s_add_i32 s1, s10, s1
	s_lshr_b32 s33, s1, s3
.LBB49_3:
	s_andn2_b32 vcc_lo, exec_lo, s0
	s_cbranch_vccnz .LBB49_6
; %bb.4:
	s_mul_hi_u32 s0, s37, s10
	s_waitcnt lgkmcnt(0)
	s_mov_b32 s1, s33
	s_add_i32 s0, s10, s0
	s_lshr_b32 s0, s0, s38
	s_mul_i32 s0, s0, s39
	s_sub_i32 s11, s10, s0
	s_branch .LBB49_7
.LBB49_5:
                                        ; implicit-def: $sgpr33
	s_clause 0x1
	s_load_dword s34, s[4:5], 0x50
	s_load_dword s35, s[4:5], 0x78
	s_branch .LBB49_2
.LBB49_6:
	s_mov_b32 s1, s10
	s_mov_b32 s11, s10
.LBB49_7:
	s_load_dwordx4 s[24:27], s[4:5], 0x80
	v_or_b32_e32 v2, v0, v1
	s_cmp_lg_u64 s[18:19], 0
	v_mov_b32_e32 v12, 0
	v_mov_b32_e32 v13, 0
	s_cselect_b32 s0, -1, 0
	v_cmp_eq_u32_e32 vcc_lo, 0, v2
	s_mov_b32 s17, 0
	s_mul_i32 s2, s1, s22
	s_and_b32 s3, s0, vcc_lo
	s_and_saveexec_b32 s1, s3
	s_cbranch_execz .LBB49_9
; %bb.8:
	s_waitcnt lgkmcnt(0)
	s_mul_i32 s16, s26, s8
	s_mov_b32 s3, s17
	s_lshl_b64 s[38:39], s[16:17], 2
	v_lshlrev_b32_e32 v2, 2, v0
	s_add_u32 s7, s18, s38
	s_addc_u32 s9, s19, s39
	s_lshl_b64 s[16:17], s[2:3], 2
	s_add_u32 s3, s7, s16
	s_addc_u32 s9, s9, s17
	s_ashr_i32 s7, s6, 31
	s_lshl_b64 s[16:17], s[6:7], 2
	s_add_u32 s16, s3, s16
	s_addc_u32 s17, s9, s17
	global_load_dword v13, v2, s[16:17]
.LBB49_9:
	s_or_b32 exec_lo, exec_lo, s1
	s_cmp_lg_u64 s[28:29], 0
	s_cselect_b32 s9, -1, 0
	s_cmp_lg_u64 s[30:31], 0
	s_cselect_b32 s1, -1, 0
	s_and_b32 s3, s1, s9
	s_and_b32 s3, s3, vcc_lo
	s_and_saveexec_b32 s16, s3
	s_cbranch_execz .LBB49_11
; %bb.10:
	s_waitcnt lgkmcnt(0)
	s_mul_i32 s18, s26, s8
	s_mov_b32 s19, 0
	v_lshlrev_b32_e32 v2, 2, v0
	s_lshl_b64 s[38:39], s[18:19], 2
	s_mov_b32 s3, s19
	s_add_u32 s7, s30, s38
	s_addc_u32 s17, s31, s39
	s_lshl_b64 s[2:3], s[2:3], 2
	s_add_u32 s18, s7, s2
	s_addc_u32 s17, s17, s3
	s_ashr_i32 s7, s6, 31
	s_lshl_b64 s[2:3], s[6:7], 2
	s_add_u32 s2, s18, s2
	s_addc_u32 s3, s17, s3
	global_load_dword v12, v2, s[2:3]
.LBB49_11:
	s_or_b32 exec_lo, exec_lo, s16
	v_lshl_or_b32 v2, v1, 5, v0
	v_mov_b32_e32 v16, 0
	v_cndmask_b32_e64 v14, 0, 1, s9
	v_mov_b32_e32 v15, 0
	s_lshr_b32 s3, s36, 5
	v_lshrrev_b16 v3, 1, v2
	s_mov_b32 s7, exec_lo
	v_and_b32_e32 v17, 0xffff, v3
	v_cmpx_gt_u32_e64 s3, v17
	s_cbranch_execz .LBB49_17
; %bb.12:
	s_mul_hi_u32 s16, s23, s8
	s_mul_i32 s17, s11, s21
	s_add_i32 s11, s8, s16
	v_lshlrev_b32_e32 v3, 1, v0
	s_waitcnt lgkmcnt(0)
	s_lshr_b32 s11, s11, s35
	s_mul_i32 s34, s34, s6
	s_mul_i32 s11, s11, s24
	;; [unrolled: 1-line block ×4, first 2 shown]
	s_add_i32 s11, s11, s34
	v_and_b32_e32 v4, 2, v3
	s_mul_i32 s18, s2, 36
	s_add_i32 s11, s16, s11
	s_mul_hi_u32 s2, s2, 36
	v_lshrrev_b32_e32 v2, 1, v2
	s_mul_hi_u32 s16, s17, 36
	s_mul_i32 s17, s17, 36
	s_add_u32 s14, s14, s18
	s_addc_u32 s2, s15, s2
	s_add_u32 s14, s14, s17
	v_lshlrev_b32_e32 v18, 2, v4
	v_and_b32_e32 v5, 1, v0
	s_addc_u32 s15, s2, s16
	v_mov_b32_e32 v16, 0
	v_mad_u64_u32 v[2:3], null, v2, 36, s[14:15]
	v_or_b32_e32 v19, 4, v18
	v_lshlrev_b32_e32 v20, 3, v5
	v_lshlrev_b32_e32 v21, 2, v4
	v_mov_b32_e32 v15, 0
	s_mov_b32 s14, 0
	s_branch .LBB49_14
.LBB49_13:                              ;   in Loop: Header=BB49_14 Depth=1
	s_waitcnt vmcnt(4)
	v_ashrrev_i32_e32 v23, v18, v5
	s_waitcnt vmcnt(3)
	v_and_b32_e32 v24, 0xf0f0f0f, v10
	v_mov_b32_e32 v25, 0
	v_lshrrev_b32_e32 v10, 4, v10
	v_ashrrev_i32_e32 v5, v19, v5
	v_lshlrev_b32_e32 v26, 4, v23
	v_lshlrev_b32_e32 v27, 11, v23
	;; [unrolled: 1-line block ×4, first 2 shown]
	v_lshrrev_b32_e32 v30, 12, v23
	v_and_b32_e32 v26, 16, v26
	v_and_b32_e32 v27, 0x1000, v27
	v_lshrrev_b32_e32 v31, 5, v23
	v_lshlrev_b32_e32 v32, 2, v23
	v_and_b32_e32 v28, 0x100000, v28
	v_and_b32_e32 v29, 0x10000000, v29
	v_or3_b32 v24, v26, v24, v27
	v_lshlrev_b32_e32 v23, 9, v23
	v_and_b32_e32 v26, 16, v30
	v_and_b32_e32 v27, 0x1000, v31
	v_and_b32_e32 v30, 0x100000, v32
	v_or3_b32 v24, v24, v28, v29
	v_and_b32_e32 v10, 0xf0f0f0f, v10
	v_and_b32_e32 v23, 0x10000000, v23
	v_lshrrev_b32_e32 v28, 12, v5
	v_or3_b32 v26, v27, v26, v30
	s_waitcnt vmcnt(2)
	v_dot4c_i32_i8 v25, v24, v8
	v_lshlrev_b32_e32 v8, 4, v5
	v_lshlrev_b32_e32 v24, 11, v5
	;; [unrolled: 1-line block ×3, first 2 shown]
	v_or3_b32 v10, v26, v23, v10
	v_lshlrev_b32_e32 v23, 25, v5
	v_and_b32_e32 v8, 16, v8
	v_and_b32_e32 v24, 0x1000, v24
	;; [unrolled: 1-line block ×3, first 2 shown]
	v_lshrrev_b32_e32 v29, 5, v5
	v_and_b32_e32 v27, 0xf0f0f0f, v11
	v_and_b32_e32 v23, 0x10000000, v23
	v_lshrrev_b32_e32 v11, 4, v11
	v_or3_b32 v8, v24, v8, v26
	v_lshlrev_b32_e32 v24, 2, v5
	v_and_b32_e32 v26, 16, v28
	v_and_b32_e32 v28, 0x1000, v29
	v_lshlrev_b32_e32 v5, 9, v5
	s_waitcnt vmcnt(1)
	v_dot4c_i32_i8 v25, v10, v6
	v_and_b32_e32 v24, 0x100000, v24
	v_or3_b32 v6, v8, v23, v27
	v_and_b32_e32 v8, 0xf0f0f0f, v11
	v_and_b32_e32 v5, 0x10000000, v5
	s_waitcnt vmcnt(0)
	v_pk_mul_f16 v4, v4, v22
	v_or3_b32 v10, v28, v26, v24
	v_dot4c_i32_i8 v25, v6, v9
	v_add_nc_u32_e32 v17, 16, v17
	v_add_co_u32 v2, s2, 0x240, v2
	v_or3_b32 v5, v10, v5, v8
	v_add_co_ci_u32_e64 v3, null, 0, v3, s2
	v_cmp_le_u32_e32 vcc_lo, s3, v17
	v_dot4c_i32_i8 v25, v5, v7
	v_cvt_f32_f16_sdwa v5, v4 dst_sel:DWORD dst_unused:UNUSED_PAD src0_sel:WORD_1
	s_or_b32 s14, vcc_lo, s14
	v_cvt_f32_i32_e32 v6, v25
	v_mul_f32_e32 v5, 0.5, v5
	v_fma_mix_f32 v4, v6, v4, v5 op_sel_hi:[0,1,0]
	v_add_f32_e32 v16, v16, v4
	s_andn2_b32 exec_lo, exec_lo, s14
	s_cbranch_execz .LBB49_16
.LBB49_14:                              ; =>This Inner Loop Header: Depth=1
	v_add_nc_u32_e32 v23, s11, v17
	v_mad_i64_i32 v[4:5], null, v23, 24, s[12:13]
	v_add_co_u32 v6, vcc_lo, v4, v21
	v_add_co_ci_u32_e64 v7, null, 0, v5, vcc_lo
	v_add_co_u32 v24, vcc_lo, v2, v20
	v_add_co_ci_u32_e64 v25, null, 0, v3, vcc_lo
	s_clause 0x1
	global_load_dwordx2 v[4:5], v[4:5], off
	global_load_dwordx2 v[10:11], v[6:7], off offset:8
	s_clause 0x2
	global_load_dwordx2 v[8:9], v[24:25], off offset:4
	global_load_dwordx2 v[6:7], v[24:25], off offset:20
	global_load_dword v22, v[2:3], off
	s_andn2_b32 vcc_lo, exec_lo, s9
	s_cbranch_vccnz .LBB49_13
; %bb.15:                               ;   in Loop: Header=BB49_14 Depth=1
	v_mad_i64_i32 v[23:24], null, v23, 24, s[28:29]
	v_mov_b32_e32 v28, 0
	v_add_co_u32 v25, vcc_lo, v23, v21
	v_add_co_ci_u32_e64 v26, null, 0, v24, vcc_lo
	s_clause 0x1
	global_load_dwordx2 v[23:24], v[23:24], off
	global_load_dwordx2 v[25:26], v[25:26], off offset:8
	s_waitcnt vmcnt(1)
	v_ashrrev_i32_e32 v27, v18, v24
	v_ashrrev_i32_e32 v24, v19, v24
	s_waitcnt vmcnt(0)
	v_and_b32_e32 v29, 0xf0f0f0f, v25
	v_lshrrev_b32_e32 v25, 4, v25
	v_and_b32_e32 v37, 0xf0f0f0f, v26
	v_lshlrev_b32_e32 v30, 4, v27
	v_lshlrev_b32_e32 v31, 11, v27
	;; [unrolled: 1-line block ×4, first 2 shown]
	v_lshrrev_b32_e32 v34, 12, v27
	v_lshrrev_b32_e32 v35, 5, v27
	v_lshlrev_b32_e32 v36, 2, v27
	v_and_b32_e32 v30, 16, v30
	v_and_b32_e32 v31, 0x1000, v31
	v_lshlrev_b32_e32 v27, 9, v27
	v_lshlrev_b32_e32 v38, 4, v24
	;; [unrolled: 1-line block ×3, first 2 shown]
	v_and_b32_e32 v32, 0x100000, v32
	v_and_b32_e32 v33, 0x10000000, v33
	;; [unrolled: 1-line block ×5, first 2 shown]
	v_or3_b32 v29, v30, v29, v31
	v_lshlrev_b32_e32 v40, 18, v24
	v_lshlrev_b32_e32 v41, 25, v24
	v_lshrrev_b32_e32 v42, 12, v24
	v_lshrrev_b32_e32 v43, 5, v24
	v_lshlrev_b32_e32 v44, 2, v24
	v_and_b32_e32 v25, 0xf0f0f0f, v25
	v_and_b32_e32 v27, 0x10000000, v27
	;; [unrolled: 1-line block ×4, first 2 shown]
	v_or3_b32 v34, v35, v34, v36
	v_or3_b32 v29, v29, v32, v33
	v_lshrrev_b32_e32 v26, 4, v26
	v_lshlrev_b32_e32 v24, 9, v24
	v_and_b32_e32 v30, 0x100000, v40
	v_and_b32_e32 v31, 0x10000000, v41
	;; [unrolled: 1-line block ×5, first 2 shown]
	v_or3_b32 v35, v38, v37, v39
	v_or3_b32 v25, v34, v27, v25
	v_dot4c_i32_i8 v28, v29, v8
	v_and_b32_e32 v26, 0xf0f0f0f, v26
	v_and_b32_e32 v24, 0x10000000, v24
	v_or3_b32 v27, v32, v40, v33
	v_or3_b32 v29, v35, v30, v31
	v_dot4c_i32_i8 v28, v25, v6
	v_pk_mul_f16 v23, v22, v23
	v_or3_b32 v24, v27, v24, v26
	v_dot4c_i32_i8 v28, v29, v9
	v_dot4c_i32_i8 v28, v24, v7
	v_cvt_f32_f16_sdwa v24, v23 dst_sel:DWORD dst_unused:UNUSED_PAD src0_sel:WORD_1
	v_cvt_f32_i32_e32 v25, v28
	v_mul_f32_e32 v24, 0.5, v24
	v_fma_mix_f32 v23, v25, v23, v24 op_sel_hi:[0,1,0]
	v_add_f32_e32 v15, v15, v23
	s_branch .LBB49_13
.LBB49_16:
	s_or_b32 exec_lo, exec_lo, s14
.LBB49_17:
	s_or_b32 exec_lo, exec_lo, s7
	s_load_dword s2, s[4:5], 0x30
	s_waitcnt vmcnt(0) lgkmcnt(0)
	; wave barrier
	buffer_gl0_inv
	s_mov_b32 s3, exec_lo
	v_cmpx_eq_u32_e32 0, v1
	s_cbranch_execz .LBB49_44
; %bb.18:
	v_mbcnt_lo_u32_b32 v2, -1, 0
	v_xor_b32_e32 v1, 16, v2
	v_xor_b32_e32 v4, 8, v2
	;; [unrolled: 1-line block ×3, first 2 shown]
	v_cmp_gt_i32_e32 vcc_lo, 32, v1
	v_cndmask_b32_e32 v1, v2, v1, vcc_lo
	v_cmp_gt_i32_e32 vcc_lo, 32, v4
	v_lshlrev_b32_e32 v1, 2, v1
	v_cndmask_b32_e32 v4, v2, v4, vcc_lo
	v_cmp_gt_i32_e32 vcc_lo, 32, v5
	ds_bpermute_b32 v3, v1, v16
	v_lshlrev_b32_e32 v4, 2, v4
	v_cndmask_b32_e32 v5, v2, v5, vcc_lo
	v_lshlrev_b32_e32 v5, 2, v5
	s_waitcnt lgkmcnt(0)
	v_add_f32_e32 v3, v16, v3
	ds_bpermute_b32 v6, v4, v3
	s_waitcnt lgkmcnt(0)
	v_add_f32_e32 v3, v3, v6
	v_xor_b32_e32 v6, 2, v2
	ds_bpermute_b32 v7, v5, v3
	v_cmp_gt_i32_e32 vcc_lo, 32, v6
	v_cndmask_b32_e32 v6, v2, v6, vcc_lo
	v_lshlrev_b32_e32 v6, 2, v6
	s_waitcnt lgkmcnt(0)
	v_add_f32_e32 v3, v3, v7
	v_xor_b32_e32 v7, 1, v2
	ds_bpermute_b32 v8, v6, v3
	v_cmp_gt_i32_e32 vcc_lo, 32, v7
	v_cndmask_b32_e32 v2, v2, v7, vcc_lo
	v_cmp_ne_u32_e32 vcc_lo, 1, v14
	v_lshlrev_b32_e32 v7, 2, v2
	s_waitcnt lgkmcnt(0)
	v_add_f32_e32 v2, v3, v8
	ds_bpermute_b32 v3, v7, v2
	s_cbranch_vccnz .LBB49_20
; %bb.19:
	ds_bpermute_b32 v1, v1, v15
	s_waitcnt lgkmcnt(0)
	v_add_f32_e32 v1, v15, v1
	ds_bpermute_b32 v4, v4, v1
	s_waitcnt lgkmcnt(0)
	v_add_f32_e32 v1, v1, v4
	;; [unrolled: 3-line block ×5, first 2 shown]
.LBB49_20:
	v_cmp_eq_u32_e32 vcc_lo, 0, v0
	s_and_b32 exec_lo, exec_lo, vcc_lo
	s_cbranch_execz .LBB49_44
; %bb.21:
	s_waitcnt lgkmcnt(0)
	v_add_f32_e32 v1, v2, v3
	v_cmp_ne_u32_e32 vcc_lo, 1, v14
	v_add_f32_e32 v2, v13, v1
	v_cndmask_b32_e64 v1, v1, v2, s0
	s_cbranch_vccnz .LBB49_43
; %bb.22:
	v_add_f32_e32 v2, v12, v15
	s_cmp_lt_i32 s2, 2
	s_mov_b32 s0, 0
	v_cndmask_b32_e64 v2, v15, v2, s1
	s_cbranch_scc1 .LBB49_26
; %bb.23:
	s_cmp_gt_i32 s2, 2
	s_cbranch_scc0 .LBB49_27
; %bb.24:
	s_cmp_eq_u32 s2, 3
	s_cbranch_scc0 .LBB49_28
; %bb.25:
	v_max_f32_e32 v3, v2, v2
	s_mov_b32 s1, 0
	v_min_f32_e32 v3, 0x40e00000, v3
	v_mul_f32_e32 v4, 0xbfd9db23, v3
	v_mul_f32_e32 v5, 0x3fb8aa3b, v4
	v_cmp_ngt_f32_e32 vcc_lo, 0xc2ce8ed0, v4
	v_fma_f32 v6, 0x3fb8aa3b, v4, -v5
	v_rndne_f32_e32 v7, v5
	v_fmamk_f32 v6, v4, 0x32a5705f, v6
	v_sub_f32_e32 v5, v5, v7
	v_add_f32_e32 v5, v5, v6
	v_cvt_i32_f32_e32 v6, v7
	v_exp_f32_e32 v5, v5
	v_ldexp_f32 v5, v5, v6
	v_cndmask_b32_e32 v5, 0, v5, vcc_lo
	v_cmp_nlt_f32_e32 vcc_lo, 0x42b17218, v4
	v_cndmask_b32_e32 v4, 0x7f800000, v5, vcc_lo
	v_add_f32_e32 v4, 1.0, v4
	v_div_scale_f32 v5, null, v4, v4, v3
	v_div_scale_f32 v8, vcc_lo, v3, v4, v3
	v_rcp_f32_e32 v6, v5
	v_fma_f32 v7, -v5, v6, 1.0
	v_fmac_f32_e32 v6, v7, v6
	v_mul_f32_e32 v7, v8, v6
	v_fma_f32 v9, -v5, v7, v8
	v_fmac_f32_e32 v7, v9, v6
	v_max_f32_e32 v9, v1, v1
	v_fma_f32 v5, -v5, v7, v8
	v_min_f32_e32 v8, 0x40e00000, v9
	v_div_fmas_f32 v5, v5, v6, v7
	v_max_f32_e32 v6, 0xc0e00000, v8
	v_div_fixup_f32 v3, v5, v4, v3
	v_add_f32_e32 v4, 1.0, v6
	v_mul_f32_e32 v3, v4, v3
	s_branch .LBB49_29
.LBB49_26:
	s_mov_b32 s1, 0
                                        ; implicit-def: $vgpr3
	s_cbranch_execnz .LBB49_33
	s_branch .LBB49_34
.LBB49_27:
	s_mov_b32 s3, -1
	s_mov_b32 s1, 0
                                        ; implicit-def: $vgpr3
	s_branch .LBB49_30
.LBB49_28:
	s_mov_b32 s1, -1
                                        ; implicit-def: $vgpr3
.LBB49_29:
	s_mov_b32 s3, 0
.LBB49_30:
	s_and_b32 vcc_lo, exec_lo, s3
	s_cbranch_vccz .LBB49_32
; %bb.31:
	v_mul_f32_e32 v3, 0xbfb8aa3b, v2
	v_cmp_nlt_f32_e32 vcc_lo, 0x42ce8ed0, v2
	v_rndne_f32_e32 v4, v3
	v_fma_f32 v5, 0xbfb8aa3b, v2, -v3
	v_sub_f32_e32 v3, v3, v4
	v_fmamk_f32 v5, v2, 0xb2a5705f, v5
	v_cvt_i32_f32_e32 v4, v4
	v_add_f32_e32 v3, v3, v5
	v_exp_f32_e32 v3, v3
	v_ldexp_f32 v3, v3, v4
	v_cndmask_b32_e32 v3, 0, v3, vcc_lo
	v_cmp_ngt_f32_e32 vcc_lo, 0xc2b17218, v2
	v_cndmask_b32_e32 v3, 0x7f800000, v3, vcc_lo
	v_add_f32_e32 v3, 1.0, v3
	v_div_scale_f32 v4, null, v3, v3, v2
	v_rcp_f32_e32 v5, v4
	v_fma_f32 v6, -v4, v5, 1.0
	v_fmac_f32_e32 v5, v6, v5
	v_div_scale_f32 v6, vcc_lo, v2, v3, v2
	v_mul_f32_e32 v7, v6, v5
	v_fma_f32 v8, -v4, v7, v6
	v_fmac_f32_e32 v7, v8, v5
	v_fma_f32 v4, -v4, v7, v6
	v_div_fmas_f32 v4, v4, v5, v7
	v_div_fixup_f32 v3, v4, v3, v2
	v_mul_f32_e32 v3, v1, v3
.LBB49_32:
	s_branch .LBB49_34
.LBB49_33:
	s_cmp_lg_u32 s2, 1
	s_mov_b32 s0, -1
	s_cselect_b32 s1, -1, 0
.LBB49_34:
	s_andn2_b32 vcc_lo, exec_lo, s1
	s_cbranch_vccz .LBB49_36
; %bb.35:
	s_andn2_b32 vcc_lo, exec_lo, s0
	s_cbranch_vccz .LBB49_37
	s_branch .LBB49_42
.LBB49_36:
	v_mul_f32_e32 v3, v2, v1
	s_cbranch_execnz .LBB49_42
.LBB49_37:
	v_mul_f32_e32 v3, 0x3d372713, v2
	v_mul_f32_e32 v4, 0x3f4c422a, v2
	v_fma_f32 v3, v2, v3, 1.0
	v_mul_f32_e32 v3, v4, v3
                                        ; implicit-def: $vgpr4
	v_cmp_ngt_f32_e64 s0, 0x3f200000, |v3|
	s_and_saveexec_b32 s1, s0
	s_xor_b32 s0, exec_lo, s1
	s_cbranch_execz .LBB49_39
; %bb.38:
	v_add_f32_e64 v4, |v3|, |v3|
	v_mul_f32_e32 v5, 0x3fb8aa3b, v4
	v_cmp_ngt_f32_e32 vcc_lo, 0xc2ce8ed0, v4
	v_rndne_f32_e32 v6, v5
	v_fma_f32 v7, 0x3fb8aa3b, v4, -v5
	v_sub_f32_e32 v5, v5, v6
	v_fmamk_f32 v7, v4, 0x32a5705f, v7
	v_cvt_i32_f32_e32 v6, v6
	v_add_f32_e32 v5, v5, v7
	v_exp_f32_e32 v5, v5
	v_ldexp_f32 v5, v5, v6
	v_cndmask_b32_e32 v5, 0, v5, vcc_lo
	v_cmp_nlt_f32_e32 vcc_lo, 0x42b17218, v4
	v_cndmask_b32_e32 v4, 0x7f800000, v5, vcc_lo
	v_add_f32_e32 v4, 1.0, v4
	v_rcp_f32_e32 v4, v4
	v_fma_f32 v4, v4, -2.0, 1.0
.LBB49_39:
	s_andn2_saveexec_b32 s0, s0
	s_cbranch_execz .LBB49_41
; %bb.40:
	v_mul_f32_e32 v4, v3, v3
	s_mov_b32 s1, 0xbbbac73d
	v_fmaak_f32 v5, s1, v4, 0x3ca908c9
	v_fmaak_f32 v5, v4, v5, 0xbd5c1c4e
	;; [unrolled: 1-line block ×4, first 2 shown]
	v_mul_f32_e64 v5, |v3|, v5
	v_fma_f32 v4, v4, v5, |v3|
.LBB49_41:
	s_or_b32 exec_lo, exec_lo, s0
	v_bfi_b32 v3, 0x7fffffff, v4, v3
	v_mul_f32_e32 v2, 0.5, v2
	v_add_f32_e32 v3, 1.0, v3
	v_mul_f32_e32 v2, v2, v3
	v_mul_f32_e32 v3, v1, v2
.LBB49_42:
	v_mov_b32_e32 v1, v3
.LBB49_43:
	s_load_dwordx2 s[0:1], s[4:5], 0x38
	s_mul_i32 s2, s22, s10
	s_mul_i32 s3, s26, s8
	s_add_i32 s2, s2, s6
	v_lshlrev_b32_e32 v0, 2, v0
	s_add_i32 s2, s2, s3
	s_mov_b32 s3, 0
	s_lshl_b64 s[2:3], s[2:3], 2
	s_waitcnt lgkmcnt(0)
	s_add_u32 s0, s0, s2
	s_addc_u32 s1, s1, s3
	global_store_dword v0, v1, s[0:1]
.LBB49_44:
	s_endpgm
	.section	.rodata,"a",@progbits
	.p2align	6, 0x0
	.amdhsa_kernel _ZL13mul_mat_vec_qIL9ggml_type7ELi1ELb1ELb1EEvPKvS2_PKi31ggml_cuda_mm_fusion_args_devicePfj15HIP_vector_typeIjLj3EEjjjS8_jjjS8_jjjj
		.amdhsa_group_segment_fixed_size 0
		.amdhsa_private_segment_fixed_size 0
		.amdhsa_kernarg_size 144
		.amdhsa_user_sgpr_count 6
		.amdhsa_user_sgpr_private_segment_buffer 1
		.amdhsa_user_sgpr_dispatch_ptr 0
		.amdhsa_user_sgpr_queue_ptr 0
		.amdhsa_user_sgpr_kernarg_segment_ptr 1
		.amdhsa_user_sgpr_dispatch_id 0
		.amdhsa_user_sgpr_flat_scratch_init 0
		.amdhsa_user_sgpr_private_segment_size 0
		.amdhsa_wavefront_size32 1
		.amdhsa_uses_dynamic_stack 0
		.amdhsa_system_sgpr_private_segment_wavefront_offset 0
		.amdhsa_system_sgpr_workgroup_id_x 1
		.amdhsa_system_sgpr_workgroup_id_y 1
		.amdhsa_system_sgpr_workgroup_id_z 1
		.amdhsa_system_sgpr_workgroup_info 0
		.amdhsa_system_vgpr_workitem_id 1
		.amdhsa_next_free_vgpr 45
		.amdhsa_next_free_sgpr 40
		.amdhsa_reserve_vcc 1
		.amdhsa_reserve_flat_scratch 0
		.amdhsa_float_round_mode_32 0
		.amdhsa_float_round_mode_16_64 0
		.amdhsa_float_denorm_mode_32 3
		.amdhsa_float_denorm_mode_16_64 3
		.amdhsa_dx10_clamp 1
		.amdhsa_ieee_mode 1
		.amdhsa_fp16_overflow 0
		.amdhsa_workgroup_processor_mode 1
		.amdhsa_memory_ordered 1
		.amdhsa_forward_progress 1
		.amdhsa_shared_vgpr_count 0
		.amdhsa_exception_fp_ieee_invalid_op 0
		.amdhsa_exception_fp_denorm_src 0
		.amdhsa_exception_fp_ieee_div_zero 0
		.amdhsa_exception_fp_ieee_overflow 0
		.amdhsa_exception_fp_ieee_underflow 0
		.amdhsa_exception_fp_ieee_inexact 0
		.amdhsa_exception_int_div_zero 0
	.end_amdhsa_kernel
	.section	.text._ZL13mul_mat_vec_qIL9ggml_type7ELi1ELb1ELb1EEvPKvS2_PKi31ggml_cuda_mm_fusion_args_devicePfj15HIP_vector_typeIjLj3EEjjjS8_jjjS8_jjjj,"axG",@progbits,_ZL13mul_mat_vec_qIL9ggml_type7ELi1ELb1ELb1EEvPKvS2_PKi31ggml_cuda_mm_fusion_args_devicePfj15HIP_vector_typeIjLj3EEjjjS8_jjjS8_jjjj,comdat
.Lfunc_end49:
	.size	_ZL13mul_mat_vec_qIL9ggml_type7ELi1ELb1ELb1EEvPKvS2_PKi31ggml_cuda_mm_fusion_args_devicePfj15HIP_vector_typeIjLj3EEjjjS8_jjjS8_jjjj, .Lfunc_end49-_ZL13mul_mat_vec_qIL9ggml_type7ELi1ELb1ELb1EEvPKvS2_PKi31ggml_cuda_mm_fusion_args_devicePfj15HIP_vector_typeIjLj3EEjjjS8_jjjS8_jjjj
                                        ; -- End function
	.set _ZL13mul_mat_vec_qIL9ggml_type7ELi1ELb1ELb1EEvPKvS2_PKi31ggml_cuda_mm_fusion_args_devicePfj15HIP_vector_typeIjLj3EEjjjS8_jjjS8_jjjj.num_vgpr, 45
	.set _ZL13mul_mat_vec_qIL9ggml_type7ELi1ELb1ELb1EEvPKvS2_PKi31ggml_cuda_mm_fusion_args_devicePfj15HIP_vector_typeIjLj3EEjjjS8_jjjS8_jjjj.num_agpr, 0
	.set _ZL13mul_mat_vec_qIL9ggml_type7ELi1ELb1ELb1EEvPKvS2_PKi31ggml_cuda_mm_fusion_args_devicePfj15HIP_vector_typeIjLj3EEjjjS8_jjjS8_jjjj.numbered_sgpr, 40
	.set _ZL13mul_mat_vec_qIL9ggml_type7ELi1ELb1ELb1EEvPKvS2_PKi31ggml_cuda_mm_fusion_args_devicePfj15HIP_vector_typeIjLj3EEjjjS8_jjjS8_jjjj.num_named_barrier, 0
	.set _ZL13mul_mat_vec_qIL9ggml_type7ELi1ELb1ELb1EEvPKvS2_PKi31ggml_cuda_mm_fusion_args_devicePfj15HIP_vector_typeIjLj3EEjjjS8_jjjS8_jjjj.private_seg_size, 0
	.set _ZL13mul_mat_vec_qIL9ggml_type7ELi1ELb1ELb1EEvPKvS2_PKi31ggml_cuda_mm_fusion_args_devicePfj15HIP_vector_typeIjLj3EEjjjS8_jjjS8_jjjj.uses_vcc, 1
	.set _ZL13mul_mat_vec_qIL9ggml_type7ELi1ELb1ELb1EEvPKvS2_PKi31ggml_cuda_mm_fusion_args_devicePfj15HIP_vector_typeIjLj3EEjjjS8_jjjS8_jjjj.uses_flat_scratch, 0
	.set _ZL13mul_mat_vec_qIL9ggml_type7ELi1ELb1ELb1EEvPKvS2_PKi31ggml_cuda_mm_fusion_args_devicePfj15HIP_vector_typeIjLj3EEjjjS8_jjjS8_jjjj.has_dyn_sized_stack, 0
	.set _ZL13mul_mat_vec_qIL9ggml_type7ELi1ELb1ELb1EEvPKvS2_PKi31ggml_cuda_mm_fusion_args_devicePfj15HIP_vector_typeIjLj3EEjjjS8_jjjS8_jjjj.has_recursion, 0
	.set _ZL13mul_mat_vec_qIL9ggml_type7ELi1ELb1ELb1EEvPKvS2_PKi31ggml_cuda_mm_fusion_args_devicePfj15HIP_vector_typeIjLj3EEjjjS8_jjjS8_jjjj.has_indirect_call, 0
	.section	.AMDGPU.csdata,"",@progbits
; Kernel info:
; codeLenInByte = 2680
; TotalNumSgprs: 42
; NumVgprs: 45
; ScratchSize: 0
; MemoryBound: 0
; FloatMode: 240
; IeeeMode: 1
; LDSByteSize: 0 bytes/workgroup (compile time only)
; SGPRBlocks: 0
; VGPRBlocks: 5
; NumSGPRsForWavesPerEU: 42
; NumVGPRsForWavesPerEU: 45
; Occupancy: 16
; WaveLimiterHint : 0
; COMPUTE_PGM_RSRC2:SCRATCH_EN: 0
; COMPUTE_PGM_RSRC2:USER_SGPR: 6
; COMPUTE_PGM_RSRC2:TRAP_HANDLER: 0
; COMPUTE_PGM_RSRC2:TGID_X_EN: 1
; COMPUTE_PGM_RSRC2:TGID_Y_EN: 1
; COMPUTE_PGM_RSRC2:TGID_Z_EN: 1
; COMPUTE_PGM_RSRC2:TIDIG_COMP_CNT: 1
	.section	.text._ZL13mul_mat_vec_qIL9ggml_type7ELi1ELb0ELb1EEvPKvS2_PKi31ggml_cuda_mm_fusion_args_devicePfj15HIP_vector_typeIjLj3EEjjjS8_jjjS8_jjjj,"axG",@progbits,_ZL13mul_mat_vec_qIL9ggml_type7ELi1ELb0ELb1EEvPKvS2_PKi31ggml_cuda_mm_fusion_args_devicePfj15HIP_vector_typeIjLj3EEjjjS8_jjjS8_jjjj,comdat
	.globl	_ZL13mul_mat_vec_qIL9ggml_type7ELi1ELb0ELb1EEvPKvS2_PKi31ggml_cuda_mm_fusion_args_devicePfj15HIP_vector_typeIjLj3EEjjjS8_jjjS8_jjjj ; -- Begin function _ZL13mul_mat_vec_qIL9ggml_type7ELi1ELb0ELb1EEvPKvS2_PKi31ggml_cuda_mm_fusion_args_devicePfj15HIP_vector_typeIjLj3EEjjjS8_jjjS8_jjjj
	.p2align	8
	.type	_ZL13mul_mat_vec_qIL9ggml_type7ELi1ELb0ELb1EEvPKvS2_PKi31ggml_cuda_mm_fusion_args_devicePfj15HIP_vector_typeIjLj3EEjjjS8_jjjS8_jjjj,@function
_ZL13mul_mat_vec_qIL9ggml_type7ELi1ELb0ELb1EEvPKvS2_PKi31ggml_cuda_mm_fusion_args_devicePfj15HIP_vector_typeIjLj3EEjjjS8_jjjS8_jjjj: ; @_ZL13mul_mat_vec_qIL9ggml_type7ELi1ELb0ELb1EEvPKvS2_PKi31ggml_cuda_mm_fusion_args_devicePfj15HIP_vector_typeIjLj3EEjjjS8_jjjS8_jjjj
; %bb.0:
	s_clause 0x1
	s_load_dwordx2 s[0:1], s[4:5], 0x10
	s_load_dwordx4 s[16:19], s[4:5], 0x40
	s_mov_b32 s10, s7
	s_waitcnt lgkmcnt(0)
	s_cmp_lg_u64 s[0:1], 0
	s_cselect_b32 s7, -1, 0
	s_cmp_eq_u64 s[0:1], 0
	s_cbranch_scc1 .LBB50_5
; %bb.1:
	s_mov_b32 s11, 0
	s_lshl_b64 s[2:3], s[10:11], 2
	s_add_u32 s0, s0, s2
	s_addc_u32 s1, s1, s3
	s_load_dword s20, s[0:1], 0x0
	s_clause 0x1
	s_load_dwordx4 s[0:3], s[4:5], 0x68
	s_load_dword s21, s[4:5], 0x50
	s_cbranch_execnz .LBB50_3
.LBB50_2:
	s_load_dwordx2 s[12:13], s[4:5], 0x5c
	s_waitcnt lgkmcnt(0)
	s_mul_hi_u32 s9, s12, s10
	s_add_i32 s9, s10, s9
	s_lshr_b32 s20, s9, s13
.LBB50_3:
	s_load_dword s11, s[4:5], 0x78
	s_andn2_b32 vcc_lo, exec_lo, s7
	s_cbranch_vccnz .LBB50_6
; %bb.4:
	s_mul_hi_u32 s7, s17, s10
	s_add_i32 s7, s10, s7
	s_lshr_b32 s7, s7, s18
	s_mul_i32 s7, s7, s19
	s_sub_i32 s22, s10, s7
	s_branch .LBB50_7
.LBB50_5:
                                        ; implicit-def: $sgpr20
	s_clause 0x1
	s_load_dwordx4 s[0:3], s[4:5], 0x68
	s_load_dword s21, s[4:5], 0x50
	s_branch .LBB50_2
.LBB50_6:
	s_mov_b32 s22, s10
.LBB50_7:
	s_load_dwordx4 s[12:15], s[4:5], 0x80
	v_lshl_or_b32 v2, v1, 5, v0
	v_mov_b32_e32 v4, 0
	s_lshr_b32 s9, s16, 5
	s_mov_b32 s7, exec_lo
	v_lshrrev_b16 v3, 1, v2
	v_and_b32_e32 v5, 0xffff, v3
	v_cmpx_gt_u32_e64 s9, v5
	s_cbranch_execz .LBB50_11
; %bb.8:
	s_load_dwordx4 s[16:19], s[4:5], 0x0
	s_waitcnt lgkmcnt(0)
	s_mul_hi_u32 s3, s3, s8
	v_lshlrev_b32_e32 v3, 1, v0
	s_add_i32 s3, s8, s3
	s_mul_i32 s21, s21, s6
	s_lshr_b32 s3, s3, s11
	s_mul_i32 s13, s13, s8
	s_mul_i32 s3, s3, s12
	s_mul_i32 s0, s20, s0
	s_add_i32 s3, s3, s21
	v_and_b32_e32 v9, 2, v3
	s_mul_i32 s11, s22, s1
	s_add_i32 s1, s0, s3
	s_mul_i32 s3, s13, 36
	s_mul_hi_u32 s12, s13, 36
	v_lshrrev_b32_e32 v2, 1, v2
	s_mul_hi_u32 s0, s11, 36
	s_mul_i32 s11, s11, 36
	v_lshlrev_b32_e32 v6, 2, v9
	v_and_b32_e32 v8, 1, v0
	s_add_u32 s3, s18, s3
	s_addc_u32 s13, s19, s12
	s_add_u32 s12, s3, s11
	s_addc_u32 s13, s13, s0
	v_mov_b32_e32 v4, 0
	v_mad_u64_u32 v[2:3], null, v2, 36, s[12:13]
	v_or_b32_e32 v7, 4, v6
	v_lshlrev_b32_e32 v8, 3, v8
	v_lshlrev_b32_e32 v9, 2, v9
	s_mov_b32 s3, 0
.LBB50_9:                               ; =>This Inner Loop Header: Depth=1
	v_add_nc_u32_e32 v10, s1, v5
	v_mov_b32_e32 v19, 0
	v_add_nc_u32_e32 v5, 16, v5
	v_mad_i64_i32 v[10:11], null, v10, 24, s[16:17]
	v_add_co_u32 v12, vcc_lo, v10, v9
	v_add_co_ci_u32_e64 v13, null, 0, v11, vcc_lo
	v_add_co_u32 v14, vcc_lo, v2, v8
	s_clause 0x1
	global_load_dwordx2 v[10:11], v[10:11], off
	global_load_dwordx2 v[12:13], v[12:13], off offset:8
	v_add_co_ci_u32_e64 v15, null, 0, v3, vcc_lo
	s_clause 0x2
	global_load_dwordx2 v[16:17], v[14:15], off offset:4
	global_load_dwordx2 v[14:15], v[14:15], off offset:20
	global_load_dword v18, v[2:3], off
	v_cmp_le_u32_e32 vcc_lo, s9, v5
	v_add_co_u32 v2, s0, 0x240, v2
	v_add_co_ci_u32_e64 v3, null, 0, v3, s0
	s_or_b32 s3, vcc_lo, s3
	s_waitcnt vmcnt(4)
	v_ashrrev_i32_e32 v20, v6, v11
	v_ashrrev_i32_e32 v11, v7, v11
	s_waitcnt vmcnt(3)
	v_and_b32_e32 v21, 0xf0f0f0f, v12
	v_lshrrev_b32_e32 v12, 4, v12
	v_and_b32_e32 v29, 0xf0f0f0f, v13
	v_lshlrev_b32_e32 v22, 4, v20
	v_lshlrev_b32_e32 v23, 11, v20
	;; [unrolled: 1-line block ×4, first 2 shown]
	v_lshrrev_b32_e32 v26, 12, v20
	v_lshrrev_b32_e32 v27, 5, v20
	v_lshlrev_b32_e32 v28, 2, v20
	v_and_b32_e32 v22, 16, v22
	v_and_b32_e32 v23, 0x1000, v23
	v_lshlrev_b32_e32 v20, 9, v20
	v_lshlrev_b32_e32 v30, 4, v11
	v_lshlrev_b32_e32 v31, 11, v11
	v_lshlrev_b32_e32 v32, 18, v11
	v_and_b32_e32 v24, 0x100000, v24
	v_and_b32_e32 v25, 0x10000000, v25
	;; [unrolled: 1-line block ×5, first 2 shown]
	v_or3_b32 v21, v22, v21, v23
	v_lshlrev_b32_e32 v33, 25, v11
	v_lshrrev_b32_e32 v34, 12, v11
	v_lshrrev_b32_e32 v35, 5, v11
	v_lshlrev_b32_e32 v36, 2, v11
	v_and_b32_e32 v12, 0xf0f0f0f, v12
	v_and_b32_e32 v20, 0x10000000, v20
	;; [unrolled: 1-line block ×5, first 2 shown]
	v_or3_b32 v22, v27, v26, v28
	v_or3_b32 v21, v21, v24, v25
	v_lshrrev_b32_e32 v13, 4, v13
	v_lshlrev_b32_e32 v11, 9, v11
	v_and_b32_e32 v33, 0x10000000, v33
	v_and_b32_e32 v34, 16, v34
	;; [unrolled: 1-line block ×4, first 2 shown]
	v_or3_b32 v23, v31, v30, v32
	v_or3_b32 v12, v22, v20, v12
	s_waitcnt vmcnt(2)
	v_dot4c_i32_i8 v19, v21, v16
	v_and_b32_e32 v13, 0xf0f0f0f, v13
	v_and_b32_e32 v11, 0x10000000, v11
	v_or3_b32 v16, v35, v34, v36
	v_or3_b32 v20, v23, v33, v29
	s_waitcnt vmcnt(1)
	v_dot4c_i32_i8 v19, v12, v14
	s_waitcnt vmcnt(0)
	v_pk_mul_f16 v10, v10, v18
	v_or3_b32 v11, v16, v11, v13
	v_dot4c_i32_i8 v19, v20, v17
	v_cvt_f32_f16_sdwa v12, v10 dst_sel:DWORD dst_unused:UNUSED_PAD src0_sel:WORD_1
	v_dot4c_i32_i8 v19, v11, v15
	v_mul_f32_e32 v11, 0.5, v12
	v_cvt_f32_i32_e32 v12, v19
	v_fma_mix_f32 v10, v12, v10, v11 op_sel_hi:[0,1,0]
	v_add_f32_e32 v4, v4, v10
	s_andn2_b32 exec_lo, exec_lo, s3
	s_cbranch_execnz .LBB50_9
; %bb.10:
	s_or_b32 exec_lo, exec_lo, s3
.LBB50_11:
	s_or_b32 exec_lo, exec_lo, s7
	s_waitcnt lgkmcnt(0)
	; wave barrier
	buffer_gl0_inv
	s_mov_b32 s0, exec_lo
	v_cmpx_eq_u32_e32 0, v1
	s_cbranch_execz .LBB50_14
; %bb.12:
	v_mbcnt_lo_u32_b32 v1, -1, 0
	v_xor_b32_e32 v2, 16, v1
	v_xor_b32_e32 v3, 8, v1
	v_cmp_gt_i32_e32 vcc_lo, 32, v2
	v_cndmask_b32_e32 v2, v1, v2, vcc_lo
	v_cmp_gt_i32_e32 vcc_lo, 32, v3
	v_lshlrev_b32_e32 v2, 2, v2
	v_cndmask_b32_e32 v3, v1, v3, vcc_lo
	ds_bpermute_b32 v2, v2, v4
	v_lshlrev_b32_e32 v3, 2, v3
	s_waitcnt lgkmcnt(0)
	v_add_f32_e32 v2, v4, v2
	v_xor_b32_e32 v4, 4, v1
	ds_bpermute_b32 v3, v3, v2
	v_cmp_gt_i32_e32 vcc_lo, 32, v4
	v_cndmask_b32_e32 v4, v1, v4, vcc_lo
	v_lshlrev_b32_e32 v4, 2, v4
	s_waitcnt lgkmcnt(0)
	v_add_f32_e32 v2, v2, v3
	ds_bpermute_b32 v3, v4, v2
	v_xor_b32_e32 v4, 2, v1
	v_cmp_gt_i32_e32 vcc_lo, 32, v4
	v_cndmask_b32_e32 v4, v1, v4, vcc_lo
	v_lshlrev_b32_e32 v4, 2, v4
	s_waitcnt lgkmcnt(0)
	v_add_f32_e32 v2, v2, v3
	ds_bpermute_b32 v3, v4, v2
	v_xor_b32_e32 v4, 1, v1
	v_cmp_gt_i32_e32 vcc_lo, 32, v4
	v_cndmask_b32_e32 v1, v1, v4, vcc_lo
	v_cmp_eq_u32_e32 vcc_lo, 0, v0
	v_lshlrev_b32_e32 v4, 2, v1
	s_waitcnt lgkmcnt(0)
	v_add_f32_e32 v1, v2, v3
	ds_bpermute_b32 v2, v4, v1
	s_and_b32 exec_lo, exec_lo, vcc_lo
	s_cbranch_execz .LBB50_14
; %bb.13:
	s_load_dwordx2 s[0:1], s[4:5], 0x38
	s_mul_i32 s2, s2, s10
	s_mul_i32 s3, s14, s8
	s_add_i32 s2, s2, s6
	s_waitcnt lgkmcnt(0)
	v_add_f32_e32 v0, v1, v2
	s_add_i32 s2, s2, s3
	s_mov_b32 s3, 0
	v_mov_b32_e32 v1, 0
	s_lshl_b64 s[2:3], s[2:3], 2
	s_add_u32 s0, s0, s2
	s_addc_u32 s1, s1, s3
	global_store_dword v1, v0, s[0:1]
.LBB50_14:
	s_endpgm
	.section	.rodata,"a",@progbits
	.p2align	6, 0x0
	.amdhsa_kernel _ZL13mul_mat_vec_qIL9ggml_type7ELi1ELb0ELb1EEvPKvS2_PKi31ggml_cuda_mm_fusion_args_devicePfj15HIP_vector_typeIjLj3EEjjjS8_jjjS8_jjjj
		.amdhsa_group_segment_fixed_size 0
		.amdhsa_private_segment_fixed_size 0
		.amdhsa_kernarg_size 144
		.amdhsa_user_sgpr_count 6
		.amdhsa_user_sgpr_private_segment_buffer 1
		.amdhsa_user_sgpr_dispatch_ptr 0
		.amdhsa_user_sgpr_queue_ptr 0
		.amdhsa_user_sgpr_kernarg_segment_ptr 1
		.amdhsa_user_sgpr_dispatch_id 0
		.amdhsa_user_sgpr_flat_scratch_init 0
		.amdhsa_user_sgpr_private_segment_size 0
		.amdhsa_wavefront_size32 1
		.amdhsa_uses_dynamic_stack 0
		.amdhsa_system_sgpr_private_segment_wavefront_offset 0
		.amdhsa_system_sgpr_workgroup_id_x 1
		.amdhsa_system_sgpr_workgroup_id_y 1
		.amdhsa_system_sgpr_workgroup_id_z 1
		.amdhsa_system_sgpr_workgroup_info 0
		.amdhsa_system_vgpr_workitem_id 1
		.amdhsa_next_free_vgpr 37
		.amdhsa_next_free_sgpr 23
		.amdhsa_reserve_vcc 1
		.amdhsa_reserve_flat_scratch 0
		.amdhsa_float_round_mode_32 0
		.amdhsa_float_round_mode_16_64 0
		.amdhsa_float_denorm_mode_32 3
		.amdhsa_float_denorm_mode_16_64 3
		.amdhsa_dx10_clamp 1
		.amdhsa_ieee_mode 1
		.amdhsa_fp16_overflow 0
		.amdhsa_workgroup_processor_mode 1
		.amdhsa_memory_ordered 1
		.amdhsa_forward_progress 1
		.amdhsa_shared_vgpr_count 0
		.amdhsa_exception_fp_ieee_invalid_op 0
		.amdhsa_exception_fp_denorm_src 0
		.amdhsa_exception_fp_ieee_div_zero 0
		.amdhsa_exception_fp_ieee_overflow 0
		.amdhsa_exception_fp_ieee_underflow 0
		.amdhsa_exception_fp_ieee_inexact 0
		.amdhsa_exception_int_div_zero 0
	.end_amdhsa_kernel
	.section	.text._ZL13mul_mat_vec_qIL9ggml_type7ELi1ELb0ELb1EEvPKvS2_PKi31ggml_cuda_mm_fusion_args_devicePfj15HIP_vector_typeIjLj3EEjjjS8_jjjS8_jjjj,"axG",@progbits,_ZL13mul_mat_vec_qIL9ggml_type7ELi1ELb0ELb1EEvPKvS2_PKi31ggml_cuda_mm_fusion_args_devicePfj15HIP_vector_typeIjLj3EEjjjS8_jjjS8_jjjj,comdat
.Lfunc_end50:
	.size	_ZL13mul_mat_vec_qIL9ggml_type7ELi1ELb0ELb1EEvPKvS2_PKi31ggml_cuda_mm_fusion_args_devicePfj15HIP_vector_typeIjLj3EEjjjS8_jjjS8_jjjj, .Lfunc_end50-_ZL13mul_mat_vec_qIL9ggml_type7ELi1ELb0ELb1EEvPKvS2_PKi31ggml_cuda_mm_fusion_args_devicePfj15HIP_vector_typeIjLj3EEjjjS8_jjjS8_jjjj
                                        ; -- End function
	.set _ZL13mul_mat_vec_qIL9ggml_type7ELi1ELb0ELb1EEvPKvS2_PKi31ggml_cuda_mm_fusion_args_devicePfj15HIP_vector_typeIjLj3EEjjjS8_jjjS8_jjjj.num_vgpr, 37
	.set _ZL13mul_mat_vec_qIL9ggml_type7ELi1ELb0ELb1EEvPKvS2_PKi31ggml_cuda_mm_fusion_args_devicePfj15HIP_vector_typeIjLj3EEjjjS8_jjjS8_jjjj.num_agpr, 0
	.set _ZL13mul_mat_vec_qIL9ggml_type7ELi1ELb0ELb1EEvPKvS2_PKi31ggml_cuda_mm_fusion_args_devicePfj15HIP_vector_typeIjLj3EEjjjS8_jjjS8_jjjj.numbered_sgpr, 23
	.set _ZL13mul_mat_vec_qIL9ggml_type7ELi1ELb0ELb1EEvPKvS2_PKi31ggml_cuda_mm_fusion_args_devicePfj15HIP_vector_typeIjLj3EEjjjS8_jjjS8_jjjj.num_named_barrier, 0
	.set _ZL13mul_mat_vec_qIL9ggml_type7ELi1ELb0ELb1EEvPKvS2_PKi31ggml_cuda_mm_fusion_args_devicePfj15HIP_vector_typeIjLj3EEjjjS8_jjjS8_jjjj.private_seg_size, 0
	.set _ZL13mul_mat_vec_qIL9ggml_type7ELi1ELb0ELb1EEvPKvS2_PKi31ggml_cuda_mm_fusion_args_devicePfj15HIP_vector_typeIjLj3EEjjjS8_jjjS8_jjjj.uses_vcc, 1
	.set _ZL13mul_mat_vec_qIL9ggml_type7ELi1ELb0ELb1EEvPKvS2_PKi31ggml_cuda_mm_fusion_args_devicePfj15HIP_vector_typeIjLj3EEjjjS8_jjjS8_jjjj.uses_flat_scratch, 0
	.set _ZL13mul_mat_vec_qIL9ggml_type7ELi1ELb0ELb1EEvPKvS2_PKi31ggml_cuda_mm_fusion_args_devicePfj15HIP_vector_typeIjLj3EEjjjS8_jjjS8_jjjj.has_dyn_sized_stack, 0
	.set _ZL13mul_mat_vec_qIL9ggml_type7ELi1ELb0ELb1EEvPKvS2_PKi31ggml_cuda_mm_fusion_args_devicePfj15HIP_vector_typeIjLj3EEjjjS8_jjjS8_jjjj.has_recursion, 0
	.set _ZL13mul_mat_vec_qIL9ggml_type7ELi1ELb0ELb1EEvPKvS2_PKi31ggml_cuda_mm_fusion_args_devicePfj15HIP_vector_typeIjLj3EEjjjS8_jjjS8_jjjj.has_indirect_call, 0
	.section	.AMDGPU.csdata,"",@progbits
; Kernel info:
; codeLenInByte = 1136
; TotalNumSgprs: 25
; NumVgprs: 37
; ScratchSize: 0
; MemoryBound: 0
; FloatMode: 240
; IeeeMode: 1
; LDSByteSize: 0 bytes/workgroup (compile time only)
; SGPRBlocks: 0
; VGPRBlocks: 4
; NumSGPRsForWavesPerEU: 25
; NumVGPRsForWavesPerEU: 37
; Occupancy: 16
; WaveLimiterHint : 0
; COMPUTE_PGM_RSRC2:SCRATCH_EN: 0
; COMPUTE_PGM_RSRC2:USER_SGPR: 6
; COMPUTE_PGM_RSRC2:TRAP_HANDLER: 0
; COMPUTE_PGM_RSRC2:TGID_X_EN: 1
; COMPUTE_PGM_RSRC2:TGID_Y_EN: 1
; COMPUTE_PGM_RSRC2:TGID_Z_EN: 1
; COMPUTE_PGM_RSRC2:TIDIG_COMP_CNT: 1
	.section	.text._ZL13mul_mat_vec_qIL9ggml_type7ELi1ELb1ELb0EEvPKvS2_PKi31ggml_cuda_mm_fusion_args_devicePfj15HIP_vector_typeIjLj3EEjjjS8_jjjS8_jjjj,"axG",@progbits,_ZL13mul_mat_vec_qIL9ggml_type7ELi1ELb1ELb0EEvPKvS2_PKi31ggml_cuda_mm_fusion_args_devicePfj15HIP_vector_typeIjLj3EEjjjS8_jjjS8_jjjj,comdat
	.globl	_ZL13mul_mat_vec_qIL9ggml_type7ELi1ELb1ELb0EEvPKvS2_PKi31ggml_cuda_mm_fusion_args_devicePfj15HIP_vector_typeIjLj3EEjjjS8_jjjS8_jjjj ; -- Begin function _ZL13mul_mat_vec_qIL9ggml_type7ELi1ELb1ELb0EEvPKvS2_PKi31ggml_cuda_mm_fusion_args_devicePfj15HIP_vector_typeIjLj3EEjjjS8_jjjS8_jjjj
	.p2align	8
	.type	_ZL13mul_mat_vec_qIL9ggml_type7ELi1ELb1ELb0EEvPKvS2_PKi31ggml_cuda_mm_fusion_args_devicePfj15HIP_vector_typeIjLj3EEjjjS8_jjjS8_jjjj,@function
_ZL13mul_mat_vec_qIL9ggml_type7ELi1ELb1ELb0EEvPKvS2_PKi31ggml_cuda_mm_fusion_args_devicePfj15HIP_vector_typeIjLj3EEjjjS8_jjjS8_jjjj: ; @_ZL13mul_mat_vec_qIL9ggml_type7ELi1ELb1ELb0EEvPKvS2_PKi31ggml_cuda_mm_fusion_args_devicePfj15HIP_vector_typeIjLj3EEjjjS8_jjjS8_jjjj
; %bb.0:
	s_clause 0x3
	s_load_dwordx8 s[12:19], s[4:5], 0x0
	s_load_dwordx4 s[28:31], s[4:5], 0x20
	s_load_dwordx4 s[36:39], s[4:5], 0x40
	;; [unrolled: 1-line block ×3, first 2 shown]
	s_mov_b32 s10, s7
	s_waitcnt lgkmcnt(0)
	s_cmp_lg_u64 s[16:17], 0
	s_cselect_b32 s0, -1, 0
	s_cmp_eq_u64 s[16:17], 0
	s_cbranch_scc1 .LBB51_5
; %bb.1:
	s_mov_b32 s11, 0
	s_lshl_b64 s[2:3], s[10:11], 2
	s_add_u32 s2, s16, s2
	s_addc_u32 s3, s17, s3
	s_load_dword s33, s[2:3], 0x0
	s_clause 0x1
	s_load_dword s34, s[4:5], 0x50
	s_load_dword s35, s[4:5], 0x78
	s_cbranch_execnz .LBB51_3
.LBB51_2:
	s_load_dwordx2 s[2:3], s[4:5], 0x5c
	s_waitcnt lgkmcnt(0)
	s_mul_hi_u32 s1, s2, s10
	s_add_i32 s1, s10, s1
	s_lshr_b32 s33, s1, s3
.LBB51_3:
	s_andn2_b32 vcc_lo, exec_lo, s0
	s_cbranch_vccnz .LBB51_6
; %bb.4:
	s_mul_hi_u32 s0, s37, s10
	s_waitcnt lgkmcnt(0)
	s_mov_b32 s1, s33
	s_add_i32 s0, s10, s0
	s_lshr_b32 s0, s0, s38
	s_mul_i32 s0, s0, s39
	s_sub_i32 s11, s10, s0
	s_branch .LBB51_7
.LBB51_5:
                                        ; implicit-def: $sgpr33
	s_clause 0x1
	s_load_dword s34, s[4:5], 0x50
	s_load_dword s35, s[4:5], 0x78
	s_branch .LBB51_2
.LBB51_6:
	s_mov_b32 s1, s10
	s_mov_b32 s11, s10
.LBB51_7:
	s_load_dwordx4 s[24:27], s[4:5], 0x80
	v_or_b32_e32 v2, v0, v1
	s_cmp_lg_u64 s[18:19], 0
	v_mov_b32_e32 v12, 0
	v_mov_b32_e32 v13, 0
	s_cselect_b32 s0, -1, 0
	v_cmp_eq_u32_e32 vcc_lo, 0, v2
	s_mov_b32 s17, 0
	s_mul_i32 s2, s1, s22
	s_and_b32 s3, s0, vcc_lo
	s_and_saveexec_b32 s1, s3
	s_cbranch_execz .LBB51_9
; %bb.8:
	s_waitcnt lgkmcnt(0)
	s_mul_i32 s16, s26, s8
	s_mov_b32 s3, s17
	s_lshl_b64 s[38:39], s[16:17], 2
	v_lshlrev_b32_e32 v2, 2, v0
	s_add_u32 s7, s18, s38
	s_addc_u32 s9, s19, s39
	s_lshl_b64 s[16:17], s[2:3], 2
	s_add_u32 s3, s7, s16
	s_addc_u32 s9, s9, s17
	s_ashr_i32 s7, s6, 31
	s_lshl_b64 s[16:17], s[6:7], 2
	s_add_u32 s16, s3, s16
	s_addc_u32 s17, s9, s17
	global_load_dword v13, v2, s[16:17]
.LBB51_9:
	s_or_b32 exec_lo, exec_lo, s1
	s_cmp_lg_u64 s[28:29], 0
	s_cselect_b32 s9, -1, 0
	s_cmp_lg_u64 s[30:31], 0
	s_cselect_b32 s1, -1, 0
	s_and_b32 s3, s1, s9
	s_and_b32 s3, s3, vcc_lo
	s_and_saveexec_b32 s16, s3
	s_cbranch_execz .LBB51_11
; %bb.10:
	s_waitcnt lgkmcnt(0)
	s_mul_i32 s18, s26, s8
	s_mov_b32 s19, 0
	v_lshlrev_b32_e32 v2, 2, v0
	s_lshl_b64 s[38:39], s[18:19], 2
	s_mov_b32 s3, s19
	s_add_u32 s7, s30, s38
	s_addc_u32 s17, s31, s39
	s_lshl_b64 s[2:3], s[2:3], 2
	s_add_u32 s18, s7, s2
	s_addc_u32 s17, s17, s3
	s_ashr_i32 s7, s6, 31
	s_lshl_b64 s[2:3], s[6:7], 2
	s_add_u32 s2, s18, s2
	s_addc_u32 s3, s17, s3
	global_load_dword v12, v2, s[2:3]
.LBB51_11:
	s_or_b32 exec_lo, exec_lo, s16
	v_lshl_or_b32 v2, v1, 5, v0
	v_mov_b32_e32 v16, 0
	v_cndmask_b32_e64 v14, 0, 1, s9
	v_mov_b32_e32 v15, 0
	s_lshr_b32 s3, s36, 5
	v_lshrrev_b16 v3, 1, v2
	s_mov_b32 s7, exec_lo
	v_and_b32_e32 v17, 0xffff, v3
	v_cmpx_gt_u32_e64 s3, v17
	s_cbranch_execz .LBB51_17
; %bb.12:
	s_mul_hi_u32 s16, s23, s8
	s_mul_i32 s17, s11, s21
	s_add_i32 s11, s8, s16
	v_lshlrev_b32_e32 v3, 1, v0
	s_waitcnt lgkmcnt(0)
	s_lshr_b32 s11, s11, s35
	s_mul_i32 s34, s34, s6
	s_mul_i32 s11, s11, s24
	;; [unrolled: 1-line block ×4, first 2 shown]
	s_add_i32 s11, s11, s34
	v_and_b32_e32 v4, 2, v3
	s_mul_i32 s18, s2, 36
	s_add_i32 s11, s16, s11
	s_mul_hi_u32 s2, s2, 36
	v_lshrrev_b32_e32 v2, 1, v2
	s_mul_hi_u32 s16, s17, 36
	s_mul_i32 s17, s17, 36
	s_add_u32 s14, s14, s18
	s_addc_u32 s2, s15, s2
	s_add_u32 s14, s14, s17
	v_lshlrev_b32_e32 v18, 2, v4
	v_and_b32_e32 v5, 1, v0
	s_addc_u32 s15, s2, s16
	v_mov_b32_e32 v16, 0
	v_mad_u64_u32 v[2:3], null, v2, 36, s[14:15]
	v_or_b32_e32 v19, 4, v18
	v_lshlrev_b32_e32 v20, 3, v5
	v_lshlrev_b32_e32 v21, 2, v4
	v_mov_b32_e32 v15, 0
	s_mov_b32 s14, 0
	s_branch .LBB51_14
.LBB51_13:                              ;   in Loop: Header=BB51_14 Depth=1
	s_waitcnt vmcnt(4)
	v_ashrrev_i32_e32 v23, v18, v5
	s_waitcnt vmcnt(3)
	v_and_b32_e32 v24, 0xf0f0f0f, v10
	v_mov_b32_e32 v25, 0
	v_lshrrev_b32_e32 v10, 4, v10
	v_ashrrev_i32_e32 v5, v19, v5
	v_lshlrev_b32_e32 v26, 4, v23
	v_lshlrev_b32_e32 v27, 11, v23
	;; [unrolled: 1-line block ×4, first 2 shown]
	v_lshrrev_b32_e32 v30, 12, v23
	v_and_b32_e32 v26, 16, v26
	v_and_b32_e32 v27, 0x1000, v27
	v_lshrrev_b32_e32 v31, 5, v23
	v_lshlrev_b32_e32 v32, 2, v23
	v_and_b32_e32 v28, 0x100000, v28
	v_and_b32_e32 v29, 0x10000000, v29
	v_or3_b32 v24, v26, v24, v27
	v_lshlrev_b32_e32 v23, 9, v23
	v_and_b32_e32 v26, 16, v30
	v_and_b32_e32 v27, 0x1000, v31
	;; [unrolled: 1-line block ×3, first 2 shown]
	v_or3_b32 v24, v24, v28, v29
	v_and_b32_e32 v10, 0xf0f0f0f, v10
	v_and_b32_e32 v23, 0x10000000, v23
	v_lshrrev_b32_e32 v28, 12, v5
	v_or3_b32 v26, v27, v26, v30
	s_waitcnt vmcnt(2)
	v_dot4c_i32_i8 v25, v24, v8
	v_lshlrev_b32_e32 v8, 4, v5
	v_lshlrev_b32_e32 v24, 11, v5
	;; [unrolled: 1-line block ×3, first 2 shown]
	v_or3_b32 v10, v26, v23, v10
	v_lshlrev_b32_e32 v23, 25, v5
	v_and_b32_e32 v8, 16, v8
	v_and_b32_e32 v24, 0x1000, v24
	;; [unrolled: 1-line block ×3, first 2 shown]
	v_lshrrev_b32_e32 v29, 5, v5
	v_and_b32_e32 v27, 0xf0f0f0f, v11
	v_and_b32_e32 v23, 0x10000000, v23
	v_lshrrev_b32_e32 v11, 4, v11
	v_or3_b32 v8, v24, v8, v26
	v_lshlrev_b32_e32 v24, 2, v5
	v_and_b32_e32 v26, 16, v28
	v_and_b32_e32 v28, 0x1000, v29
	v_lshlrev_b32_e32 v5, 9, v5
	s_waitcnt vmcnt(1)
	v_dot4c_i32_i8 v25, v10, v6
	v_and_b32_e32 v24, 0x100000, v24
	v_or3_b32 v6, v8, v23, v27
	v_and_b32_e32 v8, 0xf0f0f0f, v11
	v_and_b32_e32 v5, 0x10000000, v5
	s_waitcnt vmcnt(0)
	v_pk_mul_f16 v4, v4, v22
	v_or3_b32 v10, v28, v26, v24
	v_dot4c_i32_i8 v25, v6, v9
	v_add_nc_u32_e32 v17, 16, v17
	v_add_co_u32 v2, s2, 0x240, v2
	v_or3_b32 v5, v10, v5, v8
	v_add_co_ci_u32_e64 v3, null, 0, v3, s2
	v_cmp_le_u32_e32 vcc_lo, s3, v17
	v_dot4c_i32_i8 v25, v5, v7
	v_cvt_f32_f16_sdwa v5, v4 dst_sel:DWORD dst_unused:UNUSED_PAD src0_sel:WORD_1
	s_or_b32 s14, vcc_lo, s14
	v_cvt_f32_i32_e32 v6, v25
	v_mul_f32_e32 v5, 0.5, v5
	v_fma_mix_f32 v4, v6, v4, v5 op_sel_hi:[0,1,0]
	v_add_f32_e32 v16, v16, v4
	s_andn2_b32 exec_lo, exec_lo, s14
	s_cbranch_execz .LBB51_16
.LBB51_14:                              ; =>This Inner Loop Header: Depth=1
	v_add_nc_u32_e32 v23, s11, v17
	v_mad_i64_i32 v[4:5], null, v23, 24, s[12:13]
	v_add_co_u32 v6, vcc_lo, v4, v21
	v_add_co_ci_u32_e64 v7, null, 0, v5, vcc_lo
	v_add_co_u32 v24, vcc_lo, v2, v20
	v_add_co_ci_u32_e64 v25, null, 0, v3, vcc_lo
	s_clause 0x1
	global_load_dwordx2 v[4:5], v[4:5], off
	global_load_dwordx2 v[10:11], v[6:7], off offset:8
	s_clause 0x2
	global_load_dwordx2 v[8:9], v[24:25], off offset:4
	global_load_dwordx2 v[6:7], v[24:25], off offset:20
	global_load_dword v22, v[2:3], off
	s_andn2_b32 vcc_lo, exec_lo, s9
	s_cbranch_vccnz .LBB51_13
; %bb.15:                               ;   in Loop: Header=BB51_14 Depth=1
	v_mad_i64_i32 v[23:24], null, v23, 24, s[28:29]
	v_mov_b32_e32 v28, 0
	v_add_co_u32 v25, vcc_lo, v23, v21
	v_add_co_ci_u32_e64 v26, null, 0, v24, vcc_lo
	s_clause 0x1
	global_load_dwordx2 v[23:24], v[23:24], off
	global_load_dwordx2 v[25:26], v[25:26], off offset:8
	s_waitcnt vmcnt(1)
	v_ashrrev_i32_e32 v27, v18, v24
	v_ashrrev_i32_e32 v24, v19, v24
	s_waitcnt vmcnt(0)
	v_and_b32_e32 v29, 0xf0f0f0f, v25
	v_lshrrev_b32_e32 v25, 4, v25
	v_and_b32_e32 v37, 0xf0f0f0f, v26
	v_lshlrev_b32_e32 v30, 4, v27
	v_lshlrev_b32_e32 v31, 11, v27
	;; [unrolled: 1-line block ×4, first 2 shown]
	v_lshrrev_b32_e32 v34, 12, v27
	v_lshrrev_b32_e32 v35, 5, v27
	v_lshlrev_b32_e32 v36, 2, v27
	v_and_b32_e32 v30, 16, v30
	v_and_b32_e32 v31, 0x1000, v31
	v_lshlrev_b32_e32 v27, 9, v27
	v_lshlrev_b32_e32 v38, 4, v24
	;; [unrolled: 1-line block ×3, first 2 shown]
	v_and_b32_e32 v32, 0x100000, v32
	v_and_b32_e32 v33, 0x10000000, v33
	;; [unrolled: 1-line block ×5, first 2 shown]
	v_or3_b32 v29, v30, v29, v31
	v_lshlrev_b32_e32 v40, 18, v24
	v_lshlrev_b32_e32 v41, 25, v24
	v_lshrrev_b32_e32 v42, 12, v24
	v_lshrrev_b32_e32 v43, 5, v24
	v_lshlrev_b32_e32 v44, 2, v24
	v_and_b32_e32 v25, 0xf0f0f0f, v25
	v_and_b32_e32 v27, 0x10000000, v27
	;; [unrolled: 1-line block ×4, first 2 shown]
	v_or3_b32 v34, v35, v34, v36
	v_or3_b32 v29, v29, v32, v33
	v_lshrrev_b32_e32 v26, 4, v26
	v_lshlrev_b32_e32 v24, 9, v24
	v_and_b32_e32 v30, 0x100000, v40
	v_and_b32_e32 v31, 0x10000000, v41
	;; [unrolled: 1-line block ×5, first 2 shown]
	v_or3_b32 v35, v38, v37, v39
	v_or3_b32 v25, v34, v27, v25
	v_dot4c_i32_i8 v28, v29, v8
	v_and_b32_e32 v26, 0xf0f0f0f, v26
	v_and_b32_e32 v24, 0x10000000, v24
	v_or3_b32 v27, v32, v40, v33
	v_or3_b32 v29, v35, v30, v31
	v_dot4c_i32_i8 v28, v25, v6
	v_pk_mul_f16 v23, v22, v23
	v_or3_b32 v24, v27, v24, v26
	v_dot4c_i32_i8 v28, v29, v9
	v_dot4c_i32_i8 v28, v24, v7
	v_cvt_f32_f16_sdwa v24, v23 dst_sel:DWORD dst_unused:UNUSED_PAD src0_sel:WORD_1
	v_cvt_f32_i32_e32 v25, v28
	v_mul_f32_e32 v24, 0.5, v24
	v_fma_mix_f32 v23, v25, v23, v24 op_sel_hi:[0,1,0]
	v_add_f32_e32 v15, v15, v23
	s_branch .LBB51_13
.LBB51_16:
	s_or_b32 exec_lo, exec_lo, s14
.LBB51_17:
	s_or_b32 exec_lo, exec_lo, s7
	s_load_dword s2, s[4:5], 0x30
	s_waitcnt vmcnt(0) lgkmcnt(0)
	; wave barrier
	buffer_gl0_inv
	s_mov_b32 s3, exec_lo
	v_cmpx_eq_u32_e32 0, v1
	s_cbranch_execz .LBB51_44
; %bb.18:
	v_mbcnt_lo_u32_b32 v2, -1, 0
	v_xor_b32_e32 v1, 16, v2
	v_xor_b32_e32 v4, 8, v2
	;; [unrolled: 1-line block ×3, first 2 shown]
	v_cmp_gt_i32_e32 vcc_lo, 32, v1
	v_cndmask_b32_e32 v1, v2, v1, vcc_lo
	v_cmp_gt_i32_e32 vcc_lo, 32, v4
	v_lshlrev_b32_e32 v1, 2, v1
	v_cndmask_b32_e32 v4, v2, v4, vcc_lo
	v_cmp_gt_i32_e32 vcc_lo, 32, v5
	ds_bpermute_b32 v3, v1, v16
	v_lshlrev_b32_e32 v4, 2, v4
	v_cndmask_b32_e32 v5, v2, v5, vcc_lo
	v_lshlrev_b32_e32 v5, 2, v5
	s_waitcnt lgkmcnt(0)
	v_add_f32_e32 v3, v16, v3
	ds_bpermute_b32 v6, v4, v3
	s_waitcnt lgkmcnt(0)
	v_add_f32_e32 v3, v3, v6
	v_xor_b32_e32 v6, 2, v2
	ds_bpermute_b32 v7, v5, v3
	v_cmp_gt_i32_e32 vcc_lo, 32, v6
	v_cndmask_b32_e32 v6, v2, v6, vcc_lo
	v_lshlrev_b32_e32 v6, 2, v6
	s_waitcnt lgkmcnt(0)
	v_add_f32_e32 v3, v3, v7
	v_xor_b32_e32 v7, 1, v2
	ds_bpermute_b32 v8, v6, v3
	v_cmp_gt_i32_e32 vcc_lo, 32, v7
	v_cndmask_b32_e32 v2, v2, v7, vcc_lo
	v_cmp_ne_u32_e32 vcc_lo, 1, v14
	v_lshlrev_b32_e32 v7, 2, v2
	s_waitcnt lgkmcnt(0)
	v_add_f32_e32 v2, v3, v8
	ds_bpermute_b32 v3, v7, v2
	s_cbranch_vccnz .LBB51_20
; %bb.19:
	ds_bpermute_b32 v1, v1, v15
	s_waitcnt lgkmcnt(0)
	v_add_f32_e32 v1, v15, v1
	ds_bpermute_b32 v4, v4, v1
	s_waitcnt lgkmcnt(0)
	v_add_f32_e32 v1, v1, v4
	ds_bpermute_b32 v4, v5, v1
	s_waitcnt lgkmcnt(0)
	v_add_f32_e32 v1, v1, v4
	ds_bpermute_b32 v4, v6, v1
	s_waitcnt lgkmcnt(0)
	v_add_f32_e32 v1, v1, v4
	ds_bpermute_b32 v4, v7, v1
	s_waitcnt lgkmcnt(0)
	v_add_f32_e32 v15, v1, v4
.LBB51_20:
	v_cmp_eq_u32_e32 vcc_lo, 0, v0
	s_and_b32 exec_lo, exec_lo, vcc_lo
	s_cbranch_execz .LBB51_44
; %bb.21:
	s_waitcnt lgkmcnt(0)
	v_add_f32_e32 v1, v2, v3
	v_cmp_ne_u32_e32 vcc_lo, 1, v14
	v_add_f32_e32 v2, v13, v1
	v_cndmask_b32_e64 v1, v1, v2, s0
	s_cbranch_vccnz .LBB51_43
; %bb.22:
	v_add_f32_e32 v2, v12, v15
	s_cmp_lt_i32 s2, 2
	s_mov_b32 s0, 0
	v_cndmask_b32_e64 v2, v15, v2, s1
	s_cbranch_scc1 .LBB51_26
; %bb.23:
	s_cmp_gt_i32 s2, 2
	s_cbranch_scc0 .LBB51_27
; %bb.24:
	s_cmp_eq_u32 s2, 3
	s_cbranch_scc0 .LBB51_28
; %bb.25:
	v_max_f32_e32 v3, v2, v2
	s_mov_b32 s1, 0
	v_min_f32_e32 v3, 0x40e00000, v3
	v_mul_f32_e32 v4, 0xbfd9db23, v3
	v_mul_f32_e32 v5, 0x3fb8aa3b, v4
	v_cmp_ngt_f32_e32 vcc_lo, 0xc2ce8ed0, v4
	v_fma_f32 v6, 0x3fb8aa3b, v4, -v5
	v_rndne_f32_e32 v7, v5
	v_fmamk_f32 v6, v4, 0x32a5705f, v6
	v_sub_f32_e32 v5, v5, v7
	v_add_f32_e32 v5, v5, v6
	v_cvt_i32_f32_e32 v6, v7
	v_exp_f32_e32 v5, v5
	v_ldexp_f32 v5, v5, v6
	v_cndmask_b32_e32 v5, 0, v5, vcc_lo
	v_cmp_nlt_f32_e32 vcc_lo, 0x42b17218, v4
	v_cndmask_b32_e32 v4, 0x7f800000, v5, vcc_lo
	v_add_f32_e32 v4, 1.0, v4
	v_div_scale_f32 v5, null, v4, v4, v3
	v_div_scale_f32 v8, vcc_lo, v3, v4, v3
	v_rcp_f32_e32 v6, v5
	v_fma_f32 v7, -v5, v6, 1.0
	v_fmac_f32_e32 v6, v7, v6
	v_mul_f32_e32 v7, v8, v6
	v_fma_f32 v9, -v5, v7, v8
	v_fmac_f32_e32 v7, v9, v6
	v_max_f32_e32 v9, v1, v1
	v_fma_f32 v5, -v5, v7, v8
	v_min_f32_e32 v8, 0x40e00000, v9
	v_div_fmas_f32 v5, v5, v6, v7
	v_max_f32_e32 v6, 0xc0e00000, v8
	v_div_fixup_f32 v3, v5, v4, v3
	v_add_f32_e32 v4, 1.0, v6
	v_mul_f32_e32 v3, v4, v3
	s_branch .LBB51_29
.LBB51_26:
	s_mov_b32 s1, 0
                                        ; implicit-def: $vgpr3
	s_cbranch_execnz .LBB51_33
	s_branch .LBB51_34
.LBB51_27:
	s_mov_b32 s3, -1
	s_mov_b32 s1, 0
                                        ; implicit-def: $vgpr3
	s_branch .LBB51_30
.LBB51_28:
	s_mov_b32 s1, -1
                                        ; implicit-def: $vgpr3
.LBB51_29:
	s_mov_b32 s3, 0
.LBB51_30:
	s_and_b32 vcc_lo, exec_lo, s3
	s_cbranch_vccz .LBB51_32
; %bb.31:
	v_mul_f32_e32 v3, 0xbfb8aa3b, v2
	v_cmp_nlt_f32_e32 vcc_lo, 0x42ce8ed0, v2
	v_rndne_f32_e32 v4, v3
	v_fma_f32 v5, 0xbfb8aa3b, v2, -v3
	v_sub_f32_e32 v3, v3, v4
	v_fmamk_f32 v5, v2, 0xb2a5705f, v5
	v_cvt_i32_f32_e32 v4, v4
	v_add_f32_e32 v3, v3, v5
	v_exp_f32_e32 v3, v3
	v_ldexp_f32 v3, v3, v4
	v_cndmask_b32_e32 v3, 0, v3, vcc_lo
	v_cmp_ngt_f32_e32 vcc_lo, 0xc2b17218, v2
	v_cndmask_b32_e32 v3, 0x7f800000, v3, vcc_lo
	v_add_f32_e32 v3, 1.0, v3
	v_div_scale_f32 v4, null, v3, v3, v2
	v_rcp_f32_e32 v5, v4
	v_fma_f32 v6, -v4, v5, 1.0
	v_fmac_f32_e32 v5, v6, v5
	v_div_scale_f32 v6, vcc_lo, v2, v3, v2
	v_mul_f32_e32 v7, v6, v5
	v_fma_f32 v8, -v4, v7, v6
	v_fmac_f32_e32 v7, v8, v5
	v_fma_f32 v4, -v4, v7, v6
	v_div_fmas_f32 v4, v4, v5, v7
	v_div_fixup_f32 v3, v4, v3, v2
	v_mul_f32_e32 v3, v1, v3
.LBB51_32:
	s_branch .LBB51_34
.LBB51_33:
	s_cmp_lg_u32 s2, 1
	s_mov_b32 s0, -1
	s_cselect_b32 s1, -1, 0
.LBB51_34:
	s_andn2_b32 vcc_lo, exec_lo, s1
	s_cbranch_vccz .LBB51_36
; %bb.35:
	s_andn2_b32 vcc_lo, exec_lo, s0
	s_cbranch_vccz .LBB51_37
	s_branch .LBB51_42
.LBB51_36:
	v_mul_f32_e32 v3, v2, v1
	s_cbranch_execnz .LBB51_42
.LBB51_37:
	v_mul_f32_e32 v3, 0x3d372713, v2
	v_mul_f32_e32 v4, 0x3f4c422a, v2
	v_fma_f32 v3, v2, v3, 1.0
	v_mul_f32_e32 v3, v4, v3
                                        ; implicit-def: $vgpr4
	v_cmp_ngt_f32_e64 s0, 0x3f200000, |v3|
	s_and_saveexec_b32 s1, s0
	s_xor_b32 s0, exec_lo, s1
	s_cbranch_execz .LBB51_39
; %bb.38:
	v_add_f32_e64 v4, |v3|, |v3|
	v_mul_f32_e32 v5, 0x3fb8aa3b, v4
	v_cmp_ngt_f32_e32 vcc_lo, 0xc2ce8ed0, v4
	v_rndne_f32_e32 v6, v5
	v_fma_f32 v7, 0x3fb8aa3b, v4, -v5
	v_sub_f32_e32 v5, v5, v6
	v_fmamk_f32 v7, v4, 0x32a5705f, v7
	v_cvt_i32_f32_e32 v6, v6
	v_add_f32_e32 v5, v5, v7
	v_exp_f32_e32 v5, v5
	v_ldexp_f32 v5, v5, v6
	v_cndmask_b32_e32 v5, 0, v5, vcc_lo
	v_cmp_nlt_f32_e32 vcc_lo, 0x42b17218, v4
	v_cndmask_b32_e32 v4, 0x7f800000, v5, vcc_lo
	v_add_f32_e32 v4, 1.0, v4
	v_rcp_f32_e32 v4, v4
	v_fma_f32 v4, v4, -2.0, 1.0
.LBB51_39:
	s_andn2_saveexec_b32 s0, s0
	s_cbranch_execz .LBB51_41
; %bb.40:
	v_mul_f32_e32 v4, v3, v3
	s_mov_b32 s1, 0xbbbac73d
	v_fmaak_f32 v5, s1, v4, 0x3ca908c9
	v_fmaak_f32 v5, v4, v5, 0xbd5c1c4e
	;; [unrolled: 1-line block ×4, first 2 shown]
	v_mul_f32_e64 v5, |v3|, v5
	v_fma_f32 v4, v4, v5, |v3|
.LBB51_41:
	s_or_b32 exec_lo, exec_lo, s0
	v_bfi_b32 v3, 0x7fffffff, v4, v3
	v_mul_f32_e32 v2, 0.5, v2
	v_add_f32_e32 v3, 1.0, v3
	v_mul_f32_e32 v2, v2, v3
	v_mul_f32_e32 v3, v1, v2
.LBB51_42:
	v_mov_b32_e32 v1, v3
.LBB51_43:
	s_load_dwordx2 s[0:1], s[4:5], 0x38
	s_mul_i32 s2, s22, s10
	s_mul_i32 s3, s26, s8
	s_add_i32 s2, s2, s6
	v_lshlrev_b32_e32 v0, 2, v0
	s_add_i32 s2, s2, s3
	s_mov_b32 s3, 0
	s_lshl_b64 s[2:3], s[2:3], 2
	s_waitcnt lgkmcnt(0)
	s_add_u32 s0, s0, s2
	s_addc_u32 s1, s1, s3
	global_store_dword v0, v1, s[0:1]
.LBB51_44:
	s_endpgm
	.section	.rodata,"a",@progbits
	.p2align	6, 0x0
	.amdhsa_kernel _ZL13mul_mat_vec_qIL9ggml_type7ELi1ELb1ELb0EEvPKvS2_PKi31ggml_cuda_mm_fusion_args_devicePfj15HIP_vector_typeIjLj3EEjjjS8_jjjS8_jjjj
		.amdhsa_group_segment_fixed_size 0
		.amdhsa_private_segment_fixed_size 0
		.amdhsa_kernarg_size 144
		.amdhsa_user_sgpr_count 6
		.amdhsa_user_sgpr_private_segment_buffer 1
		.amdhsa_user_sgpr_dispatch_ptr 0
		.amdhsa_user_sgpr_queue_ptr 0
		.amdhsa_user_sgpr_kernarg_segment_ptr 1
		.amdhsa_user_sgpr_dispatch_id 0
		.amdhsa_user_sgpr_flat_scratch_init 0
		.amdhsa_user_sgpr_private_segment_size 0
		.amdhsa_wavefront_size32 1
		.amdhsa_uses_dynamic_stack 0
		.amdhsa_system_sgpr_private_segment_wavefront_offset 0
		.amdhsa_system_sgpr_workgroup_id_x 1
		.amdhsa_system_sgpr_workgroup_id_y 1
		.amdhsa_system_sgpr_workgroup_id_z 1
		.amdhsa_system_sgpr_workgroup_info 0
		.amdhsa_system_vgpr_workitem_id 1
		.amdhsa_next_free_vgpr 45
		.amdhsa_next_free_sgpr 40
		.amdhsa_reserve_vcc 1
		.amdhsa_reserve_flat_scratch 0
		.amdhsa_float_round_mode_32 0
		.amdhsa_float_round_mode_16_64 0
		.amdhsa_float_denorm_mode_32 3
		.amdhsa_float_denorm_mode_16_64 3
		.amdhsa_dx10_clamp 1
		.amdhsa_ieee_mode 1
		.amdhsa_fp16_overflow 0
		.amdhsa_workgroup_processor_mode 1
		.amdhsa_memory_ordered 1
		.amdhsa_forward_progress 1
		.amdhsa_shared_vgpr_count 0
		.amdhsa_exception_fp_ieee_invalid_op 0
		.amdhsa_exception_fp_denorm_src 0
		.amdhsa_exception_fp_ieee_div_zero 0
		.amdhsa_exception_fp_ieee_overflow 0
		.amdhsa_exception_fp_ieee_underflow 0
		.amdhsa_exception_fp_ieee_inexact 0
		.amdhsa_exception_int_div_zero 0
	.end_amdhsa_kernel
	.section	.text._ZL13mul_mat_vec_qIL9ggml_type7ELi1ELb1ELb0EEvPKvS2_PKi31ggml_cuda_mm_fusion_args_devicePfj15HIP_vector_typeIjLj3EEjjjS8_jjjS8_jjjj,"axG",@progbits,_ZL13mul_mat_vec_qIL9ggml_type7ELi1ELb1ELb0EEvPKvS2_PKi31ggml_cuda_mm_fusion_args_devicePfj15HIP_vector_typeIjLj3EEjjjS8_jjjS8_jjjj,comdat
.Lfunc_end51:
	.size	_ZL13mul_mat_vec_qIL9ggml_type7ELi1ELb1ELb0EEvPKvS2_PKi31ggml_cuda_mm_fusion_args_devicePfj15HIP_vector_typeIjLj3EEjjjS8_jjjS8_jjjj, .Lfunc_end51-_ZL13mul_mat_vec_qIL9ggml_type7ELi1ELb1ELb0EEvPKvS2_PKi31ggml_cuda_mm_fusion_args_devicePfj15HIP_vector_typeIjLj3EEjjjS8_jjjS8_jjjj
                                        ; -- End function
	.set _ZL13mul_mat_vec_qIL9ggml_type7ELi1ELb1ELb0EEvPKvS2_PKi31ggml_cuda_mm_fusion_args_devicePfj15HIP_vector_typeIjLj3EEjjjS8_jjjS8_jjjj.num_vgpr, 45
	.set _ZL13mul_mat_vec_qIL9ggml_type7ELi1ELb1ELb0EEvPKvS2_PKi31ggml_cuda_mm_fusion_args_devicePfj15HIP_vector_typeIjLj3EEjjjS8_jjjS8_jjjj.num_agpr, 0
	.set _ZL13mul_mat_vec_qIL9ggml_type7ELi1ELb1ELb0EEvPKvS2_PKi31ggml_cuda_mm_fusion_args_devicePfj15HIP_vector_typeIjLj3EEjjjS8_jjjS8_jjjj.numbered_sgpr, 40
	.set _ZL13mul_mat_vec_qIL9ggml_type7ELi1ELb1ELb0EEvPKvS2_PKi31ggml_cuda_mm_fusion_args_devicePfj15HIP_vector_typeIjLj3EEjjjS8_jjjS8_jjjj.num_named_barrier, 0
	.set _ZL13mul_mat_vec_qIL9ggml_type7ELi1ELb1ELb0EEvPKvS2_PKi31ggml_cuda_mm_fusion_args_devicePfj15HIP_vector_typeIjLj3EEjjjS8_jjjS8_jjjj.private_seg_size, 0
	.set _ZL13mul_mat_vec_qIL9ggml_type7ELi1ELb1ELb0EEvPKvS2_PKi31ggml_cuda_mm_fusion_args_devicePfj15HIP_vector_typeIjLj3EEjjjS8_jjjS8_jjjj.uses_vcc, 1
	.set _ZL13mul_mat_vec_qIL9ggml_type7ELi1ELb1ELb0EEvPKvS2_PKi31ggml_cuda_mm_fusion_args_devicePfj15HIP_vector_typeIjLj3EEjjjS8_jjjS8_jjjj.uses_flat_scratch, 0
	.set _ZL13mul_mat_vec_qIL9ggml_type7ELi1ELb1ELb0EEvPKvS2_PKi31ggml_cuda_mm_fusion_args_devicePfj15HIP_vector_typeIjLj3EEjjjS8_jjjS8_jjjj.has_dyn_sized_stack, 0
	.set _ZL13mul_mat_vec_qIL9ggml_type7ELi1ELb1ELb0EEvPKvS2_PKi31ggml_cuda_mm_fusion_args_devicePfj15HIP_vector_typeIjLj3EEjjjS8_jjjS8_jjjj.has_recursion, 0
	.set _ZL13mul_mat_vec_qIL9ggml_type7ELi1ELb1ELb0EEvPKvS2_PKi31ggml_cuda_mm_fusion_args_devicePfj15HIP_vector_typeIjLj3EEjjjS8_jjjS8_jjjj.has_indirect_call, 0
	.section	.AMDGPU.csdata,"",@progbits
; Kernel info:
; codeLenInByte = 2680
; TotalNumSgprs: 42
; NumVgprs: 45
; ScratchSize: 0
; MemoryBound: 0
; FloatMode: 240
; IeeeMode: 1
; LDSByteSize: 0 bytes/workgroup (compile time only)
; SGPRBlocks: 0
; VGPRBlocks: 5
; NumSGPRsForWavesPerEU: 42
; NumVGPRsForWavesPerEU: 45
; Occupancy: 16
; WaveLimiterHint : 0
; COMPUTE_PGM_RSRC2:SCRATCH_EN: 0
; COMPUTE_PGM_RSRC2:USER_SGPR: 6
; COMPUTE_PGM_RSRC2:TRAP_HANDLER: 0
; COMPUTE_PGM_RSRC2:TGID_X_EN: 1
; COMPUTE_PGM_RSRC2:TGID_Y_EN: 1
; COMPUTE_PGM_RSRC2:TGID_Z_EN: 1
; COMPUTE_PGM_RSRC2:TIDIG_COMP_CNT: 1
	.section	.text._ZL13mul_mat_vec_qIL9ggml_type7ELi1ELb0ELb0EEvPKvS2_PKi31ggml_cuda_mm_fusion_args_devicePfj15HIP_vector_typeIjLj3EEjjjS8_jjjS8_jjjj,"axG",@progbits,_ZL13mul_mat_vec_qIL9ggml_type7ELi1ELb0ELb0EEvPKvS2_PKi31ggml_cuda_mm_fusion_args_devicePfj15HIP_vector_typeIjLj3EEjjjS8_jjjS8_jjjj,comdat
	.globl	_ZL13mul_mat_vec_qIL9ggml_type7ELi1ELb0ELb0EEvPKvS2_PKi31ggml_cuda_mm_fusion_args_devicePfj15HIP_vector_typeIjLj3EEjjjS8_jjjS8_jjjj ; -- Begin function _ZL13mul_mat_vec_qIL9ggml_type7ELi1ELb0ELb0EEvPKvS2_PKi31ggml_cuda_mm_fusion_args_devicePfj15HIP_vector_typeIjLj3EEjjjS8_jjjS8_jjjj
	.p2align	8
	.type	_ZL13mul_mat_vec_qIL9ggml_type7ELi1ELb0ELb0EEvPKvS2_PKi31ggml_cuda_mm_fusion_args_devicePfj15HIP_vector_typeIjLj3EEjjjS8_jjjS8_jjjj,@function
_ZL13mul_mat_vec_qIL9ggml_type7ELi1ELb0ELb0EEvPKvS2_PKi31ggml_cuda_mm_fusion_args_devicePfj15HIP_vector_typeIjLj3EEjjjS8_jjjS8_jjjj: ; @_ZL13mul_mat_vec_qIL9ggml_type7ELi1ELb0ELb0EEvPKvS2_PKi31ggml_cuda_mm_fusion_args_devicePfj15HIP_vector_typeIjLj3EEjjjS8_jjjS8_jjjj
; %bb.0:
	s_clause 0x1
	s_load_dwordx2 s[0:1], s[4:5], 0x10
	s_load_dwordx4 s[16:19], s[4:5], 0x40
	s_mov_b32 s10, s7
	s_waitcnt lgkmcnt(0)
	s_cmp_lg_u64 s[0:1], 0
	s_cselect_b32 s7, -1, 0
	s_cmp_eq_u64 s[0:1], 0
	s_cbranch_scc1 .LBB52_5
; %bb.1:
	s_mov_b32 s11, 0
	s_lshl_b64 s[2:3], s[10:11], 2
	s_add_u32 s0, s0, s2
	s_addc_u32 s1, s1, s3
	s_load_dword s20, s[0:1], 0x0
	s_clause 0x1
	s_load_dwordx4 s[0:3], s[4:5], 0x68
	s_load_dword s21, s[4:5], 0x50
	s_cbranch_execnz .LBB52_3
.LBB52_2:
	s_load_dwordx2 s[12:13], s[4:5], 0x5c
	s_waitcnt lgkmcnt(0)
	s_mul_hi_u32 s9, s12, s10
	s_add_i32 s9, s10, s9
	s_lshr_b32 s20, s9, s13
.LBB52_3:
	s_load_dword s11, s[4:5], 0x78
	s_andn2_b32 vcc_lo, exec_lo, s7
	s_cbranch_vccnz .LBB52_6
; %bb.4:
	s_mul_hi_u32 s7, s17, s10
	s_add_i32 s7, s10, s7
	s_lshr_b32 s7, s7, s18
	s_mul_i32 s7, s7, s19
	s_sub_i32 s22, s10, s7
	s_branch .LBB52_7
.LBB52_5:
                                        ; implicit-def: $sgpr20
	s_clause 0x1
	s_load_dwordx4 s[0:3], s[4:5], 0x68
	s_load_dword s21, s[4:5], 0x50
	s_branch .LBB52_2
.LBB52_6:
	s_mov_b32 s22, s10
.LBB52_7:
	s_load_dwordx4 s[12:15], s[4:5], 0x80
	v_lshl_or_b32 v2, v1, 5, v0
	v_mov_b32_e32 v4, 0
	s_lshr_b32 s9, s16, 5
	s_mov_b32 s7, exec_lo
	v_lshrrev_b16 v3, 1, v2
	v_and_b32_e32 v5, 0xffff, v3
	v_cmpx_gt_u32_e64 s9, v5
	s_cbranch_execz .LBB52_11
; %bb.8:
	s_load_dwordx4 s[16:19], s[4:5], 0x0
	s_waitcnt lgkmcnt(0)
	s_mul_hi_u32 s3, s3, s8
	v_lshlrev_b32_e32 v3, 1, v0
	s_add_i32 s3, s8, s3
	s_mul_i32 s21, s21, s6
	s_lshr_b32 s3, s3, s11
	s_mul_i32 s13, s13, s8
	s_mul_i32 s3, s3, s12
	;; [unrolled: 1-line block ×3, first 2 shown]
	s_add_i32 s3, s3, s21
	v_and_b32_e32 v9, 2, v3
	s_mul_i32 s11, s22, s1
	s_add_i32 s1, s0, s3
	s_mul_i32 s3, s13, 36
	s_mul_hi_u32 s12, s13, 36
	v_lshrrev_b32_e32 v2, 1, v2
	s_mul_hi_u32 s0, s11, 36
	s_mul_i32 s11, s11, 36
	v_lshlrev_b32_e32 v6, 2, v9
	v_and_b32_e32 v8, 1, v0
	s_add_u32 s3, s18, s3
	s_addc_u32 s13, s19, s12
	s_add_u32 s12, s3, s11
	s_addc_u32 s13, s13, s0
	v_mov_b32_e32 v4, 0
	v_mad_u64_u32 v[2:3], null, v2, 36, s[12:13]
	v_or_b32_e32 v7, 4, v6
	v_lshlrev_b32_e32 v8, 3, v8
	v_lshlrev_b32_e32 v9, 2, v9
	s_mov_b32 s3, 0
.LBB52_9:                               ; =>This Inner Loop Header: Depth=1
	v_add_nc_u32_e32 v10, s1, v5
	v_mov_b32_e32 v19, 0
	v_add_nc_u32_e32 v5, 16, v5
	v_mad_i64_i32 v[10:11], null, v10, 24, s[16:17]
	v_add_co_u32 v12, vcc_lo, v10, v9
	v_add_co_ci_u32_e64 v13, null, 0, v11, vcc_lo
	v_add_co_u32 v14, vcc_lo, v2, v8
	s_clause 0x1
	global_load_dwordx2 v[10:11], v[10:11], off
	global_load_dwordx2 v[12:13], v[12:13], off offset:8
	v_add_co_ci_u32_e64 v15, null, 0, v3, vcc_lo
	s_clause 0x2
	global_load_dwordx2 v[16:17], v[14:15], off offset:4
	global_load_dwordx2 v[14:15], v[14:15], off offset:20
	global_load_dword v18, v[2:3], off
	v_cmp_le_u32_e32 vcc_lo, s9, v5
	v_add_co_u32 v2, s0, 0x240, v2
	v_add_co_ci_u32_e64 v3, null, 0, v3, s0
	s_or_b32 s3, vcc_lo, s3
	s_waitcnt vmcnt(4)
	v_ashrrev_i32_e32 v20, v6, v11
	v_ashrrev_i32_e32 v11, v7, v11
	s_waitcnt vmcnt(3)
	v_and_b32_e32 v21, 0xf0f0f0f, v12
	v_lshrrev_b32_e32 v12, 4, v12
	v_and_b32_e32 v29, 0xf0f0f0f, v13
	v_lshlrev_b32_e32 v22, 4, v20
	v_lshlrev_b32_e32 v23, 11, v20
	;; [unrolled: 1-line block ×4, first 2 shown]
	v_lshrrev_b32_e32 v26, 12, v20
	v_lshrrev_b32_e32 v27, 5, v20
	v_lshlrev_b32_e32 v28, 2, v20
	v_and_b32_e32 v22, 16, v22
	v_and_b32_e32 v23, 0x1000, v23
	v_lshlrev_b32_e32 v20, 9, v20
	v_lshlrev_b32_e32 v30, 4, v11
	v_lshlrev_b32_e32 v31, 11, v11
	v_lshlrev_b32_e32 v32, 18, v11
	v_and_b32_e32 v24, 0x100000, v24
	v_and_b32_e32 v25, 0x10000000, v25
	v_and_b32_e32 v26, 16, v26
	v_and_b32_e32 v27, 0x1000, v27
	v_and_b32_e32 v28, 0x100000, v28
	v_or3_b32 v21, v22, v21, v23
	v_lshlrev_b32_e32 v33, 25, v11
	v_lshrrev_b32_e32 v34, 12, v11
	v_lshrrev_b32_e32 v35, 5, v11
	v_lshlrev_b32_e32 v36, 2, v11
	v_and_b32_e32 v12, 0xf0f0f0f, v12
	v_and_b32_e32 v20, 0x10000000, v20
	;; [unrolled: 1-line block ×5, first 2 shown]
	v_or3_b32 v22, v27, v26, v28
	v_or3_b32 v21, v21, v24, v25
	v_lshrrev_b32_e32 v13, 4, v13
	v_lshlrev_b32_e32 v11, 9, v11
	v_and_b32_e32 v33, 0x10000000, v33
	v_and_b32_e32 v34, 16, v34
	;; [unrolled: 1-line block ×4, first 2 shown]
	v_or3_b32 v23, v31, v30, v32
	v_or3_b32 v12, v22, v20, v12
	s_waitcnt vmcnt(2)
	v_dot4c_i32_i8 v19, v21, v16
	v_and_b32_e32 v13, 0xf0f0f0f, v13
	v_and_b32_e32 v11, 0x10000000, v11
	v_or3_b32 v16, v35, v34, v36
	v_or3_b32 v20, v23, v33, v29
	s_waitcnt vmcnt(1)
	v_dot4c_i32_i8 v19, v12, v14
	s_waitcnt vmcnt(0)
	v_pk_mul_f16 v10, v10, v18
	v_or3_b32 v11, v16, v11, v13
	v_dot4c_i32_i8 v19, v20, v17
	v_cvt_f32_f16_sdwa v12, v10 dst_sel:DWORD dst_unused:UNUSED_PAD src0_sel:WORD_1
	v_dot4c_i32_i8 v19, v11, v15
	v_mul_f32_e32 v11, 0.5, v12
	v_cvt_f32_i32_e32 v12, v19
	v_fma_mix_f32 v10, v12, v10, v11 op_sel_hi:[0,1,0]
	v_add_f32_e32 v4, v4, v10
	s_andn2_b32 exec_lo, exec_lo, s3
	s_cbranch_execnz .LBB52_9
; %bb.10:
	s_or_b32 exec_lo, exec_lo, s3
.LBB52_11:
	s_or_b32 exec_lo, exec_lo, s7
	s_waitcnt lgkmcnt(0)
	; wave barrier
	buffer_gl0_inv
	s_mov_b32 s0, exec_lo
	v_cmpx_eq_u32_e32 0, v1
	s_cbranch_execz .LBB52_14
; %bb.12:
	v_mbcnt_lo_u32_b32 v1, -1, 0
	v_xor_b32_e32 v2, 16, v1
	v_xor_b32_e32 v3, 8, v1
	v_cmp_gt_i32_e32 vcc_lo, 32, v2
	v_cndmask_b32_e32 v2, v1, v2, vcc_lo
	v_cmp_gt_i32_e32 vcc_lo, 32, v3
	v_lshlrev_b32_e32 v2, 2, v2
	v_cndmask_b32_e32 v3, v1, v3, vcc_lo
	ds_bpermute_b32 v2, v2, v4
	v_lshlrev_b32_e32 v3, 2, v3
	s_waitcnt lgkmcnt(0)
	v_add_f32_e32 v2, v4, v2
	v_xor_b32_e32 v4, 4, v1
	ds_bpermute_b32 v3, v3, v2
	v_cmp_gt_i32_e32 vcc_lo, 32, v4
	v_cndmask_b32_e32 v4, v1, v4, vcc_lo
	v_lshlrev_b32_e32 v4, 2, v4
	s_waitcnt lgkmcnt(0)
	v_add_f32_e32 v2, v2, v3
	ds_bpermute_b32 v3, v4, v2
	v_xor_b32_e32 v4, 2, v1
	v_cmp_gt_i32_e32 vcc_lo, 32, v4
	v_cndmask_b32_e32 v4, v1, v4, vcc_lo
	v_lshlrev_b32_e32 v4, 2, v4
	s_waitcnt lgkmcnt(0)
	v_add_f32_e32 v2, v2, v3
	ds_bpermute_b32 v3, v4, v2
	v_xor_b32_e32 v4, 1, v1
	v_cmp_gt_i32_e32 vcc_lo, 32, v4
	v_cndmask_b32_e32 v1, v1, v4, vcc_lo
	v_cmp_eq_u32_e32 vcc_lo, 0, v0
	v_lshlrev_b32_e32 v4, 2, v1
	s_waitcnt lgkmcnt(0)
	v_add_f32_e32 v1, v2, v3
	ds_bpermute_b32 v2, v4, v1
	s_and_b32 exec_lo, exec_lo, vcc_lo
	s_cbranch_execz .LBB52_14
; %bb.13:
	s_load_dwordx2 s[0:1], s[4:5], 0x38
	s_mul_i32 s2, s2, s10
	s_mul_i32 s3, s14, s8
	s_add_i32 s2, s2, s6
	s_waitcnt lgkmcnt(0)
	v_add_f32_e32 v0, v1, v2
	s_add_i32 s2, s2, s3
	s_mov_b32 s3, 0
	v_mov_b32_e32 v1, 0
	s_lshl_b64 s[2:3], s[2:3], 2
	s_add_u32 s0, s0, s2
	s_addc_u32 s1, s1, s3
	global_store_dword v1, v0, s[0:1]
.LBB52_14:
	s_endpgm
	.section	.rodata,"a",@progbits
	.p2align	6, 0x0
	.amdhsa_kernel _ZL13mul_mat_vec_qIL9ggml_type7ELi1ELb0ELb0EEvPKvS2_PKi31ggml_cuda_mm_fusion_args_devicePfj15HIP_vector_typeIjLj3EEjjjS8_jjjS8_jjjj
		.amdhsa_group_segment_fixed_size 0
		.amdhsa_private_segment_fixed_size 0
		.amdhsa_kernarg_size 144
		.amdhsa_user_sgpr_count 6
		.amdhsa_user_sgpr_private_segment_buffer 1
		.amdhsa_user_sgpr_dispatch_ptr 0
		.amdhsa_user_sgpr_queue_ptr 0
		.amdhsa_user_sgpr_kernarg_segment_ptr 1
		.amdhsa_user_sgpr_dispatch_id 0
		.amdhsa_user_sgpr_flat_scratch_init 0
		.amdhsa_user_sgpr_private_segment_size 0
		.amdhsa_wavefront_size32 1
		.amdhsa_uses_dynamic_stack 0
		.amdhsa_system_sgpr_private_segment_wavefront_offset 0
		.amdhsa_system_sgpr_workgroup_id_x 1
		.amdhsa_system_sgpr_workgroup_id_y 1
		.amdhsa_system_sgpr_workgroup_id_z 1
		.amdhsa_system_sgpr_workgroup_info 0
		.amdhsa_system_vgpr_workitem_id 1
		.amdhsa_next_free_vgpr 37
		.amdhsa_next_free_sgpr 23
		.amdhsa_reserve_vcc 1
		.amdhsa_reserve_flat_scratch 0
		.amdhsa_float_round_mode_32 0
		.amdhsa_float_round_mode_16_64 0
		.amdhsa_float_denorm_mode_32 3
		.amdhsa_float_denorm_mode_16_64 3
		.amdhsa_dx10_clamp 1
		.amdhsa_ieee_mode 1
		.amdhsa_fp16_overflow 0
		.amdhsa_workgroup_processor_mode 1
		.amdhsa_memory_ordered 1
		.amdhsa_forward_progress 1
		.amdhsa_shared_vgpr_count 0
		.amdhsa_exception_fp_ieee_invalid_op 0
		.amdhsa_exception_fp_denorm_src 0
		.amdhsa_exception_fp_ieee_div_zero 0
		.amdhsa_exception_fp_ieee_overflow 0
		.amdhsa_exception_fp_ieee_underflow 0
		.amdhsa_exception_fp_ieee_inexact 0
		.amdhsa_exception_int_div_zero 0
	.end_amdhsa_kernel
	.section	.text._ZL13mul_mat_vec_qIL9ggml_type7ELi1ELb0ELb0EEvPKvS2_PKi31ggml_cuda_mm_fusion_args_devicePfj15HIP_vector_typeIjLj3EEjjjS8_jjjS8_jjjj,"axG",@progbits,_ZL13mul_mat_vec_qIL9ggml_type7ELi1ELb0ELb0EEvPKvS2_PKi31ggml_cuda_mm_fusion_args_devicePfj15HIP_vector_typeIjLj3EEjjjS8_jjjS8_jjjj,comdat
.Lfunc_end52:
	.size	_ZL13mul_mat_vec_qIL9ggml_type7ELi1ELb0ELb0EEvPKvS2_PKi31ggml_cuda_mm_fusion_args_devicePfj15HIP_vector_typeIjLj3EEjjjS8_jjjS8_jjjj, .Lfunc_end52-_ZL13mul_mat_vec_qIL9ggml_type7ELi1ELb0ELb0EEvPKvS2_PKi31ggml_cuda_mm_fusion_args_devicePfj15HIP_vector_typeIjLj3EEjjjS8_jjjS8_jjjj
                                        ; -- End function
	.set _ZL13mul_mat_vec_qIL9ggml_type7ELi1ELb0ELb0EEvPKvS2_PKi31ggml_cuda_mm_fusion_args_devicePfj15HIP_vector_typeIjLj3EEjjjS8_jjjS8_jjjj.num_vgpr, 37
	.set _ZL13mul_mat_vec_qIL9ggml_type7ELi1ELb0ELb0EEvPKvS2_PKi31ggml_cuda_mm_fusion_args_devicePfj15HIP_vector_typeIjLj3EEjjjS8_jjjS8_jjjj.num_agpr, 0
	.set _ZL13mul_mat_vec_qIL9ggml_type7ELi1ELb0ELb0EEvPKvS2_PKi31ggml_cuda_mm_fusion_args_devicePfj15HIP_vector_typeIjLj3EEjjjS8_jjjS8_jjjj.numbered_sgpr, 23
	.set _ZL13mul_mat_vec_qIL9ggml_type7ELi1ELb0ELb0EEvPKvS2_PKi31ggml_cuda_mm_fusion_args_devicePfj15HIP_vector_typeIjLj3EEjjjS8_jjjS8_jjjj.num_named_barrier, 0
	.set _ZL13mul_mat_vec_qIL9ggml_type7ELi1ELb0ELb0EEvPKvS2_PKi31ggml_cuda_mm_fusion_args_devicePfj15HIP_vector_typeIjLj3EEjjjS8_jjjS8_jjjj.private_seg_size, 0
	.set _ZL13mul_mat_vec_qIL9ggml_type7ELi1ELb0ELb0EEvPKvS2_PKi31ggml_cuda_mm_fusion_args_devicePfj15HIP_vector_typeIjLj3EEjjjS8_jjjS8_jjjj.uses_vcc, 1
	.set _ZL13mul_mat_vec_qIL9ggml_type7ELi1ELb0ELb0EEvPKvS2_PKi31ggml_cuda_mm_fusion_args_devicePfj15HIP_vector_typeIjLj3EEjjjS8_jjjS8_jjjj.uses_flat_scratch, 0
	.set _ZL13mul_mat_vec_qIL9ggml_type7ELi1ELb0ELb0EEvPKvS2_PKi31ggml_cuda_mm_fusion_args_devicePfj15HIP_vector_typeIjLj3EEjjjS8_jjjS8_jjjj.has_dyn_sized_stack, 0
	.set _ZL13mul_mat_vec_qIL9ggml_type7ELi1ELb0ELb0EEvPKvS2_PKi31ggml_cuda_mm_fusion_args_devicePfj15HIP_vector_typeIjLj3EEjjjS8_jjjS8_jjjj.has_recursion, 0
	.set _ZL13mul_mat_vec_qIL9ggml_type7ELi1ELb0ELb0EEvPKvS2_PKi31ggml_cuda_mm_fusion_args_devicePfj15HIP_vector_typeIjLj3EEjjjS8_jjjS8_jjjj.has_indirect_call, 0
	.section	.AMDGPU.csdata,"",@progbits
; Kernel info:
; codeLenInByte = 1136
; TotalNumSgprs: 25
; NumVgprs: 37
; ScratchSize: 0
; MemoryBound: 0
; FloatMode: 240
; IeeeMode: 1
; LDSByteSize: 0 bytes/workgroup (compile time only)
; SGPRBlocks: 0
; VGPRBlocks: 4
; NumSGPRsForWavesPerEU: 25
; NumVGPRsForWavesPerEU: 37
; Occupancy: 16
; WaveLimiterHint : 0
; COMPUTE_PGM_RSRC2:SCRATCH_EN: 0
; COMPUTE_PGM_RSRC2:USER_SGPR: 6
; COMPUTE_PGM_RSRC2:TRAP_HANDLER: 0
; COMPUTE_PGM_RSRC2:TGID_X_EN: 1
; COMPUTE_PGM_RSRC2:TGID_Y_EN: 1
; COMPUTE_PGM_RSRC2:TGID_Z_EN: 1
; COMPUTE_PGM_RSRC2:TIDIG_COMP_CNT: 1
	.section	.text._ZL13mul_mat_vec_qIL9ggml_type7ELi2ELb0ELb0EEvPKvS2_PKi31ggml_cuda_mm_fusion_args_devicePfj15HIP_vector_typeIjLj3EEjjjS8_jjjS8_jjjj,"axG",@progbits,_ZL13mul_mat_vec_qIL9ggml_type7ELi2ELb0ELb0EEvPKvS2_PKi31ggml_cuda_mm_fusion_args_devicePfj15HIP_vector_typeIjLj3EEjjjS8_jjjS8_jjjj,comdat
	.globl	_ZL13mul_mat_vec_qIL9ggml_type7ELi2ELb0ELb0EEvPKvS2_PKi31ggml_cuda_mm_fusion_args_devicePfj15HIP_vector_typeIjLj3EEjjjS8_jjjS8_jjjj ; -- Begin function _ZL13mul_mat_vec_qIL9ggml_type7ELi2ELb0ELb0EEvPKvS2_PKi31ggml_cuda_mm_fusion_args_devicePfj15HIP_vector_typeIjLj3EEjjjS8_jjjS8_jjjj
	.p2align	8
	.type	_ZL13mul_mat_vec_qIL9ggml_type7ELi2ELb0ELb0EEvPKvS2_PKi31ggml_cuda_mm_fusion_args_devicePfj15HIP_vector_typeIjLj3EEjjjS8_jjjS8_jjjj,@function
_ZL13mul_mat_vec_qIL9ggml_type7ELi2ELb0ELb0EEvPKvS2_PKi31ggml_cuda_mm_fusion_args_devicePfj15HIP_vector_typeIjLj3EEjjjS8_jjjS8_jjjj: ; @_ZL13mul_mat_vec_qIL9ggml_type7ELi2ELb0ELb0EEvPKvS2_PKi31ggml_cuda_mm_fusion_args_devicePfj15HIP_vector_typeIjLj3EEjjjS8_jjjS8_jjjj
; %bb.0:
	s_clause 0x5
	s_load_dwordx4 s[16:19], s[4:5], 0x80
	s_load_dword s9, s[4:5], 0x40
	s_load_dwordx4 s[0:3], s[4:5], 0x50
	s_load_dword s24, s[4:5], 0x60
	;; [unrolled: 2-line block ×3, first 2 shown]
	v_lshl_or_b32 v2, v1, 5, v0
	v_mov_b32_e32 v4, 0
	v_mov_b32_e32 v6, 0
	v_lshrrev_b16 v3, 1, v2
	v_and_b32_e32 v5, 0xffff, v3
	s_waitcnt lgkmcnt(0)
	s_lshr_b32 s19, s9, 5
	s_mov_b32 s9, exec_lo
	v_cmpx_gt_u32_e64 s19, v5
	s_cbranch_execz .LBB53_4
; %bb.1:
	s_load_dwordx4 s[20:23], s[4:5], 0x0
	v_lshlrev_b32_e32 v3, 1, v0
	s_mul_i32 s10, s17, s8
	s_mul_i32 s11, s13, s7
	s_mul_hi_u32 s13, s15, s8
	s_mul_hi_u32 s15, s10, 36
	v_and_b32_e32 v6, 2, v3
	s_mul_i32 s10, s10, 36
	v_lshrrev_b32_e32 v2, 1, v2
	s_mul_hi_u32 s17, s11, 36
	s_mul_i32 s11, s11, 36
	s_mul_hi_u32 s3, s3, s7
	v_and_b32_e32 v9, 1, v0
	v_lshlrev_b32_e32 v7, 2, v6
	s_mul_i32 s0, s0, s6
	v_mov_b32_e32 v4, 0
	v_lshlrev_b32_e32 v10, 2, v6
	v_lshlrev_b32_e32 v9, 3, v9
	v_or_b32_e32 v8, 4, v7
	v_mov_b32_e32 v6, 0
	s_waitcnt lgkmcnt(0)
	s_add_u32 s10, s22, s10
	s_addc_u32 s15, s23, s15
	s_add_u32 s10, s10, s11
	s_addc_u32 s11, s15, s17
	s_add_i32 s3, s7, s3
	s_add_i32 s13, s8, s13
	s_lshr_b32 s3, s3, s24
	v_mad_u64_u32 v[2:3], null, v2, 36, s[10:11]
	s_lshr_b32 s13, s13, s25
	s_mul_i32 s3, s3, s12
	s_mul_i32 s12, s13, s16
	s_add_i32 s3, s3, s0
	s_add_i32 s12, s12, s3
	s_mov_b32 s3, 0
.LBB53_2:                               ; =>This Inner Loop Header: Depth=1
	v_add_nc_u32_e32 v11, s12, v5
	v_add_nc_u32_e32 v15, s1, v5
	v_mov_b32_e32 v26, 0
	v_add_nc_u32_e32 v5, 16, v5
	v_mad_i64_i32 v[11:12], null, v11, 24, s[20:21]
	v_mad_u64_u32 v[15:16], null, v15, 36, s[10:11]
	v_cmp_le_u32_e64 s0, s19, v5
	v_add_co_u32 v13, vcc_lo, v11, v10
	v_add_co_ci_u32_e64 v14, null, 0, v12, vcc_lo
	v_add_co_u32 v17, vcc_lo, v2, v9
	s_clause 0x1
	global_load_dwordx2 v[11:12], v[11:12], off
	global_load_dwordx2 v[13:14], v[13:14], off offset:8
	v_add_co_ci_u32_e64 v18, null, 0, v3, vcc_lo
	v_add_co_u32 v19, vcc_lo, v15, v10
	v_add_co_ci_u32_e64 v20, null, 0, v16, vcc_lo
	global_load_dwordx2 v[21:22], v[17:18], off offset:4
	global_load_dwordx2 v[23:24], v[19:20], off offset:4
	global_load_dwordx2 v[17:18], v[17:18], off offset:20
	global_load_dwordx2 v[19:20], v[19:20], off offset:20
	global_load_dword v25, v[2:3], off
	global_load_dword v15, v[15:16], off
	v_mov_b32_e32 v16, 0
	v_add_co_u32 v2, vcc_lo, 0x240, v2
	v_add_co_ci_u32_e64 v3, null, 0, v3, vcc_lo
	s_or_b32 s3, s0, s3
	s_waitcnt vmcnt(7)
	v_ashrrev_i32_e32 v27, v7, v12
	v_ashrrev_i32_e32 v12, v8, v12
	s_waitcnt vmcnt(6)
	v_and_b32_e32 v28, 0xf0f0f0f, v13
	v_lshrrev_b32_e32 v13, 4, v13
	v_and_b32_e32 v36, 0xf0f0f0f, v14
	v_lshlrev_b32_e32 v29, 4, v27
	v_lshlrev_b32_e32 v30, 11, v27
	;; [unrolled: 1-line block ×4, first 2 shown]
	v_lshrrev_b32_e32 v33, 12, v27
	v_lshrrev_b32_e32 v34, 5, v27
	v_lshlrev_b32_e32 v35, 2, v27
	v_and_b32_e32 v29, 16, v29
	v_and_b32_e32 v30, 0x1000, v30
	v_lshlrev_b32_e32 v27, 9, v27
	v_lshlrev_b32_e32 v37, 4, v12
	;; [unrolled: 1-line block ×4, first 2 shown]
	v_and_b32_e32 v31, 0x100000, v31
	v_and_b32_e32 v32, 0x10000000, v32
	;; [unrolled: 1-line block ×5, first 2 shown]
	v_or3_b32 v28, v29, v28, v30
	v_lshlrev_b32_e32 v40, 25, v12
	v_lshrrev_b32_e32 v41, 12, v12
	v_lshrrev_b32_e32 v42, 5, v12
	v_lshlrev_b32_e32 v43, 2, v12
	v_and_b32_e32 v13, 0xf0f0f0f, v13
	v_and_b32_e32 v27, 0x10000000, v27
	;; [unrolled: 1-line block ×5, first 2 shown]
	v_or3_b32 v33, v34, v33, v35
	v_or3_b32 v28, v28, v31, v32
	v_lshrrev_b32_e32 v14, 4, v14
	v_lshlrev_b32_e32 v12, 9, v12
	v_and_b32_e32 v40, 0x10000000, v40
	v_and_b32_e32 v29, 16, v41
	v_and_b32_e32 v30, 0x1000, v42
	v_and_b32_e32 v31, 0x100000, v43
	v_or3_b32 v32, v38, v37, v39
	v_or3_b32 v13, v33, v27, v13
	s_waitcnt vmcnt(5)
	v_dot4c_i32_i8 v16, v28, v21
	s_waitcnt vmcnt(4)
	v_dot4c_i32_i8 v26, v28, v23
	v_and_b32_e32 v14, 0xf0f0f0f, v14
	v_and_b32_e32 v12, 0x10000000, v12
	v_or3_b32 v21, v30, v29, v31
	v_or3_b32 v23, v32, v40, v36
	s_waitcnt vmcnt(3)
	v_dot4c_i32_i8 v16, v13, v17
	s_waitcnt vmcnt(2)
	v_dot4c_i32_i8 v26, v13, v19
	s_waitcnt vmcnt(1)
	v_pk_mul_f16 v13, v11, v25
	s_waitcnt vmcnt(0)
	v_pk_mul_f16 v11, v11, v15
	v_or3_b32 v12, v21, v12, v14
	v_dot4c_i32_i8 v16, v23, v22
	v_dot4c_i32_i8 v26, v23, v24
	v_cvt_f32_f16_sdwa v14, v13 dst_sel:DWORD dst_unused:UNUSED_PAD src0_sel:WORD_1
	v_cvt_f32_f16_sdwa v15, v11 dst_sel:DWORD dst_unused:UNUSED_PAD src0_sel:WORD_1
	v_dot4c_i32_i8 v16, v12, v18
	v_dot4c_i32_i8 v26, v12, v20
	v_mul_f32_e32 v12, 0.5, v14
	v_mul_f32_e32 v14, 0.5, v15
	v_cvt_f32_i32_e32 v15, v16
	v_cvt_f32_i32_e32 v16, v26
	v_fma_mix_f32 v12, v15, v13, v12 op_sel_hi:[0,1,0]
	v_fma_mix_f32 v11, v16, v11, v14 op_sel_hi:[0,1,0]
	v_add_f32_e32 v6, v6, v12
	v_add_f32_e32 v4, v4, v11
	s_andn2_b32 exec_lo, exec_lo, s3
	s_cbranch_execnz .LBB53_2
; %bb.3:
	s_or_b32 exec_lo, exec_lo, s3
.LBB53_4:
	s_or_b32 exec_lo, exec_lo, s9
	s_mov_b32 s1, 0
	; wave barrier
	buffer_gl0_inv
	s_mov_b32 s0, exec_lo
	v_cmpx_eq_u32_e32 0, v1
	s_cbranch_execz .LBB53_9
; %bb.5:
	v_mbcnt_lo_u32_b32 v7, -1, 0
	s_load_dwordx2 s[4:5], s[4:5], 0x38
	s_mul_i32 s0, s14, s7
	s_mul_i32 s3, s18, s8
	s_add_i32 s0, s0, s6
	v_xor_b32_e32 v1, 16, v7
	v_xor_b32_e32 v2, 8, v7
	s_add_i32 s0, s0, s3
	s_lshl_b64 s[0:1], s[0:1], 2
	v_cmp_gt_i32_e32 vcc_lo, 32, v1
	v_cndmask_b32_e32 v1, v7, v1, vcc_lo
	v_cmp_gt_i32_e32 vcc_lo, 32, v2
	v_lshlrev_b32_e32 v1, 2, v1
	v_cndmask_b32_e32 v2, v7, v2, vcc_lo
	s_waitcnt lgkmcnt(0)
	s_add_u32 s0, s4, s0
	s_addc_u32 s1, s5, s1
	ds_bpermute_b32 v3, v1, v6
	v_lshlrev_b32_e32 v2, 2, v2
	s_waitcnt lgkmcnt(0)
	v_add_f32_e32 v5, v6, v3
	v_xor_b32_e32 v3, 4, v7
	ds_bpermute_b32 v6, v2, v5
	v_cmp_gt_i32_e32 vcc_lo, 32, v3
	v_cndmask_b32_e32 v3, v7, v3, vcc_lo
	v_lshlrev_b32_e32 v3, 2, v3
	s_waitcnt lgkmcnt(0)
	v_add_f32_e32 v6, v5, v6
	v_xor_b32_e32 v5, 2, v7
	ds_bpermute_b32 v8, v3, v6
	v_cmp_gt_i32_e32 vcc_lo, 32, v5
	v_cndmask_b32_e32 v5, v7, v5, vcc_lo
	;; [unrolled: 7-line block ×3, first 2 shown]
	v_cmp_eq_u32_e32 vcc_lo, 0, v0
	v_lshlrev_b32_e32 v6, 2, v6
	s_waitcnt lgkmcnt(0)
	v_add_f32_e32 v7, v8, v9
	ds_bpermute_b32 v8, v6, v7
	s_and_saveexec_b32 s3, vcc_lo
	s_cbranch_execz .LBB53_7
; %bb.6:
	s_waitcnt lgkmcnt(0)
	v_add_f32_e32 v0, v7, v8
	v_mov_b32_e32 v7, 0
	global_store_dword v7, v0, s[0:1]
.LBB53_7:
	s_or_b32 exec_lo, exec_lo, s3
	ds_bpermute_b32 v0, v1, v4
	s_waitcnt lgkmcnt(0)
	v_add_f32_e32 v0, v4, v0
	ds_bpermute_b32 v1, v2, v0
	s_waitcnt lgkmcnt(0)
	v_add_f32_e32 v0, v0, v1
	ds_bpermute_b32 v1, v3, v0
	s_waitcnt lgkmcnt(0)
	v_add_f32_e32 v0, v0, v1
	ds_bpermute_b32 v1, v5, v0
	s_waitcnt lgkmcnt(0)
	v_add_f32_e32 v0, v0, v1
	ds_bpermute_b32 v1, v6, v0
	s_and_b32 exec_lo, exec_lo, vcc_lo
	s_cbranch_execz .LBB53_9
; %bb.8:
	s_mov_b32 s3, 0
	s_waitcnt lgkmcnt(0)
	v_add_f32_e32 v0, v0, v1
	s_lshl_b64 s[2:3], s[2:3], 2
	v_mov_b32_e32 v1, 0
	s_add_u32 s0, s0, s2
	s_addc_u32 s1, s1, s3
	global_store_dword v1, v0, s[0:1]
.LBB53_9:
	s_endpgm
	.section	.rodata,"a",@progbits
	.p2align	6, 0x0
	.amdhsa_kernel _ZL13mul_mat_vec_qIL9ggml_type7ELi2ELb0ELb0EEvPKvS2_PKi31ggml_cuda_mm_fusion_args_devicePfj15HIP_vector_typeIjLj3EEjjjS8_jjjS8_jjjj
		.amdhsa_group_segment_fixed_size 0
		.amdhsa_private_segment_fixed_size 0
		.amdhsa_kernarg_size 144
		.amdhsa_user_sgpr_count 6
		.amdhsa_user_sgpr_private_segment_buffer 1
		.amdhsa_user_sgpr_dispatch_ptr 0
		.amdhsa_user_sgpr_queue_ptr 0
		.amdhsa_user_sgpr_kernarg_segment_ptr 1
		.amdhsa_user_sgpr_dispatch_id 0
		.amdhsa_user_sgpr_flat_scratch_init 0
		.amdhsa_user_sgpr_private_segment_size 0
		.amdhsa_wavefront_size32 1
		.amdhsa_uses_dynamic_stack 0
		.amdhsa_system_sgpr_private_segment_wavefront_offset 0
		.amdhsa_system_sgpr_workgroup_id_x 1
		.amdhsa_system_sgpr_workgroup_id_y 1
		.amdhsa_system_sgpr_workgroup_id_z 1
		.amdhsa_system_sgpr_workgroup_info 0
		.amdhsa_system_vgpr_workitem_id 1
		.amdhsa_next_free_vgpr 44
		.amdhsa_next_free_sgpr 26
		.amdhsa_reserve_vcc 1
		.amdhsa_reserve_flat_scratch 0
		.amdhsa_float_round_mode_32 0
		.amdhsa_float_round_mode_16_64 0
		.amdhsa_float_denorm_mode_32 3
		.amdhsa_float_denorm_mode_16_64 3
		.amdhsa_dx10_clamp 1
		.amdhsa_ieee_mode 1
		.amdhsa_fp16_overflow 0
		.amdhsa_workgroup_processor_mode 1
		.amdhsa_memory_ordered 1
		.amdhsa_forward_progress 1
		.amdhsa_shared_vgpr_count 0
		.amdhsa_exception_fp_ieee_invalid_op 0
		.amdhsa_exception_fp_denorm_src 0
		.amdhsa_exception_fp_ieee_div_zero 0
		.amdhsa_exception_fp_ieee_overflow 0
		.amdhsa_exception_fp_ieee_underflow 0
		.amdhsa_exception_fp_ieee_inexact 0
		.amdhsa_exception_int_div_zero 0
	.end_amdhsa_kernel
	.section	.text._ZL13mul_mat_vec_qIL9ggml_type7ELi2ELb0ELb0EEvPKvS2_PKi31ggml_cuda_mm_fusion_args_devicePfj15HIP_vector_typeIjLj3EEjjjS8_jjjS8_jjjj,"axG",@progbits,_ZL13mul_mat_vec_qIL9ggml_type7ELi2ELb0ELb0EEvPKvS2_PKi31ggml_cuda_mm_fusion_args_devicePfj15HIP_vector_typeIjLj3EEjjjS8_jjjS8_jjjj,comdat
.Lfunc_end53:
	.size	_ZL13mul_mat_vec_qIL9ggml_type7ELi2ELb0ELb0EEvPKvS2_PKi31ggml_cuda_mm_fusion_args_devicePfj15HIP_vector_typeIjLj3EEjjjS8_jjjS8_jjjj, .Lfunc_end53-_ZL13mul_mat_vec_qIL9ggml_type7ELi2ELb0ELb0EEvPKvS2_PKi31ggml_cuda_mm_fusion_args_devicePfj15HIP_vector_typeIjLj3EEjjjS8_jjjS8_jjjj
                                        ; -- End function
	.set _ZL13mul_mat_vec_qIL9ggml_type7ELi2ELb0ELb0EEvPKvS2_PKi31ggml_cuda_mm_fusion_args_devicePfj15HIP_vector_typeIjLj3EEjjjS8_jjjS8_jjjj.num_vgpr, 44
	.set _ZL13mul_mat_vec_qIL9ggml_type7ELi2ELb0ELb0EEvPKvS2_PKi31ggml_cuda_mm_fusion_args_devicePfj15HIP_vector_typeIjLj3EEjjjS8_jjjS8_jjjj.num_agpr, 0
	.set _ZL13mul_mat_vec_qIL9ggml_type7ELi2ELb0ELb0EEvPKvS2_PKi31ggml_cuda_mm_fusion_args_devicePfj15HIP_vector_typeIjLj3EEjjjS8_jjjS8_jjjj.numbered_sgpr, 26
	.set _ZL13mul_mat_vec_qIL9ggml_type7ELi2ELb0ELb0EEvPKvS2_PKi31ggml_cuda_mm_fusion_args_devicePfj15HIP_vector_typeIjLj3EEjjjS8_jjjS8_jjjj.num_named_barrier, 0
	.set _ZL13mul_mat_vec_qIL9ggml_type7ELi2ELb0ELb0EEvPKvS2_PKi31ggml_cuda_mm_fusion_args_devicePfj15HIP_vector_typeIjLj3EEjjjS8_jjjS8_jjjj.private_seg_size, 0
	.set _ZL13mul_mat_vec_qIL9ggml_type7ELi2ELb0ELb0EEvPKvS2_PKi31ggml_cuda_mm_fusion_args_devicePfj15HIP_vector_typeIjLj3EEjjjS8_jjjS8_jjjj.uses_vcc, 1
	.set _ZL13mul_mat_vec_qIL9ggml_type7ELi2ELb0ELb0EEvPKvS2_PKi31ggml_cuda_mm_fusion_args_devicePfj15HIP_vector_typeIjLj3EEjjjS8_jjjS8_jjjj.uses_flat_scratch, 0
	.set _ZL13mul_mat_vec_qIL9ggml_type7ELi2ELb0ELb0EEvPKvS2_PKi31ggml_cuda_mm_fusion_args_devicePfj15HIP_vector_typeIjLj3EEjjjS8_jjjS8_jjjj.has_dyn_sized_stack, 0
	.set _ZL13mul_mat_vec_qIL9ggml_type7ELi2ELb0ELb0EEvPKvS2_PKi31ggml_cuda_mm_fusion_args_devicePfj15HIP_vector_typeIjLj3EEjjjS8_jjjS8_jjjj.has_recursion, 0
	.set _ZL13mul_mat_vec_qIL9ggml_type7ELi2ELb0ELb0EEvPKvS2_PKi31ggml_cuda_mm_fusion_args_devicePfj15HIP_vector_typeIjLj3EEjjjS8_jjjS8_jjjj.has_indirect_call, 0
	.section	.AMDGPU.csdata,"",@progbits
; Kernel info:
; codeLenInByte = 1260
; TotalNumSgprs: 28
; NumVgprs: 44
; ScratchSize: 0
; MemoryBound: 0
; FloatMode: 240
; IeeeMode: 1
; LDSByteSize: 0 bytes/workgroup (compile time only)
; SGPRBlocks: 0
; VGPRBlocks: 5
; NumSGPRsForWavesPerEU: 28
; NumVGPRsForWavesPerEU: 44
; Occupancy: 16
; WaveLimiterHint : 0
; COMPUTE_PGM_RSRC2:SCRATCH_EN: 0
; COMPUTE_PGM_RSRC2:USER_SGPR: 6
; COMPUTE_PGM_RSRC2:TRAP_HANDLER: 0
; COMPUTE_PGM_RSRC2:TGID_X_EN: 1
; COMPUTE_PGM_RSRC2:TGID_Y_EN: 1
; COMPUTE_PGM_RSRC2:TGID_Z_EN: 1
; COMPUTE_PGM_RSRC2:TIDIG_COMP_CNT: 1
	.section	.text._ZL13mul_mat_vec_qIL9ggml_type7ELi3ELb0ELb0EEvPKvS2_PKi31ggml_cuda_mm_fusion_args_devicePfj15HIP_vector_typeIjLj3EEjjjS8_jjjS8_jjjj,"axG",@progbits,_ZL13mul_mat_vec_qIL9ggml_type7ELi3ELb0ELb0EEvPKvS2_PKi31ggml_cuda_mm_fusion_args_devicePfj15HIP_vector_typeIjLj3EEjjjS8_jjjS8_jjjj,comdat
	.globl	_ZL13mul_mat_vec_qIL9ggml_type7ELi3ELb0ELb0EEvPKvS2_PKi31ggml_cuda_mm_fusion_args_devicePfj15HIP_vector_typeIjLj3EEjjjS8_jjjS8_jjjj ; -- Begin function _ZL13mul_mat_vec_qIL9ggml_type7ELi3ELb0ELb0EEvPKvS2_PKi31ggml_cuda_mm_fusion_args_devicePfj15HIP_vector_typeIjLj3EEjjjS8_jjjS8_jjjj
	.p2align	8
	.type	_ZL13mul_mat_vec_qIL9ggml_type7ELi3ELb0ELb0EEvPKvS2_PKi31ggml_cuda_mm_fusion_args_devicePfj15HIP_vector_typeIjLj3EEjjjS8_jjjS8_jjjj,@function
_ZL13mul_mat_vec_qIL9ggml_type7ELi3ELb0ELb0EEvPKvS2_PKi31ggml_cuda_mm_fusion_args_devicePfj15HIP_vector_typeIjLj3EEjjjS8_jjjS8_jjjj: ; @_ZL13mul_mat_vec_qIL9ggml_type7ELi3ELb0ELb0EEvPKvS2_PKi31ggml_cuda_mm_fusion_args_devicePfj15HIP_vector_typeIjLj3EEjjjS8_jjjS8_jjjj
; %bb.0:
	s_clause 0x5
	s_load_dwordx4 s[16:19], s[4:5], 0x80
	s_load_dword s9, s[4:5], 0x40
	s_load_dwordx4 s[0:3], s[4:5], 0x50
	s_load_dword s24, s[4:5], 0x60
	;; [unrolled: 2-line block ×3, first 2 shown]
	v_lshl_or_b32 v2, v1, 5, v0
	v_mov_b32_e32 v4, 0
	v_mov_b32_e32 v5, 0
	;; [unrolled: 1-line block ×3, first 2 shown]
	v_lshrrev_b16 v3, 1, v2
	v_and_b32_e32 v6, 0xffff, v3
	s_waitcnt lgkmcnt(0)
	s_lshr_b32 s19, s9, 5
	s_mov_b32 s9, exec_lo
	v_cmpx_gt_u32_e64 s19, v6
	s_cbranch_execz .LBB54_4
; %bb.1:
	s_load_dwordx4 s[20:23], s[4:5], 0x0
	v_lshlrev_b32_e32 v3, 1, v0
	s_mul_i32 s10, s17, s8
	s_mul_i32 s11, s13, s7
	s_mul_hi_u32 s13, s15, s8
	s_mul_hi_u32 s15, s10, 36
	v_and_b32_e32 v5, 2, v3
	s_mul_i32 s10, s10, 36
	v_and_b32_e32 v3, 1, v0
	v_lshrrev_b32_e32 v2, 1, v2
	s_mul_hi_u32 s17, s11, 36
	s_mul_i32 s11, s11, 36
	s_mul_hi_u32 s3, s3, s7
	v_lshlrev_b32_e32 v8, 2, v5
	v_lshlrev_b32_e32 v9, 3, v3
	s_mul_i32 s0, s0, s6
	v_mov_b32_e32 v4, 0
	v_lshlrev_b32_e32 v11, 2, v5
	v_or_b32_e32 v10, 4, v8
	v_mov_b32_e32 v5, 0
	s_waitcnt lgkmcnt(0)
	s_add_u32 s10, s22, s10
	s_addc_u32 s15, s23, s15
	s_add_u32 s10, s10, s11
	s_addc_u32 s11, s15, s17
	s_add_i32 s3, s7, s3
	s_add_i32 s13, s8, s13
	s_lshr_b32 s3, s3, s24
	v_mad_u64_u32 v[2:3], null, v2, 36, s[10:11]
	s_lshr_b32 s13, s13, s25
	s_mul_i32 s3, s3, s12
	v_mov_b32_e32 v7, 0
	s_mul_i32 s12, s13, s16
	s_add_i32 s3, s3, s0
	s_add_i32 s0, s12, s3
	s_lshl_b32 s12, s1, 1
	s_mov_b32 s3, 0
.LBB54_2:                               ; =>This Inner Loop Header: Depth=1
	v_add_nc_u32_e32 v14, s0, v6
	v_add_nc_u32_e32 v18, s1, v6
	;; [unrolled: 1-line block ×3, first 2 shown]
	v_add_co_u32 v12, vcc_lo, v2, v9
	v_mad_i64_i32 v[14:15], null, v14, 24, s[20:21]
	v_mad_u64_u32 v[18:19], null, v18, 36, s[10:11]
	v_add_co_ci_u32_e64 v13, null, 0, v3, vcc_lo
	v_mad_u64_u32 v[20:21], null, v20, 36, s[10:11]
	s_clause 0x2
	global_load_dword v32, v[2:3], off
	global_load_dwordx2 v[16:17], v[12:13], off offset:4
	global_load_dwordx2 v[12:13], v[12:13], off offset:20
	global_load_dwordx2 v[22:23], v[14:15], off
	v_add_co_u32 v14, vcc_lo, v14, v11
	v_add_co_ci_u32_e64 v15, null, 0, v15, vcc_lo
	v_add_co_u32 v24, vcc_lo, v18, v11
	v_add_co_ci_u32_e64 v25, null, 0, v19, vcc_lo
	;; [unrolled: 2-line block ×3, first 2 shown]
	global_load_dwordx2 v[14:15], v[14:15], off offset:8
	s_clause 0x5
	global_load_dwordx2 v[28:29], v[26:27], off offset:4
	global_load_dwordx2 v[26:27], v[26:27], off offset:20
	;; [unrolled: 1-line block ×4, first 2 shown]
	global_load_dword v20, v[20:21], off
	global_load_dword v18, v[18:19], off
	v_mov_b32_e32 v19, 0
	v_mov_b32_e32 v21, 0
	;; [unrolled: 1-line block ×3, first 2 shown]
	v_add_nc_u32_e32 v6, 16, v6
	v_add_co_u32 v2, vcc_lo, 0x240, v2
	v_add_co_ci_u32_e64 v3, null, 0, v3, vcc_lo
	v_cmp_le_u32_e32 vcc_lo, s19, v6
	s_or_b32 s3, vcc_lo, s3
	s_waitcnt vmcnt(7)
	v_ashrrev_i32_e32 v34, v8, v23
	v_ashrrev_i32_e32 v23, v10, v23
	v_pk_mul_f16 v32, v22, v32
	v_lshlrev_b32_e32 v36, 4, v34
	v_lshlrev_b32_e32 v37, 11, v34
	;; [unrolled: 1-line block ×4, first 2 shown]
	s_waitcnt vmcnt(6)
	v_and_b32_e32 v35, 0xf0f0f0f, v14
	v_lshrrev_b32_e32 v40, 12, v34
	v_lshrrev_b32_e32 v41, 5, v34
	v_lshlrev_b32_e32 v42, 2, v34
	v_lshrrev_b32_e32 v14, 4, v14
	s_waitcnt vmcnt(1)
	v_pk_mul_f16 v20, v22, v20
	s_waitcnt vmcnt(0)
	v_pk_mul_f16 v18, v22, v18
	v_and_b32_e32 v22, 16, v36
	v_and_b32_e32 v36, 0x1000, v37
	v_lshlrev_b32_e32 v34, 9, v34
	v_lshlrev_b32_e32 v44, 4, v23
	;; [unrolled: 1-line block ×4, first 2 shown]
	v_and_b32_e32 v37, 0x100000, v38
	v_and_b32_e32 v38, 0x10000000, v39
	;; [unrolled: 1-line block ×5, first 2 shown]
	v_or3_b32 v22, v22, v35, v36
	v_lshlrev_b32_e32 v47, 25, v23
	v_lshrrev_b32_e32 v48, 12, v23
	v_lshrrev_b32_e32 v49, 5, v23
	v_lshlrev_b32_e32 v50, 2, v23
	v_and_b32_e32 v14, 0xf0f0f0f, v14
	v_and_b32_e32 v34, 0x10000000, v34
	;; [unrolled: 1-line block ×5, first 2 shown]
	v_or3_b32 v35, v40, v39, v41
	v_or3_b32 v22, v22, v37, v38
	v_and_b32_e32 v43, 0xf0f0f0f, v15
	v_lshrrev_b32_e32 v15, 4, v15
	v_lshlrev_b32_e32 v23, 9, v23
	v_and_b32_e32 v46, 0x10000000, v47
	v_and_b32_e32 v47, 16, v48
	;; [unrolled: 1-line block ×4, first 2 shown]
	v_or3_b32 v36, v44, v42, v45
	v_or3_b32 v14, v35, v34, v14
	v_dot4c_i32_i8 v19, v22, v16
	v_dot4c_i32_i8 v21, v22, v30
	;; [unrolled: 1-line block ×3, first 2 shown]
	v_and_b32_e32 v15, 0xf0f0f0f, v15
	v_and_b32_e32 v23, 0x10000000, v23
	v_or3_b32 v39, v48, v47, v49
	v_or3_b32 v16, v36, v46, v43
	v_dot4c_i32_i8 v19, v14, v12
	v_dot4c_i32_i8 v21, v14, v24
	;; [unrolled: 1-line block ×3, first 2 shown]
	v_cvt_f32_f16_sdwa v51, v32 dst_sel:DWORD dst_unused:UNUSED_PAD src0_sel:WORD_1
	v_or3_b32 v12, v39, v23, v15
	v_dot4c_i32_i8 v19, v16, v17
	v_dot4c_i32_i8 v21, v16, v31
	v_dot4c_i32_i8 v33, v16, v29
	v_mul_f32_e32 v50, 0.5, v51
	v_cvt_f32_f16_sdwa v51, v18 dst_sel:DWORD dst_unused:UNUSED_PAD src0_sel:WORD_1
	v_cvt_f32_f16_sdwa v52, v20 dst_sel:DWORD dst_unused:UNUSED_PAD src0_sel:WORD_1
	v_dot4c_i32_i8 v19, v12, v13
	v_dot4c_i32_i8 v21, v12, v25
	;; [unrolled: 1-line block ×3, first 2 shown]
	v_mul_f32_e32 v14, 0.5, v51
	v_mul_f32_e32 v12, 0.5, v52
	v_cvt_f32_i32_e32 v13, v19
	v_cvt_f32_i32_e32 v15, v21
	;; [unrolled: 1-line block ×3, first 2 shown]
	v_fma_mix_f32 v13, v13, v32, v50 op_sel_hi:[0,1,0]
	v_fma_mix_f32 v14, v15, v18, v14 op_sel_hi:[0,1,0]
	;; [unrolled: 1-line block ×3, first 2 shown]
	v_add_f32_e32 v7, v7, v13
	v_add_f32_e32 v5, v5, v14
	;; [unrolled: 1-line block ×3, first 2 shown]
	s_andn2_b32 exec_lo, exec_lo, s3
	s_cbranch_execnz .LBB54_2
; %bb.3:
	s_or_b32 exec_lo, exec_lo, s3
.LBB54_4:
	s_or_b32 exec_lo, exec_lo, s9
	s_mov_b32 s1, 0
	; wave barrier
	buffer_gl0_inv
	s_mov_b32 s0, exec_lo
	v_cmpx_eq_u32_e32 0, v1
	s_cbranch_execz .LBB54_11
; %bb.5:
	v_mbcnt_lo_u32_b32 v8, -1, 0
	s_load_dwordx2 s[4:5], s[4:5], 0x38
	s_mul_i32 s0, s14, s7
	s_mul_i32 s3, s18, s8
	s_add_i32 s0, s0, s6
	v_xor_b32_e32 v1, 16, v8
	v_xor_b32_e32 v2, 8, v8
	s_add_i32 s0, s0, s3
	s_lshl_b64 s[0:1], s[0:1], 2
	v_cmp_gt_i32_e32 vcc_lo, 32, v1
	v_cndmask_b32_e32 v1, v8, v1, vcc_lo
	v_cmp_gt_i32_e32 vcc_lo, 32, v2
	v_lshlrev_b32_e32 v1, 2, v1
	v_cndmask_b32_e32 v2, v8, v2, vcc_lo
	s_waitcnt lgkmcnt(0)
	s_add_u32 s0, s4, s0
	s_addc_u32 s1, s5, s1
	ds_bpermute_b32 v3, v1, v7
	v_lshlrev_b32_e32 v2, 2, v2
	s_waitcnt lgkmcnt(0)
	v_add_f32_e32 v6, v7, v3
	v_xor_b32_e32 v3, 4, v8
	ds_bpermute_b32 v7, v2, v6
	v_cmp_gt_i32_e32 vcc_lo, 32, v3
	v_cndmask_b32_e32 v3, v8, v3, vcc_lo
	v_lshlrev_b32_e32 v3, 2, v3
	s_waitcnt lgkmcnt(0)
	v_add_f32_e32 v7, v6, v7
	v_xor_b32_e32 v6, 2, v8
	ds_bpermute_b32 v9, v3, v7
	v_cmp_gt_i32_e32 vcc_lo, 32, v6
	v_cndmask_b32_e32 v6, v8, v6, vcc_lo
	;; [unrolled: 7-line block ×3, first 2 shown]
	v_cmp_eq_u32_e32 vcc_lo, 0, v0
	v_lshlrev_b32_e32 v7, 2, v7
	s_waitcnt lgkmcnt(0)
	v_add_f32_e32 v8, v9, v10
	ds_bpermute_b32 v9, v7, v8
	s_and_saveexec_b32 s3, vcc_lo
	s_cbranch_execz .LBB54_7
; %bb.6:
	s_waitcnt lgkmcnt(0)
	v_add_f32_e32 v0, v8, v9
	v_mov_b32_e32 v8, 0
	global_store_dword v8, v0, s[0:1]
.LBB54_7:
	s_or_b32 exec_lo, exec_lo, s3
	ds_bpermute_b32 v0, v1, v5
	s_waitcnt lgkmcnt(0)
	v_add_f32_e32 v0, v5, v0
	ds_bpermute_b32 v5, v2, v0
	s_waitcnt lgkmcnt(0)
	v_add_f32_e32 v0, v0, v5
	ds_bpermute_b32 v5, v3, v0
	s_waitcnt lgkmcnt(0)
	v_add_f32_e32 v0, v0, v5
	ds_bpermute_b32 v5, v6, v0
	s_waitcnt lgkmcnt(0)
	v_add_f32_e32 v0, v0, v5
	ds_bpermute_b32 v5, v7, v0
	s_and_saveexec_b32 s4, vcc_lo
	s_cbranch_execz .LBB54_9
; %bb.8:
	s_mov_b32 s3, 0
	s_waitcnt lgkmcnt(0)
	v_add_f32_e32 v0, v0, v5
	s_lshl_b64 s[6:7], s[2:3], 2
	v_mov_b32_e32 v5, 0
	s_add_u32 s6, s0, s6
	s_addc_u32 s7, s1, s7
	global_store_dword v5, v0, s[6:7]
.LBB54_9:
	s_or_b32 exec_lo, exec_lo, s4
	ds_bpermute_b32 v0, v1, v4
	s_waitcnt lgkmcnt(0)
	v_add_f32_e32 v0, v4, v0
	ds_bpermute_b32 v1, v2, v0
	s_waitcnt lgkmcnt(0)
	v_add_f32_e32 v0, v0, v1
	;; [unrolled: 3-line block ×4, first 2 shown]
	ds_bpermute_b32 v1, v7, v0
	s_and_b32 exec_lo, exec_lo, vcc_lo
	s_cbranch_execz .LBB54_11
; %bb.10:
	s_lshl_b32 s2, s2, 1
	s_mov_b32 s3, 0
	s_waitcnt lgkmcnt(0)
	v_add_f32_e32 v0, v0, v1
	s_lshl_b64 s[2:3], s[2:3], 2
	v_mov_b32_e32 v1, 0
	s_add_u32 s0, s0, s2
	s_addc_u32 s1, s1, s3
	global_store_dword v1, v0, s[0:1]
.LBB54_11:
	s_endpgm
	.section	.rodata,"a",@progbits
	.p2align	6, 0x0
	.amdhsa_kernel _ZL13mul_mat_vec_qIL9ggml_type7ELi3ELb0ELb0EEvPKvS2_PKi31ggml_cuda_mm_fusion_args_devicePfj15HIP_vector_typeIjLj3EEjjjS8_jjjS8_jjjj
		.amdhsa_group_segment_fixed_size 0
		.amdhsa_private_segment_fixed_size 0
		.amdhsa_kernarg_size 144
		.amdhsa_user_sgpr_count 6
		.amdhsa_user_sgpr_private_segment_buffer 1
		.amdhsa_user_sgpr_dispatch_ptr 0
		.amdhsa_user_sgpr_queue_ptr 0
		.amdhsa_user_sgpr_kernarg_segment_ptr 1
		.amdhsa_user_sgpr_dispatch_id 0
		.amdhsa_user_sgpr_flat_scratch_init 0
		.amdhsa_user_sgpr_private_segment_size 0
		.amdhsa_wavefront_size32 1
		.amdhsa_uses_dynamic_stack 0
		.amdhsa_system_sgpr_private_segment_wavefront_offset 0
		.amdhsa_system_sgpr_workgroup_id_x 1
		.amdhsa_system_sgpr_workgroup_id_y 1
		.amdhsa_system_sgpr_workgroup_id_z 1
		.amdhsa_system_sgpr_workgroup_info 0
		.amdhsa_system_vgpr_workitem_id 1
		.amdhsa_next_free_vgpr 53
		.amdhsa_next_free_sgpr 26
		.amdhsa_reserve_vcc 1
		.amdhsa_reserve_flat_scratch 0
		.amdhsa_float_round_mode_32 0
		.amdhsa_float_round_mode_16_64 0
		.amdhsa_float_denorm_mode_32 3
		.amdhsa_float_denorm_mode_16_64 3
		.amdhsa_dx10_clamp 1
		.amdhsa_ieee_mode 1
		.amdhsa_fp16_overflow 0
		.amdhsa_workgroup_processor_mode 1
		.amdhsa_memory_ordered 1
		.amdhsa_forward_progress 1
		.amdhsa_shared_vgpr_count 0
		.amdhsa_exception_fp_ieee_invalid_op 0
		.amdhsa_exception_fp_denorm_src 0
		.amdhsa_exception_fp_ieee_div_zero 0
		.amdhsa_exception_fp_ieee_overflow 0
		.amdhsa_exception_fp_ieee_underflow 0
		.amdhsa_exception_fp_ieee_inexact 0
		.amdhsa_exception_int_div_zero 0
	.end_amdhsa_kernel
	.section	.text._ZL13mul_mat_vec_qIL9ggml_type7ELi3ELb0ELb0EEvPKvS2_PKi31ggml_cuda_mm_fusion_args_devicePfj15HIP_vector_typeIjLj3EEjjjS8_jjjS8_jjjj,"axG",@progbits,_ZL13mul_mat_vec_qIL9ggml_type7ELi3ELb0ELb0EEvPKvS2_PKi31ggml_cuda_mm_fusion_args_devicePfj15HIP_vector_typeIjLj3EEjjjS8_jjjS8_jjjj,comdat
.Lfunc_end54:
	.size	_ZL13mul_mat_vec_qIL9ggml_type7ELi3ELb0ELb0EEvPKvS2_PKi31ggml_cuda_mm_fusion_args_devicePfj15HIP_vector_typeIjLj3EEjjjS8_jjjS8_jjjj, .Lfunc_end54-_ZL13mul_mat_vec_qIL9ggml_type7ELi3ELb0ELb0EEvPKvS2_PKi31ggml_cuda_mm_fusion_args_devicePfj15HIP_vector_typeIjLj3EEjjjS8_jjjS8_jjjj
                                        ; -- End function
	.set _ZL13mul_mat_vec_qIL9ggml_type7ELi3ELb0ELb0EEvPKvS2_PKi31ggml_cuda_mm_fusion_args_devicePfj15HIP_vector_typeIjLj3EEjjjS8_jjjS8_jjjj.num_vgpr, 53
	.set _ZL13mul_mat_vec_qIL9ggml_type7ELi3ELb0ELb0EEvPKvS2_PKi31ggml_cuda_mm_fusion_args_devicePfj15HIP_vector_typeIjLj3EEjjjS8_jjjS8_jjjj.num_agpr, 0
	.set _ZL13mul_mat_vec_qIL9ggml_type7ELi3ELb0ELb0EEvPKvS2_PKi31ggml_cuda_mm_fusion_args_devicePfj15HIP_vector_typeIjLj3EEjjjS8_jjjS8_jjjj.numbered_sgpr, 26
	.set _ZL13mul_mat_vec_qIL9ggml_type7ELi3ELb0ELb0EEvPKvS2_PKi31ggml_cuda_mm_fusion_args_devicePfj15HIP_vector_typeIjLj3EEjjjS8_jjjS8_jjjj.num_named_barrier, 0
	.set _ZL13mul_mat_vec_qIL9ggml_type7ELi3ELb0ELb0EEvPKvS2_PKi31ggml_cuda_mm_fusion_args_devicePfj15HIP_vector_typeIjLj3EEjjjS8_jjjS8_jjjj.private_seg_size, 0
	.set _ZL13mul_mat_vec_qIL9ggml_type7ELi3ELb0ELb0EEvPKvS2_PKi31ggml_cuda_mm_fusion_args_devicePfj15HIP_vector_typeIjLj3EEjjjS8_jjjS8_jjjj.uses_vcc, 1
	.set _ZL13mul_mat_vec_qIL9ggml_type7ELi3ELb0ELb0EEvPKvS2_PKi31ggml_cuda_mm_fusion_args_devicePfj15HIP_vector_typeIjLj3EEjjjS8_jjjS8_jjjj.uses_flat_scratch, 0
	.set _ZL13mul_mat_vec_qIL9ggml_type7ELi3ELb0ELb0EEvPKvS2_PKi31ggml_cuda_mm_fusion_args_devicePfj15HIP_vector_typeIjLj3EEjjjS8_jjjS8_jjjj.has_dyn_sized_stack, 0
	.set _ZL13mul_mat_vec_qIL9ggml_type7ELi3ELb0ELb0EEvPKvS2_PKi31ggml_cuda_mm_fusion_args_devicePfj15HIP_vector_typeIjLj3EEjjjS8_jjjS8_jjjj.has_recursion, 0
	.set _ZL13mul_mat_vec_qIL9ggml_type7ELi3ELb0ELb0EEvPKvS2_PKi31ggml_cuda_mm_fusion_args_devicePfj15HIP_vector_typeIjLj3EEjjjS8_jjjS8_jjjj.has_indirect_call, 0
	.section	.AMDGPU.csdata,"",@progbits
; Kernel info:
; codeLenInByte = 1488
; TotalNumSgprs: 28
; NumVgprs: 53
; ScratchSize: 0
; MemoryBound: 0
; FloatMode: 240
; IeeeMode: 1
; LDSByteSize: 0 bytes/workgroup (compile time only)
; SGPRBlocks: 0
; VGPRBlocks: 6
; NumSGPRsForWavesPerEU: 28
; NumVGPRsForWavesPerEU: 53
; Occupancy: 16
; WaveLimiterHint : 0
; COMPUTE_PGM_RSRC2:SCRATCH_EN: 0
; COMPUTE_PGM_RSRC2:USER_SGPR: 6
; COMPUTE_PGM_RSRC2:TRAP_HANDLER: 0
; COMPUTE_PGM_RSRC2:TGID_X_EN: 1
; COMPUTE_PGM_RSRC2:TGID_Y_EN: 1
; COMPUTE_PGM_RSRC2:TGID_Z_EN: 1
; COMPUTE_PGM_RSRC2:TIDIG_COMP_CNT: 1
	.section	.text._ZL13mul_mat_vec_qIL9ggml_type7ELi4ELb0ELb0EEvPKvS2_PKi31ggml_cuda_mm_fusion_args_devicePfj15HIP_vector_typeIjLj3EEjjjS8_jjjS8_jjjj,"axG",@progbits,_ZL13mul_mat_vec_qIL9ggml_type7ELi4ELb0ELb0EEvPKvS2_PKi31ggml_cuda_mm_fusion_args_devicePfj15HIP_vector_typeIjLj3EEjjjS8_jjjS8_jjjj,comdat
	.globl	_ZL13mul_mat_vec_qIL9ggml_type7ELi4ELb0ELb0EEvPKvS2_PKi31ggml_cuda_mm_fusion_args_devicePfj15HIP_vector_typeIjLj3EEjjjS8_jjjS8_jjjj ; -- Begin function _ZL13mul_mat_vec_qIL9ggml_type7ELi4ELb0ELb0EEvPKvS2_PKi31ggml_cuda_mm_fusion_args_devicePfj15HIP_vector_typeIjLj3EEjjjS8_jjjS8_jjjj
	.p2align	8
	.type	_ZL13mul_mat_vec_qIL9ggml_type7ELi4ELb0ELb0EEvPKvS2_PKi31ggml_cuda_mm_fusion_args_devicePfj15HIP_vector_typeIjLj3EEjjjS8_jjjS8_jjjj,@function
_ZL13mul_mat_vec_qIL9ggml_type7ELi4ELb0ELb0EEvPKvS2_PKi31ggml_cuda_mm_fusion_args_devicePfj15HIP_vector_typeIjLj3EEjjjS8_jjjS8_jjjj: ; @_ZL13mul_mat_vec_qIL9ggml_type7ELi4ELb0ELb0EEvPKvS2_PKi31ggml_cuda_mm_fusion_args_devicePfj15HIP_vector_typeIjLj3EEjjjS8_jjjS8_jjjj
; %bb.0:
	s_clause 0x5
	s_load_dwordx4 s[16:19], s[4:5], 0x80
	s_load_dword s9, s[4:5], 0x40
	s_load_dwordx4 s[0:3], s[4:5], 0x50
	s_load_dword s24, s[4:5], 0x60
	;; [unrolled: 2-line block ×3, first 2 shown]
	v_lshl_or_b32 v2, v1, 5, v0
	v_mov_b32_e32 v4, 0
	v_mov_b32_e32 v5, 0
	;; [unrolled: 1-line block ×4, first 2 shown]
	v_lshrrev_b16 v3, 1, v2
	v_and_b32_e32 v7, 0xffff, v3
	s_waitcnt lgkmcnt(0)
	s_lshr_b32 s19, s9, 5
	s_mov_b32 s9, exec_lo
	v_cmpx_gt_u32_e64 s19, v7
	s_cbranch_execz .LBB55_4
; %bb.1:
	s_load_dwordx4 s[20:23], s[4:5], 0x0
	v_lshlrev_b32_e32 v3, 1, v0
	s_mul_i32 s10, s17, s8
	s_mul_i32 s11, s13, s7
	s_mul_hi_u32 s13, s15, s8
	s_mul_hi_u32 s15, s10, 36
	v_and_b32_e32 v5, 2, v3
	s_mul_i32 s10, s10, 36
	v_and_b32_e32 v3, 1, v0
	v_lshrrev_b32_e32 v2, 1, v2
	s_mul_hi_u32 s17, s11, 36
	s_mul_i32 s11, s11, 36
	s_mul_hi_u32 s3, s3, s7
	v_lshlrev_b32_e32 v9, 2, v5
	v_lshlrev_b32_e32 v10, 3, v3
	s_mul_i32 s0, s0, s6
	v_mov_b32_e32 v4, 0
	v_lshlrev_b32_e32 v12, 2, v5
	v_or_b32_e32 v11, 4, v9
	v_mov_b32_e32 v5, 0
	s_waitcnt lgkmcnt(0)
	s_add_u32 s10, s22, s10
	s_addc_u32 s15, s23, s15
	s_add_u32 s10, s10, s11
	s_addc_u32 s11, s15, s17
	s_add_i32 s3, s7, s3
	s_add_i32 s13, s8, s13
	s_lshr_b32 s3, s3, s24
	v_mad_u64_u32 v[2:3], null, v2, 36, s[10:11]
	s_lshr_b32 s13, s13, s25
	s_mul_i32 s3, s3, s12
	v_mov_b32_e32 v6, 0
	v_mov_b32_e32 v8, 0
	s_mul_i32 s12, s13, s16
	s_add_i32 s3, s3, s0
	s_mul_i32 s13, s1, 3
	s_add_i32 s0, s12, s3
	s_lshl_b32 s3, s1, 1
	s_mov_b32 s12, 0
.LBB55_2:                               ; =>This Inner Loop Header: Depth=1
	v_add_nc_u32_e32 v15, s0, v7
	v_add_nc_u32_e32 v19, s1, v7
	;; [unrolled: 1-line block ×3, first 2 shown]
	v_add_co_u32 v13, vcc_lo, v2, v10
	v_mad_i64_i32 v[15:16], null, v15, 24, s[20:21]
	v_add_nc_u32_e32 v23, s13, v7
	v_add_co_ci_u32_e64 v14, null, 0, v3, vcc_lo
	v_mad_u64_u32 v[19:20], null, v19, 36, s[10:11]
	v_mad_u64_u32 v[21:22], null, v21, 36, s[10:11]
	;; [unrolled: 1-line block ×3, first 2 shown]
	s_clause 0x2
	global_load_dword v35, v[2:3], off
	global_load_dwordx2 v[17:18], v[13:14], off offset:4
	global_load_dwordx2 v[13:14], v[13:14], off offset:20
	global_load_dwordx2 v[25:26], v[15:16], off
	v_add_co_u32 v15, vcc_lo, v15, v12
	v_add_co_ci_u32_e64 v16, null, 0, v16, vcc_lo
	v_add_co_u32 v27, vcc_lo, v19, v12
	v_add_co_ci_u32_e64 v28, null, 0, v20, vcc_lo
	;; [unrolled: 2-line block ×4, first 2 shown]
	global_load_dwordx2 v[15:16], v[15:16], off offset:8
	s_clause 0x8
	global_load_dwordx2 v[33:34], v[27:28], off offset:4
	global_load_dwordx2 v[27:28], v[27:28], off offset:20
	global_load_dword v36, v[21:22], off
	global_load_dword v37, v[19:20], off
	global_load_dwordx2 v[19:20], v[31:32], off offset:20
	global_load_dwordx2 v[21:22], v[29:30], off offset:4
	;; [unrolled: 1-line block ×4, first 2 shown]
	global_load_dword v23, v[23:24], off
	v_mov_b32_e32 v24, 0
	v_mov_b32_e32 v38, 0
	;; [unrolled: 1-line block ×4, first 2 shown]
	v_add_nc_u32_e32 v7, 16, v7
	v_add_co_u32 v2, vcc_lo, 0x240, v2
	v_add_co_ci_u32_e64 v3, null, 0, v3, vcc_lo
	v_cmp_le_u32_e32 vcc_lo, s19, v7
	s_or_b32 s12, vcc_lo, s12
	s_waitcnt vmcnt(10)
	v_ashrrev_i32_e32 v41, v9, v26
	v_ashrrev_i32_e32 v26, v11, v26
	v_pk_mul_f16 v35, v25, v35
	v_lshlrev_b32_e32 v43, 4, v41
	v_lshlrev_b32_e32 v44, 11, v41
	;; [unrolled: 1-line block ×3, first 2 shown]
	s_waitcnt vmcnt(9)
	v_and_b32_e32 v42, 0xf0f0f0f, v15
	v_lshlrev_b32_e32 v46, 25, v41
	v_lshrrev_b32_e32 v47, 12, v41
	v_lshrrev_b32_e32 v48, 5, v41
	v_lshlrev_b32_e32 v49, 2, v41
	s_waitcnt vmcnt(5)
	v_pk_mul_f16 v37, v25, v37
	v_pk_mul_f16 v36, v25, v36
	v_lshrrev_b32_e32 v15, 4, v15
	v_lshlrev_b32_e32 v41, 9, v41
	s_waitcnt vmcnt(0)
	v_pk_mul_f16 v23, v25, v23
	v_and_b32_e32 v25, 16, v43
	v_and_b32_e32 v43, 0x1000, v44
	v_lshlrev_b32_e32 v51, 4, v26
	v_lshlrev_b32_e32 v52, 11, v26
	;; [unrolled: 1-line block ×3, first 2 shown]
	v_and_b32_e32 v44, 0x100000, v45
	v_and_b32_e32 v45, 0x10000000, v46
	;; [unrolled: 1-line block ×5, first 2 shown]
	v_or3_b32 v25, v25, v42, v43
	v_lshlrev_b32_e32 v54, 25, v26
	v_lshrrev_b32_e32 v55, 12, v26
	v_lshrrev_b32_e32 v56, 5, v26
	v_lshlrev_b32_e32 v57, 2, v26
	v_and_b32_e32 v15, 0xf0f0f0f, v15
	v_and_b32_e32 v41, 0x10000000, v41
	;; [unrolled: 1-line block ×5, first 2 shown]
	v_or3_b32 v42, v47, v46, v48
	v_or3_b32 v25, v25, v44, v45
	v_and_b32_e32 v50, 0xf0f0f0f, v16
	v_lshrrev_b32_e32 v16, 4, v16
	v_lshlrev_b32_e32 v26, 9, v26
	v_and_b32_e32 v53, 0x10000000, v54
	v_and_b32_e32 v54, 16, v55
	;; [unrolled: 1-line block ×4, first 2 shown]
	v_or3_b32 v43, v51, v49, v52
	v_or3_b32 v15, v42, v41, v15
	v_dot4c_i32_i8 v24, v25, v17
	v_dot4c_i32_i8 v38, v25, v33
	;; [unrolled: 1-line block ×4, first 2 shown]
	v_and_b32_e32 v16, 0xf0f0f0f, v16
	v_and_b32_e32 v26, 0x10000000, v26
	v_or3_b32 v46, v55, v54, v56
	v_or3_b32 v41, v43, v53, v50
	v_dot4c_i32_i8 v24, v15, v13
	v_dot4c_i32_i8 v38, v15, v27
	v_dot4c_i32_i8 v39, v15, v29
	v_dot4c_i32_i8 v40, v15, v19
	v_cvt_f32_f16_sdwa v58, v35 dst_sel:DWORD dst_unused:UNUSED_PAD src0_sel:WORD_1
	v_or3_b32 v16, v46, v26, v16
	v_dot4c_i32_i8 v24, v41, v18
	v_dot4c_i32_i8 v38, v41, v34
	;; [unrolled: 1-line block ×4, first 2 shown]
	v_mul_f32_e32 v57, 0.5, v58
	v_cvt_f32_f16_sdwa v58, v37 dst_sel:DWORD dst_unused:UNUSED_PAD src0_sel:WORD_1
	v_cvt_f32_f16_sdwa v59, v36 dst_sel:DWORD dst_unused:UNUSED_PAD src0_sel:WORD_1
	;; [unrolled: 1-line block ×3, first 2 shown]
	v_dot4c_i32_i8 v24, v16, v14
	v_dot4c_i32_i8 v38, v16, v28
	;; [unrolled: 1-line block ×4, first 2 shown]
	v_mul_f32_e32 v47, 0.5, v58
	v_mul_f32_e32 v48, 0.5, v59
	;; [unrolled: 1-line block ×3, first 2 shown]
	v_cvt_f32_i32_e32 v13, v24
	v_cvt_f32_i32_e32 v14, v38
	;; [unrolled: 1-line block ×4, first 2 shown]
	v_fma_mix_f32 v13, v13, v35, v57 op_sel_hi:[0,1,0]
	v_fma_mix_f32 v14, v14, v37, v47 op_sel_hi:[0,1,0]
	;; [unrolled: 1-line block ×4, first 2 shown]
	v_add_f32_e32 v8, v8, v13
	v_add_f32_e32 v6, v6, v14
	;; [unrolled: 1-line block ×4, first 2 shown]
	s_andn2_b32 exec_lo, exec_lo, s12
	s_cbranch_execnz .LBB55_2
; %bb.3:
	s_or_b32 exec_lo, exec_lo, s12
.LBB55_4:
	s_or_b32 exec_lo, exec_lo, s9
	s_mov_b32 s1, 0
	; wave barrier
	buffer_gl0_inv
	s_mov_b32 s0, exec_lo
	v_cmpx_eq_u32_e32 0, v1
	s_cbranch_execz .LBB55_13
; %bb.5:
	v_mbcnt_lo_u32_b32 v9, -1, 0
	s_load_dwordx2 s[4:5], s[4:5], 0x38
	s_mul_i32 s0, s14, s7
	s_mul_i32 s3, s18, s8
	s_add_i32 s0, s0, s6
	v_xor_b32_e32 v1, 16, v9
	v_xor_b32_e32 v2, 8, v9
	s_add_i32 s0, s0, s3
	s_lshl_b64 s[0:1], s[0:1], 2
	v_cmp_gt_i32_e32 vcc_lo, 32, v1
	v_cndmask_b32_e32 v1, v9, v1, vcc_lo
	v_cmp_gt_i32_e32 vcc_lo, 32, v2
	v_lshlrev_b32_e32 v1, 2, v1
	v_cndmask_b32_e32 v2, v9, v2, vcc_lo
	s_waitcnt lgkmcnt(0)
	s_add_u32 s0, s4, s0
	s_addc_u32 s1, s5, s1
	ds_bpermute_b32 v3, v1, v8
	v_lshlrev_b32_e32 v2, 2, v2
	s_waitcnt lgkmcnt(0)
	v_add_f32_e32 v7, v8, v3
	v_xor_b32_e32 v3, 4, v9
	ds_bpermute_b32 v8, v2, v7
	v_cmp_gt_i32_e32 vcc_lo, 32, v3
	v_cndmask_b32_e32 v3, v9, v3, vcc_lo
	v_lshlrev_b32_e32 v3, 2, v3
	s_waitcnt lgkmcnt(0)
	v_add_f32_e32 v8, v7, v8
	v_xor_b32_e32 v7, 2, v9
	ds_bpermute_b32 v10, v3, v8
	v_cmp_gt_i32_e32 vcc_lo, 32, v7
	v_cndmask_b32_e32 v7, v9, v7, vcc_lo
	v_lshlrev_b32_e32 v7, 2, v7
	s_waitcnt lgkmcnt(0)
	v_add_f32_e32 v10, v8, v10
	v_xor_b32_e32 v8, 1, v9
	ds_bpermute_b32 v11, v7, v10
	v_cmp_gt_i32_e32 vcc_lo, 32, v8
	v_cndmask_b32_e32 v8, v9, v8, vcc_lo
	v_cmp_eq_u32_e32 vcc_lo, 0, v0
	v_lshlrev_b32_e32 v8, 2, v8
	s_waitcnt lgkmcnt(0)
	v_add_f32_e32 v9, v10, v11
	ds_bpermute_b32 v10, v8, v9
	s_and_saveexec_b32 s3, vcc_lo
	s_cbranch_execz .LBB55_7
; %bb.6:
	s_waitcnt lgkmcnt(0)
	v_add_f32_e32 v0, v9, v10
	v_mov_b32_e32 v9, 0
	global_store_dword v9, v0, s[0:1]
.LBB55_7:
	s_or_b32 exec_lo, exec_lo, s3
	ds_bpermute_b32 v0, v1, v6
	s_waitcnt lgkmcnt(0)
	v_add_f32_e32 v0, v6, v0
	ds_bpermute_b32 v6, v2, v0
	s_waitcnt lgkmcnt(0)
	v_add_f32_e32 v0, v0, v6
	;; [unrolled: 3-line block ×4, first 2 shown]
	ds_bpermute_b32 v6, v8, v0
	s_and_saveexec_b32 s4, vcc_lo
	s_cbranch_execz .LBB55_9
; %bb.8:
	s_mov_b32 s3, 0
	s_waitcnt lgkmcnt(0)
	v_add_f32_e32 v0, v0, v6
	s_lshl_b64 s[6:7], s[2:3], 2
	v_mov_b32_e32 v6, 0
	s_add_u32 s6, s0, s6
	s_addc_u32 s7, s1, s7
	global_store_dword v6, v0, s[6:7]
.LBB55_9:
	s_or_b32 exec_lo, exec_lo, s4
	ds_bpermute_b32 v0, v1, v5
	s_waitcnt lgkmcnt(0)
	v_add_f32_e32 v0, v5, v0
	ds_bpermute_b32 v5, v2, v0
	s_waitcnt lgkmcnt(0)
	v_add_f32_e32 v0, v0, v5
	;; [unrolled: 3-line block ×4, first 2 shown]
	ds_bpermute_b32 v5, v8, v0
	s_and_saveexec_b32 s3, vcc_lo
	s_cbranch_execz .LBB55_11
; %bb.10:
	s_lshl_b32 s4, s2, 1
	s_mov_b32 s5, 0
	s_waitcnt lgkmcnt(0)
	v_add_f32_e32 v0, v0, v5
	s_lshl_b64 s[4:5], s[4:5], 2
	v_mov_b32_e32 v5, 0
	s_add_u32 s4, s0, s4
	s_addc_u32 s5, s1, s5
	global_store_dword v5, v0, s[4:5]
.LBB55_11:
	s_or_b32 exec_lo, exec_lo, s3
	ds_bpermute_b32 v0, v1, v4
	s_waitcnt lgkmcnt(0)
	v_add_f32_e32 v0, v4, v0
	ds_bpermute_b32 v1, v2, v0
	s_waitcnt lgkmcnt(0)
	v_add_f32_e32 v0, v0, v1
	;; [unrolled: 3-line block ×4, first 2 shown]
	ds_bpermute_b32 v1, v8, v0
	s_and_b32 exec_lo, exec_lo, vcc_lo
	s_cbranch_execz .LBB55_13
; %bb.12:
	s_mul_i32 s2, s2, 3
	s_mov_b32 s3, 0
	s_waitcnt lgkmcnt(0)
	v_add_f32_e32 v0, v0, v1
	s_lshl_b64 s[2:3], s[2:3], 2
	v_mov_b32_e32 v1, 0
	s_add_u32 s0, s0, s2
	s_addc_u32 s1, s1, s3
	global_store_dword v1, v0, s[0:1]
.LBB55_13:
	s_endpgm
	.section	.rodata,"a",@progbits
	.p2align	6, 0x0
	.amdhsa_kernel _ZL13mul_mat_vec_qIL9ggml_type7ELi4ELb0ELb0EEvPKvS2_PKi31ggml_cuda_mm_fusion_args_devicePfj15HIP_vector_typeIjLj3EEjjjS8_jjjS8_jjjj
		.amdhsa_group_segment_fixed_size 0
		.amdhsa_private_segment_fixed_size 0
		.amdhsa_kernarg_size 144
		.amdhsa_user_sgpr_count 6
		.amdhsa_user_sgpr_private_segment_buffer 1
		.amdhsa_user_sgpr_dispatch_ptr 0
		.amdhsa_user_sgpr_queue_ptr 0
		.amdhsa_user_sgpr_kernarg_segment_ptr 1
		.amdhsa_user_sgpr_dispatch_id 0
		.amdhsa_user_sgpr_flat_scratch_init 0
		.amdhsa_user_sgpr_private_segment_size 0
		.amdhsa_wavefront_size32 1
		.amdhsa_uses_dynamic_stack 0
		.amdhsa_system_sgpr_private_segment_wavefront_offset 0
		.amdhsa_system_sgpr_workgroup_id_x 1
		.amdhsa_system_sgpr_workgroup_id_y 1
		.amdhsa_system_sgpr_workgroup_id_z 1
		.amdhsa_system_sgpr_workgroup_info 0
		.amdhsa_system_vgpr_workitem_id 1
		.amdhsa_next_free_vgpr 61
		.amdhsa_next_free_sgpr 26
		.amdhsa_reserve_vcc 1
		.amdhsa_reserve_flat_scratch 0
		.amdhsa_float_round_mode_32 0
		.amdhsa_float_round_mode_16_64 0
		.amdhsa_float_denorm_mode_32 3
		.amdhsa_float_denorm_mode_16_64 3
		.amdhsa_dx10_clamp 1
		.amdhsa_ieee_mode 1
		.amdhsa_fp16_overflow 0
		.amdhsa_workgroup_processor_mode 1
		.amdhsa_memory_ordered 1
		.amdhsa_forward_progress 1
		.amdhsa_shared_vgpr_count 0
		.amdhsa_exception_fp_ieee_invalid_op 0
		.amdhsa_exception_fp_denorm_src 0
		.amdhsa_exception_fp_ieee_div_zero 0
		.amdhsa_exception_fp_ieee_overflow 0
		.amdhsa_exception_fp_ieee_underflow 0
		.amdhsa_exception_fp_ieee_inexact 0
		.amdhsa_exception_int_div_zero 0
	.end_amdhsa_kernel
	.section	.text._ZL13mul_mat_vec_qIL9ggml_type7ELi4ELb0ELb0EEvPKvS2_PKi31ggml_cuda_mm_fusion_args_devicePfj15HIP_vector_typeIjLj3EEjjjS8_jjjS8_jjjj,"axG",@progbits,_ZL13mul_mat_vec_qIL9ggml_type7ELi4ELb0ELb0EEvPKvS2_PKi31ggml_cuda_mm_fusion_args_devicePfj15HIP_vector_typeIjLj3EEjjjS8_jjjS8_jjjj,comdat
.Lfunc_end55:
	.size	_ZL13mul_mat_vec_qIL9ggml_type7ELi4ELb0ELb0EEvPKvS2_PKi31ggml_cuda_mm_fusion_args_devicePfj15HIP_vector_typeIjLj3EEjjjS8_jjjS8_jjjj, .Lfunc_end55-_ZL13mul_mat_vec_qIL9ggml_type7ELi4ELb0ELb0EEvPKvS2_PKi31ggml_cuda_mm_fusion_args_devicePfj15HIP_vector_typeIjLj3EEjjjS8_jjjS8_jjjj
                                        ; -- End function
	.set _ZL13mul_mat_vec_qIL9ggml_type7ELi4ELb0ELb0EEvPKvS2_PKi31ggml_cuda_mm_fusion_args_devicePfj15HIP_vector_typeIjLj3EEjjjS8_jjjS8_jjjj.num_vgpr, 61
	.set _ZL13mul_mat_vec_qIL9ggml_type7ELi4ELb0ELb0EEvPKvS2_PKi31ggml_cuda_mm_fusion_args_devicePfj15HIP_vector_typeIjLj3EEjjjS8_jjjS8_jjjj.num_agpr, 0
	.set _ZL13mul_mat_vec_qIL9ggml_type7ELi4ELb0ELb0EEvPKvS2_PKi31ggml_cuda_mm_fusion_args_devicePfj15HIP_vector_typeIjLj3EEjjjS8_jjjS8_jjjj.numbered_sgpr, 26
	.set _ZL13mul_mat_vec_qIL9ggml_type7ELi4ELb0ELb0EEvPKvS2_PKi31ggml_cuda_mm_fusion_args_devicePfj15HIP_vector_typeIjLj3EEjjjS8_jjjS8_jjjj.num_named_barrier, 0
	.set _ZL13mul_mat_vec_qIL9ggml_type7ELi4ELb0ELb0EEvPKvS2_PKi31ggml_cuda_mm_fusion_args_devicePfj15HIP_vector_typeIjLj3EEjjjS8_jjjS8_jjjj.private_seg_size, 0
	.set _ZL13mul_mat_vec_qIL9ggml_type7ELi4ELb0ELb0EEvPKvS2_PKi31ggml_cuda_mm_fusion_args_devicePfj15HIP_vector_typeIjLj3EEjjjS8_jjjS8_jjjj.uses_vcc, 1
	.set _ZL13mul_mat_vec_qIL9ggml_type7ELi4ELb0ELb0EEvPKvS2_PKi31ggml_cuda_mm_fusion_args_devicePfj15HIP_vector_typeIjLj3EEjjjS8_jjjS8_jjjj.uses_flat_scratch, 0
	.set _ZL13mul_mat_vec_qIL9ggml_type7ELi4ELb0ELb0EEvPKvS2_PKi31ggml_cuda_mm_fusion_args_devicePfj15HIP_vector_typeIjLj3EEjjjS8_jjjS8_jjjj.has_dyn_sized_stack, 0
	.set _ZL13mul_mat_vec_qIL9ggml_type7ELi4ELb0ELb0EEvPKvS2_PKi31ggml_cuda_mm_fusion_args_devicePfj15HIP_vector_typeIjLj3EEjjjS8_jjjS8_jjjj.has_recursion, 0
	.set _ZL13mul_mat_vec_qIL9ggml_type7ELi4ELb0ELb0EEvPKvS2_PKi31ggml_cuda_mm_fusion_args_devicePfj15HIP_vector_typeIjLj3EEjjjS8_jjjS8_jjjj.has_indirect_call, 0
	.section	.AMDGPU.csdata,"",@progbits
; Kernel info:
; codeLenInByte = 1732
; TotalNumSgprs: 28
; NumVgprs: 61
; ScratchSize: 0
; MemoryBound: 0
; FloatMode: 240
; IeeeMode: 1
; LDSByteSize: 0 bytes/workgroup (compile time only)
; SGPRBlocks: 0
; VGPRBlocks: 7
; NumSGPRsForWavesPerEU: 28
; NumVGPRsForWavesPerEU: 61
; Occupancy: 16
; WaveLimiterHint : 0
; COMPUTE_PGM_RSRC2:SCRATCH_EN: 0
; COMPUTE_PGM_RSRC2:USER_SGPR: 6
; COMPUTE_PGM_RSRC2:TRAP_HANDLER: 0
; COMPUTE_PGM_RSRC2:TGID_X_EN: 1
; COMPUTE_PGM_RSRC2:TGID_Y_EN: 1
; COMPUTE_PGM_RSRC2:TGID_Z_EN: 1
; COMPUTE_PGM_RSRC2:TIDIG_COMP_CNT: 1
	.section	.text._ZL13mul_mat_vec_qIL9ggml_type7ELi5ELb0ELb0EEvPKvS2_PKi31ggml_cuda_mm_fusion_args_devicePfj15HIP_vector_typeIjLj3EEjjjS8_jjjS8_jjjj,"axG",@progbits,_ZL13mul_mat_vec_qIL9ggml_type7ELi5ELb0ELb0EEvPKvS2_PKi31ggml_cuda_mm_fusion_args_devicePfj15HIP_vector_typeIjLj3EEjjjS8_jjjS8_jjjj,comdat
	.globl	_ZL13mul_mat_vec_qIL9ggml_type7ELi5ELb0ELb0EEvPKvS2_PKi31ggml_cuda_mm_fusion_args_devicePfj15HIP_vector_typeIjLj3EEjjjS8_jjjS8_jjjj ; -- Begin function _ZL13mul_mat_vec_qIL9ggml_type7ELi5ELb0ELb0EEvPKvS2_PKi31ggml_cuda_mm_fusion_args_devicePfj15HIP_vector_typeIjLj3EEjjjS8_jjjS8_jjjj
	.p2align	8
	.type	_ZL13mul_mat_vec_qIL9ggml_type7ELi5ELb0ELb0EEvPKvS2_PKi31ggml_cuda_mm_fusion_args_devicePfj15HIP_vector_typeIjLj3EEjjjS8_jjjS8_jjjj,@function
_ZL13mul_mat_vec_qIL9ggml_type7ELi5ELb0ELb0EEvPKvS2_PKi31ggml_cuda_mm_fusion_args_devicePfj15HIP_vector_typeIjLj3EEjjjS8_jjjS8_jjjj: ; @_ZL13mul_mat_vec_qIL9ggml_type7ELi5ELb0ELb0EEvPKvS2_PKi31ggml_cuda_mm_fusion_args_devicePfj15HIP_vector_typeIjLj3EEjjjS8_jjjS8_jjjj
; %bb.0:
	s_clause 0x5
	s_load_dwordx4 s[16:19], s[4:5], 0x80
	s_load_dword s9, s[4:5], 0x40
	s_load_dwordx4 s[0:3], s[4:5], 0x50
	s_load_dword s24, s[4:5], 0x60
	;; [unrolled: 2-line block ×3, first 2 shown]
	v_lshl_or_b32 v2, v1, 5, v0
	v_mov_b32_e32 v4, 0
	v_mov_b32_e32 v5, 0
	;; [unrolled: 1-line block ×4, first 2 shown]
	v_lshrrev_b16 v3, 1, v2
	v_mov_b32_e32 v9, 0
	v_and_b32_e32 v8, 0xffff, v3
	s_waitcnt lgkmcnt(0)
	s_lshr_b32 s19, s9, 5
	s_mov_b32 s9, exec_lo
	v_cmpx_gt_u32_e64 s19, v8
	s_cbranch_execz .LBB56_4
; %bb.1:
	s_load_dwordx4 s[20:23], s[4:5], 0x0
	v_lshlrev_b32_e32 v3, 1, v0
	s_mul_i32 s10, s17, s8
	s_mul_i32 s11, s13, s7
	s_mul_hi_u32 s13, s15, s8
	s_mul_hi_u32 s15, s10, 36
	v_and_b32_e32 v5, 2, v3
	s_mul_i32 s10, s10, 36
	v_and_b32_e32 v3, 1, v0
	v_lshrrev_b32_e32 v2, 1, v2
	s_mul_hi_u32 s17, s11, 36
	s_mul_i32 s11, s11, 36
	s_mul_hi_u32 s3, s3, s7
	v_lshlrev_b32_e32 v10, 2, v5
	v_lshlrev_b32_e32 v11, 3, v3
	s_mul_i32 s0, s0, s6
	v_mov_b32_e32 v4, 0
	v_lshlrev_b32_e32 v13, 2, v5
	v_or_b32_e32 v12, 4, v10
	v_mov_b32_e32 v5, 0
	s_waitcnt lgkmcnt(0)
	s_add_u32 s10, s22, s10
	s_addc_u32 s15, s23, s15
	s_add_u32 s10, s10, s11
	s_addc_u32 s11, s15, s17
	s_add_i32 s3, s7, s3
	s_add_i32 s13, s8, s13
	s_lshr_b32 s3, s3, s24
	v_mad_u64_u32 v[2:3], null, v2, 36, s[10:11]
	s_lshr_b32 s13, s13, s25
	s_mul_i32 s3, s3, s12
	v_mov_b32_e32 v6, 0
	v_mov_b32_e32 v7, 0
	;; [unrolled: 1-line block ×3, first 2 shown]
	s_mul_i32 s12, s13, s16
	s_add_i32 s3, s3, s0
	s_lshl_b32 s15, s1, 2
	s_add_i32 s0, s12, s3
	s_lshl_b32 s3, s1, 1
	s_mul_i32 s12, s1, 3
	s_mov_b32 s13, 0
.LBB56_2:                               ; =>This Inner Loop Header: Depth=1
	v_add_nc_u32_e32 v16, s0, v8
	v_add_co_u32 v14, vcc_lo, v2, v11
	v_add_nc_u32_e32 v20, s1, v8
	v_add_co_ci_u32_e64 v15, null, 0, v3, vcc_lo
	v_mad_i64_i32 v[16:17], null, v16, 24, s[20:21]
	v_add_nc_u32_e32 v22, s3, v8
	v_add_nc_u32_e32 v24, s12, v8
	v_mad_u64_u32 v[20:21], null, v20, 36, s[10:11]
	v_add_nc_u32_e32 v26, s15, v8
	s_clause 0x2
	global_load_dword v40, v[2:3], off
	global_load_dwordx2 v[18:19], v[14:15], off offset:4
	global_load_dwordx2 v[14:15], v[14:15], off offset:20
	v_mad_u64_u32 v[22:23], null, v22, 36, s[10:11]
	global_load_dwordx2 v[28:29], v[16:17], off
	v_mad_u64_u32 v[24:25], null, v24, 36, s[10:11]
	v_mad_u64_u32 v[26:27], null, v26, 36, s[10:11]
	v_add_co_u32 v16, vcc_lo, v16, v13
	v_add_co_ci_u32_e64 v17, null, 0, v17, vcc_lo
	v_add_co_u32 v30, vcc_lo, v20, v13
	v_add_co_ci_u32_e64 v31, null, 0, v21, vcc_lo
	;; [unrolled: 2-line block ×5, first 2 shown]
	global_load_dwordx2 v[16:17], v[16:17], off offset:8
	s_clause 0xb
	global_load_dwordx2 v[38:39], v[30:31], off offset:4
	global_load_dwordx2 v[30:31], v[30:31], off offset:20
	global_load_dword v41, v[22:23], off
	global_load_dword v42, v[20:21], off
	global_load_dwordx2 v[20:21], v[32:33], off offset:4
	global_load_dwordx2 v[22:23], v[32:33], off offset:20
	;; [unrolled: 1-line block ×3, first 2 shown]
	global_load_dword v43, v[24:25], off
	global_load_dwordx2 v[24:25], v[34:35], off offset:20
	global_load_dwordx2 v[34:35], v[36:37], off offset:4
	;; [unrolled: 1-line block ×3, first 2 shown]
	global_load_dword v26, v[26:27], off
	v_mov_b32_e32 v27, 0
	v_mov_b32_e32 v44, 0
	;; [unrolled: 1-line block ×5, first 2 shown]
	v_add_nc_u32_e32 v8, 16, v8
	v_add_co_u32 v2, vcc_lo, 0x240, v2
	v_add_co_ci_u32_e64 v3, null, 0, v3, vcc_lo
	v_cmp_le_u32_e32 vcc_lo, s19, v8
	s_or_b32 s13, vcc_lo, s13
	s_waitcnt vmcnt(13)
	v_ashrrev_i32_e32 v48, v10, v29
	v_ashrrev_i32_e32 v29, v12, v29
	v_pk_mul_f16 v40, v28, v40
	v_lshlrev_b32_e32 v50, 4, v48
	v_lshlrev_b32_e32 v51, 11, v48
	;; [unrolled: 1-line block ×4, first 2 shown]
	v_lshrrev_b32_e32 v54, 12, v48
	v_lshrrev_b32_e32 v55, 5, v48
	v_lshlrev_b32_e32 v56, 2, v48
	v_and_b32_e32 v50, 16, v50
	s_waitcnt vmcnt(12)
	v_and_b32_e32 v49, 0xf0f0f0f, v16
	v_and_b32_e32 v51, 0x1000, v51
	v_lshrrev_b32_e32 v16, 4, v16
	v_lshlrev_b32_e32 v48, 9, v48
	v_lshlrev_b32_e32 v58, 4, v29
	;; [unrolled: 1-line block ×3, first 2 shown]
	s_waitcnt vmcnt(8)
	v_pk_mul_f16 v42, v28, v42
	v_pk_mul_f16 v41, v28, v41
	s_waitcnt vmcnt(4)
	v_pk_mul_f16 v43, v28, v43
	v_or3_b32 v49, v50, v49, v51
	v_and_b32_e32 v54, 16, v54
	v_and_b32_e32 v55, 0x1000, v55
	s_waitcnt vmcnt(0)
	v_pk_mul_f16 v26, v28, v26
	v_lshlrev_b32_e32 v28, 18, v29
	v_and_b32_e32 v56, 0x100000, v56
	v_and_b32_e32 v52, 0x100000, v52
	;; [unrolled: 1-line block ×3, first 2 shown]
	v_lshlrev_b32_e32 v60, 25, v29
	v_lshrrev_b32_e32 v61, 12, v29
	v_lshrrev_b32_e32 v50, 5, v29
	v_lshlrev_b32_e32 v51, 2, v29
	v_or3_b32 v54, v55, v54, v56
	v_and_b32_e32 v16, 0xf0f0f0f, v16
	v_and_b32_e32 v48, 0x10000000, v48
	v_and_b32_e32 v56, 16, v58
	v_and_b32_e32 v58, 0x1000, v59
	v_and_b32_e32 v28, 0x100000, v28
	v_or3_b32 v49, v49, v52, v53
	v_and_b32_e32 v57, 0xf0f0f0f, v17
	v_lshrrev_b32_e32 v17, 4, v17
	v_lshlrev_b32_e32 v29, 9, v29
	v_and_b32_e32 v59, 0x10000000, v60
	v_and_b32_e32 v60, 16, v61
	;; [unrolled: 1-line block ×4, first 2 shown]
	v_or3_b32 v28, v58, v56, v28
	v_or3_b32 v16, v54, v48, v16
	v_dot4c_i32_i8 v27, v49, v18
	v_dot4c_i32_i8 v44, v49, v38
	v_dot4c_i32_i8 v45, v49, v20
	v_dot4c_i32_i8 v46, v49, v32
	v_dot4c_i32_i8 v47, v49, v34
	v_and_b32_e32 v17, 0xf0f0f0f, v17
	v_and_b32_e32 v29, 0x10000000, v29
	v_or3_b32 v50, v50, v60, v51
	v_or3_b32 v28, v28, v59, v57
	v_dot4c_i32_i8 v27, v16, v14
	v_dot4c_i32_i8 v44, v16, v30
	;; [unrolled: 1-line block ×5, first 2 shown]
	v_or3_b32 v17, v50, v29, v17
	v_dot4c_i32_i8 v27, v28, v19
	v_dot4c_i32_i8 v44, v28, v39
	;; [unrolled: 1-line block ×5, first 2 shown]
	v_cvt_f32_f16_sdwa v55, v40 dst_sel:DWORD dst_unused:UNUSED_PAD src0_sel:WORD_1
	v_cvt_f32_f16_sdwa v61, v42 dst_sel:DWORD dst_unused:UNUSED_PAD src0_sel:WORD_1
	;; [unrolled: 1-line block ×5, first 2 shown]
	v_dot4c_i32_i8 v27, v17, v15
	v_dot4c_i32_i8 v44, v17, v31
	v_dot4c_i32_i8 v45, v17, v23
	v_dot4c_i32_i8 v46, v17, v25
	v_dot4c_i32_i8 v47, v17, v37
	v_mul_f32_e32 v55, 0.5, v55
	v_mul_f32_e32 v60, 0.5, v61
	;; [unrolled: 1-line block ×5, first 2 shown]
	v_cvt_f32_i32_e32 v14, v27
	v_cvt_f32_i32_e32 v15, v44
	;; [unrolled: 1-line block ×5, first 2 shown]
	v_fma_mix_f32 v14, v14, v40, v55 op_sel_hi:[0,1,0]
	v_fma_mix_f32 v15, v15, v42, v60 op_sel_hi:[0,1,0]
	;; [unrolled: 1-line block ×5, first 2 shown]
	v_add_f32_e32 v9, v9, v14
	v_add_f32_e32 v7, v7, v15
	;; [unrolled: 1-line block ×5, first 2 shown]
	s_andn2_b32 exec_lo, exec_lo, s13
	s_cbranch_execnz .LBB56_2
; %bb.3:
	s_or_b32 exec_lo, exec_lo, s13
.LBB56_4:
	s_or_b32 exec_lo, exec_lo, s9
	s_mov_b32 s1, 0
	; wave barrier
	buffer_gl0_inv
	s_mov_b32 s0, exec_lo
	v_cmpx_eq_u32_e32 0, v1
	s_cbranch_execz .LBB56_15
; %bb.5:
	v_mbcnt_lo_u32_b32 v10, -1, 0
	s_load_dwordx2 s[4:5], s[4:5], 0x38
	s_mul_i32 s0, s14, s7
	s_mul_i32 s3, s18, s8
	s_add_i32 s0, s0, s6
	v_xor_b32_e32 v1, 16, v10
	v_xor_b32_e32 v2, 8, v10
	s_add_i32 s0, s0, s3
	s_lshl_b64 s[0:1], s[0:1], 2
	v_cmp_gt_i32_e32 vcc_lo, 32, v1
	v_cndmask_b32_e32 v1, v10, v1, vcc_lo
	v_cmp_gt_i32_e32 vcc_lo, 32, v2
	v_lshlrev_b32_e32 v1, 2, v1
	v_cndmask_b32_e32 v2, v10, v2, vcc_lo
	s_waitcnt lgkmcnt(0)
	s_add_u32 s0, s4, s0
	s_addc_u32 s1, s5, s1
	ds_bpermute_b32 v3, v1, v9
	v_lshlrev_b32_e32 v2, 2, v2
	s_waitcnt lgkmcnt(0)
	v_add_f32_e32 v8, v9, v3
	v_xor_b32_e32 v3, 4, v10
	ds_bpermute_b32 v9, v2, v8
	v_cmp_gt_i32_e32 vcc_lo, 32, v3
	v_cndmask_b32_e32 v3, v10, v3, vcc_lo
	v_lshlrev_b32_e32 v3, 2, v3
	s_waitcnt lgkmcnt(0)
	v_add_f32_e32 v9, v8, v9
	v_xor_b32_e32 v8, 2, v10
	ds_bpermute_b32 v11, v3, v9
	v_cmp_gt_i32_e32 vcc_lo, 32, v8
	v_cndmask_b32_e32 v8, v10, v8, vcc_lo
	;; [unrolled: 7-line block ×3, first 2 shown]
	v_cmp_eq_u32_e32 vcc_lo, 0, v0
	v_lshlrev_b32_e32 v9, 2, v9
	s_waitcnt lgkmcnt(0)
	v_add_f32_e32 v10, v11, v12
	ds_bpermute_b32 v11, v9, v10
	s_and_saveexec_b32 s3, vcc_lo
	s_cbranch_execz .LBB56_7
; %bb.6:
	s_waitcnt lgkmcnt(0)
	v_add_f32_e32 v0, v10, v11
	v_mov_b32_e32 v10, 0
	global_store_dword v10, v0, s[0:1]
.LBB56_7:
	s_or_b32 exec_lo, exec_lo, s3
	ds_bpermute_b32 v0, v1, v7
	s_waitcnt lgkmcnt(0)
	v_add_f32_e32 v0, v7, v0
	ds_bpermute_b32 v7, v2, v0
	s_waitcnt lgkmcnt(0)
	v_add_f32_e32 v0, v0, v7
	ds_bpermute_b32 v7, v3, v0
	s_waitcnt lgkmcnt(0)
	v_add_f32_e32 v0, v0, v7
	ds_bpermute_b32 v7, v8, v0
	s_waitcnt lgkmcnt(0)
	v_add_f32_e32 v0, v0, v7
	ds_bpermute_b32 v7, v9, v0
	s_and_saveexec_b32 s4, vcc_lo
	s_cbranch_execz .LBB56_9
; %bb.8:
	s_mov_b32 s3, 0
	s_waitcnt lgkmcnt(0)
	v_add_f32_e32 v0, v0, v7
	s_lshl_b64 s[6:7], s[2:3], 2
	v_mov_b32_e32 v7, 0
	s_add_u32 s6, s0, s6
	s_addc_u32 s7, s1, s7
	global_store_dword v7, v0, s[6:7]
.LBB56_9:
	s_or_b32 exec_lo, exec_lo, s4
	ds_bpermute_b32 v0, v1, v6
	s_waitcnt lgkmcnt(0)
	v_add_f32_e32 v0, v6, v0
	ds_bpermute_b32 v6, v2, v0
	s_waitcnt lgkmcnt(0)
	v_add_f32_e32 v0, v0, v6
	;; [unrolled: 3-line block ×4, first 2 shown]
	ds_bpermute_b32 v6, v9, v0
	s_and_saveexec_b32 s3, vcc_lo
	s_cbranch_execz .LBB56_11
; %bb.10:
	s_lshl_b32 s4, s2, 1
	s_mov_b32 s5, 0
	s_waitcnt lgkmcnt(0)
	v_add_f32_e32 v0, v0, v6
	s_lshl_b64 s[4:5], s[4:5], 2
	v_mov_b32_e32 v6, 0
	s_add_u32 s4, s0, s4
	s_addc_u32 s5, s1, s5
	global_store_dword v6, v0, s[4:5]
.LBB56_11:
	s_or_b32 exec_lo, exec_lo, s3
	ds_bpermute_b32 v0, v1, v5
	s_waitcnt lgkmcnt(0)
	v_add_f32_e32 v0, v5, v0
	ds_bpermute_b32 v5, v2, v0
	s_waitcnt lgkmcnt(0)
	v_add_f32_e32 v0, v0, v5
	;; [unrolled: 3-line block ×4, first 2 shown]
	ds_bpermute_b32 v5, v9, v0
	s_and_saveexec_b32 s3, vcc_lo
	s_cbranch_execz .LBB56_13
; %bb.12:
	s_mul_i32 s4, s2, 3
	s_mov_b32 s5, 0
	s_waitcnt lgkmcnt(0)
	v_add_f32_e32 v0, v0, v5
	s_lshl_b64 s[4:5], s[4:5], 2
	v_mov_b32_e32 v5, 0
	s_add_u32 s4, s0, s4
	s_addc_u32 s5, s1, s5
	global_store_dword v5, v0, s[4:5]
.LBB56_13:
	s_or_b32 exec_lo, exec_lo, s3
	ds_bpermute_b32 v0, v1, v4
	s_waitcnt lgkmcnt(0)
	v_add_f32_e32 v0, v4, v0
	ds_bpermute_b32 v1, v2, v0
	s_waitcnt lgkmcnt(0)
	v_add_f32_e32 v0, v0, v1
	;; [unrolled: 3-line block ×4, first 2 shown]
	ds_bpermute_b32 v1, v9, v0
	s_and_b32 exec_lo, exec_lo, vcc_lo
	s_cbranch_execz .LBB56_15
; %bb.14:
	s_lshl_b32 s2, s2, 2
	s_mov_b32 s3, 0
	s_waitcnt lgkmcnt(0)
	v_add_f32_e32 v0, v0, v1
	s_lshl_b64 s[2:3], s[2:3], 2
	v_mov_b32_e32 v1, 0
	s_add_u32 s0, s0, s2
	s_addc_u32 s1, s1, s3
	global_store_dword v1, v0, s[0:1]
.LBB56_15:
	s_endpgm
	.section	.rodata,"a",@progbits
	.p2align	6, 0x0
	.amdhsa_kernel _ZL13mul_mat_vec_qIL9ggml_type7ELi5ELb0ELb0EEvPKvS2_PKi31ggml_cuda_mm_fusion_args_devicePfj15HIP_vector_typeIjLj3EEjjjS8_jjjS8_jjjj
		.amdhsa_group_segment_fixed_size 0
		.amdhsa_private_segment_fixed_size 0
		.amdhsa_kernarg_size 144
		.amdhsa_user_sgpr_count 6
		.amdhsa_user_sgpr_private_segment_buffer 1
		.amdhsa_user_sgpr_dispatch_ptr 0
		.amdhsa_user_sgpr_queue_ptr 0
		.amdhsa_user_sgpr_kernarg_segment_ptr 1
		.amdhsa_user_sgpr_dispatch_id 0
		.amdhsa_user_sgpr_flat_scratch_init 0
		.amdhsa_user_sgpr_private_segment_size 0
		.amdhsa_wavefront_size32 1
		.amdhsa_uses_dynamic_stack 0
		.amdhsa_system_sgpr_private_segment_wavefront_offset 0
		.amdhsa_system_sgpr_workgroup_id_x 1
		.amdhsa_system_sgpr_workgroup_id_y 1
		.amdhsa_system_sgpr_workgroup_id_z 1
		.amdhsa_system_sgpr_workgroup_info 0
		.amdhsa_system_vgpr_workitem_id 1
		.amdhsa_next_free_vgpr 62
		.amdhsa_next_free_sgpr 26
		.amdhsa_reserve_vcc 1
		.amdhsa_reserve_flat_scratch 0
		.amdhsa_float_round_mode_32 0
		.amdhsa_float_round_mode_16_64 0
		.amdhsa_float_denorm_mode_32 3
		.amdhsa_float_denorm_mode_16_64 3
		.amdhsa_dx10_clamp 1
		.amdhsa_ieee_mode 1
		.amdhsa_fp16_overflow 0
		.amdhsa_workgroup_processor_mode 1
		.amdhsa_memory_ordered 1
		.amdhsa_forward_progress 1
		.amdhsa_shared_vgpr_count 0
		.amdhsa_exception_fp_ieee_invalid_op 0
		.amdhsa_exception_fp_denorm_src 0
		.amdhsa_exception_fp_ieee_div_zero 0
		.amdhsa_exception_fp_ieee_overflow 0
		.amdhsa_exception_fp_ieee_underflow 0
		.amdhsa_exception_fp_ieee_inexact 0
		.amdhsa_exception_int_div_zero 0
	.end_amdhsa_kernel
	.section	.text._ZL13mul_mat_vec_qIL9ggml_type7ELi5ELb0ELb0EEvPKvS2_PKi31ggml_cuda_mm_fusion_args_devicePfj15HIP_vector_typeIjLj3EEjjjS8_jjjS8_jjjj,"axG",@progbits,_ZL13mul_mat_vec_qIL9ggml_type7ELi5ELb0ELb0EEvPKvS2_PKi31ggml_cuda_mm_fusion_args_devicePfj15HIP_vector_typeIjLj3EEjjjS8_jjjS8_jjjj,comdat
.Lfunc_end56:
	.size	_ZL13mul_mat_vec_qIL9ggml_type7ELi5ELb0ELb0EEvPKvS2_PKi31ggml_cuda_mm_fusion_args_devicePfj15HIP_vector_typeIjLj3EEjjjS8_jjjS8_jjjj, .Lfunc_end56-_ZL13mul_mat_vec_qIL9ggml_type7ELi5ELb0ELb0EEvPKvS2_PKi31ggml_cuda_mm_fusion_args_devicePfj15HIP_vector_typeIjLj3EEjjjS8_jjjS8_jjjj
                                        ; -- End function
	.set _ZL13mul_mat_vec_qIL9ggml_type7ELi5ELb0ELb0EEvPKvS2_PKi31ggml_cuda_mm_fusion_args_devicePfj15HIP_vector_typeIjLj3EEjjjS8_jjjS8_jjjj.num_vgpr, 62
	.set _ZL13mul_mat_vec_qIL9ggml_type7ELi5ELb0ELb0EEvPKvS2_PKi31ggml_cuda_mm_fusion_args_devicePfj15HIP_vector_typeIjLj3EEjjjS8_jjjS8_jjjj.num_agpr, 0
	.set _ZL13mul_mat_vec_qIL9ggml_type7ELi5ELb0ELb0EEvPKvS2_PKi31ggml_cuda_mm_fusion_args_devicePfj15HIP_vector_typeIjLj3EEjjjS8_jjjS8_jjjj.numbered_sgpr, 26
	.set _ZL13mul_mat_vec_qIL9ggml_type7ELi5ELb0ELb0EEvPKvS2_PKi31ggml_cuda_mm_fusion_args_devicePfj15HIP_vector_typeIjLj3EEjjjS8_jjjS8_jjjj.num_named_barrier, 0
	.set _ZL13mul_mat_vec_qIL9ggml_type7ELi5ELb0ELb0EEvPKvS2_PKi31ggml_cuda_mm_fusion_args_devicePfj15HIP_vector_typeIjLj3EEjjjS8_jjjS8_jjjj.private_seg_size, 0
	.set _ZL13mul_mat_vec_qIL9ggml_type7ELi5ELb0ELb0EEvPKvS2_PKi31ggml_cuda_mm_fusion_args_devicePfj15HIP_vector_typeIjLj3EEjjjS8_jjjS8_jjjj.uses_vcc, 1
	.set _ZL13mul_mat_vec_qIL9ggml_type7ELi5ELb0ELb0EEvPKvS2_PKi31ggml_cuda_mm_fusion_args_devicePfj15HIP_vector_typeIjLj3EEjjjS8_jjjS8_jjjj.uses_flat_scratch, 0
	.set _ZL13mul_mat_vec_qIL9ggml_type7ELi5ELb0ELb0EEvPKvS2_PKi31ggml_cuda_mm_fusion_args_devicePfj15HIP_vector_typeIjLj3EEjjjS8_jjjS8_jjjj.has_dyn_sized_stack, 0
	.set _ZL13mul_mat_vec_qIL9ggml_type7ELi5ELb0ELb0EEvPKvS2_PKi31ggml_cuda_mm_fusion_args_devicePfj15HIP_vector_typeIjLj3EEjjjS8_jjjS8_jjjj.has_recursion, 0
	.set _ZL13mul_mat_vec_qIL9ggml_type7ELi5ELb0ELb0EEvPKvS2_PKi31ggml_cuda_mm_fusion_args_devicePfj15HIP_vector_typeIjLj3EEjjjS8_jjjS8_jjjj.has_indirect_call, 0
	.section	.AMDGPU.csdata,"",@progbits
; Kernel info:
; codeLenInByte = 1980
; TotalNumSgprs: 28
; NumVgprs: 62
; ScratchSize: 0
; MemoryBound: 0
; FloatMode: 240
; IeeeMode: 1
; LDSByteSize: 0 bytes/workgroup (compile time only)
; SGPRBlocks: 0
; VGPRBlocks: 7
; NumSGPRsForWavesPerEU: 28
; NumVGPRsForWavesPerEU: 62
; Occupancy: 16
; WaveLimiterHint : 0
; COMPUTE_PGM_RSRC2:SCRATCH_EN: 0
; COMPUTE_PGM_RSRC2:USER_SGPR: 6
; COMPUTE_PGM_RSRC2:TRAP_HANDLER: 0
; COMPUTE_PGM_RSRC2:TGID_X_EN: 1
; COMPUTE_PGM_RSRC2:TGID_Y_EN: 1
; COMPUTE_PGM_RSRC2:TGID_Z_EN: 1
; COMPUTE_PGM_RSRC2:TIDIG_COMP_CNT: 1
	.section	.text._ZL13mul_mat_vec_qIL9ggml_type7ELi6ELb0ELb0EEvPKvS2_PKi31ggml_cuda_mm_fusion_args_devicePfj15HIP_vector_typeIjLj3EEjjjS8_jjjS8_jjjj,"axG",@progbits,_ZL13mul_mat_vec_qIL9ggml_type7ELi6ELb0ELb0EEvPKvS2_PKi31ggml_cuda_mm_fusion_args_devicePfj15HIP_vector_typeIjLj3EEjjjS8_jjjS8_jjjj,comdat
	.globl	_ZL13mul_mat_vec_qIL9ggml_type7ELi6ELb0ELb0EEvPKvS2_PKi31ggml_cuda_mm_fusion_args_devicePfj15HIP_vector_typeIjLj3EEjjjS8_jjjS8_jjjj ; -- Begin function _ZL13mul_mat_vec_qIL9ggml_type7ELi6ELb0ELb0EEvPKvS2_PKi31ggml_cuda_mm_fusion_args_devicePfj15HIP_vector_typeIjLj3EEjjjS8_jjjS8_jjjj
	.p2align	8
	.type	_ZL13mul_mat_vec_qIL9ggml_type7ELi6ELb0ELb0EEvPKvS2_PKi31ggml_cuda_mm_fusion_args_devicePfj15HIP_vector_typeIjLj3EEjjjS8_jjjS8_jjjj,@function
_ZL13mul_mat_vec_qIL9ggml_type7ELi6ELb0ELb0EEvPKvS2_PKi31ggml_cuda_mm_fusion_args_devicePfj15HIP_vector_typeIjLj3EEjjjS8_jjjS8_jjjj: ; @_ZL13mul_mat_vec_qIL9ggml_type7ELi6ELb0ELb0EEvPKvS2_PKi31ggml_cuda_mm_fusion_args_devicePfj15HIP_vector_typeIjLj3EEjjjS8_jjjS8_jjjj
; %bb.0:
	s_clause 0x5
	s_load_dwordx4 s[16:19], s[4:5], 0x80
	s_load_dword s9, s[4:5], 0x40
	s_load_dwordx4 s[0:3], s[4:5], 0x50
	s_load_dword s24, s[4:5], 0x60
	;; [unrolled: 2-line block ×3, first 2 shown]
	v_lshl_or_b32 v2, v1, 5, v0
	v_mov_b32_e32 v4, 0
	v_mov_b32_e32 v5, 0
	;; [unrolled: 1-line block ×4, first 2 shown]
	v_lshrrev_b16 v3, 1, v2
	v_mov_b32_e32 v8, 0
	v_mov_b32_e32 v10, 0
	v_and_b32_e32 v9, 0xffff, v3
	s_waitcnt lgkmcnt(0)
	s_lshr_b32 s19, s9, 5
	s_mov_b32 s9, exec_lo
	v_cmpx_gt_u32_e64 s19, v9
	s_cbranch_execz .LBB57_4
; %bb.1:
	s_load_dwordx4 s[20:23], s[4:5], 0x0
	v_lshlrev_b32_e32 v3, 1, v0
	s_mul_i32 s10, s17, s8
	s_mul_i32 s11, s13, s7
	s_mul_hi_u32 s13, s15, s8
	s_mul_hi_u32 s15, s10, 36
	v_and_b32_e32 v5, 2, v3
	s_mul_i32 s10, s10, 36
	v_and_b32_e32 v3, 1, v0
	v_lshrrev_b32_e32 v2, 1, v2
	s_mul_hi_u32 s17, s11, 36
	s_mul_i32 s11, s11, 36
	s_mul_hi_u32 s3, s3, s7
	v_lshlrev_b32_e32 v11, 2, v5
	v_lshlrev_b32_e32 v12, 3, v3
	s_mul_i32 s0, s0, s6
	v_mov_b32_e32 v4, 0
	v_lshlrev_b32_e32 v14, 2, v5
	v_or_b32_e32 v13, 4, v11
	v_mov_b32_e32 v5, 0
	s_waitcnt lgkmcnt(0)
	s_add_u32 s10, s22, s10
	s_addc_u32 s15, s23, s15
	s_add_u32 s10, s10, s11
	s_addc_u32 s11, s15, s17
	s_add_i32 s3, s7, s3
	s_add_i32 s13, s8, s13
	s_lshr_b32 s3, s3, s24
	v_mad_u64_u32 v[2:3], null, v2, 36, s[10:11]
	s_lshr_b32 s13, s13, s25
	s_mul_i32 s3, s3, s12
	v_mov_b32_e32 v6, 0
	v_mov_b32_e32 v7, 0
	;; [unrolled: 1-line block ×4, first 2 shown]
	s_mul_i32 s12, s13, s16
	s_add_i32 s3, s3, s0
	s_lshl_b32 s13, s1, 2
	s_add_i32 s0, s12, s3
	s_lshl_b32 s3, s1, 1
	s_mul_i32 s12, s1, 3
	s_mul_i32 s16, s1, 5
	s_mov_b32 s15, 0
.LBB57_2:                               ; =>This Inner Loop Header: Depth=1
	v_add_nc_u32_e32 v17, s0, v9
	v_add_nc_u32_e32 v21, s1, v9
	;; [unrolled: 1-line block ×5, first 2 shown]
	v_mad_i64_i32 v[17:18], null, v17, 24, s[20:21]
	v_mad_u64_u32 v[21:22], null, v21, 36, s[10:11]
	v_mad_u64_u32 v[23:24], null, v23, 36, s[10:11]
	v_add_nc_u32_e32 v29, s16, v9
	v_add_co_u32 v15, vcc_lo, v2, v12
	v_mad_u64_u32 v[25:26], null, v25, 36, s[10:11]
	v_add_co_ci_u32_e64 v16, null, 0, v3, vcc_lo
	v_mad_u64_u32 v[27:28], null, v27, 36, s[10:11]
	v_add_co_u32 v31, vcc_lo, v17, v14
	v_mad_u64_u32 v[29:30], null, v29, 36, s[10:11]
	v_add_co_ci_u32_e64 v32, null, 0, v18, vcc_lo
	v_add_co_u32 v33, vcc_lo, v21, v14
	v_add_co_ci_u32_e64 v34, null, 0, v22, vcc_lo
	v_add_co_u32 v35, vcc_lo, v23, v14
	;; [unrolled: 2-line block ×5, first 2 shown]
	v_add_co_ci_u32_e64 v42, null, 0, v30, vcc_lo
	s_clause 0x2
	global_load_dword v45, v[2:3], off
	global_load_dwordx2 v[19:20], v[15:16], off offset:4
	global_load_dwordx2 v[15:16], v[15:16], off offset:20
	s_clause 0x1
	global_load_dwordx2 v[17:18], v[17:18], off
	global_load_dwordx2 v[31:32], v[31:32], off offset:8
	s_clause 0xe
	global_load_dwordx2 v[43:44], v[33:34], off offset:4
	global_load_dwordx2 v[33:34], v[33:34], off offset:20
	global_load_dword v46, v[23:24], off
	global_load_dword v47, v[21:22], off
	global_load_dwordx2 v[21:22], v[35:36], off offset:4
	global_load_dwordx2 v[23:24], v[35:36], off offset:20
	;; [unrolled: 1-line block ×3, first 2 shown]
	global_load_dword v48, v[25:26], off
	global_load_dwordx2 v[25:26], v[37:38], off offset:20
	global_load_dwordx2 v[37:38], v[39:40], off offset:4
	;; [unrolled: 1-line block ×3, first 2 shown]
	global_load_dword v49, v[27:28], off
	global_load_dwordx2 v[27:28], v[41:42], off offset:4
	global_load_dwordx2 v[41:42], v[41:42], off offset:20
	global_load_dword v29, v[29:30], off
	v_mov_b32_e32 v30, 0
	v_mov_b32_e32 v50, 0
	;; [unrolled: 1-line block ×6, first 2 shown]
	v_add_nc_u32_e32 v9, 16, v9
	v_add_co_u32 v2, vcc_lo, 0x240, v2
	v_add_co_ci_u32_e64 v3, null, 0, v3, vcc_lo
	v_cmp_le_u32_e32 vcc_lo, s19, v9
	s_or_b32 s15, vcc_lo, s15
	s_waitcnt vmcnt(16)
	v_ashrrev_i32_e32 v55, v11, v18
	v_ashrrev_i32_e32 v18, v13, v18
	s_waitcnt vmcnt(15)
	v_and_b32_e32 v56, 0xf0f0f0f, v31
	v_lshrrev_b32_e32 v31, 4, v31
	s_waitcnt vmcnt(12)
	v_pk_mul_f16 v46, v17, v46
	v_lshlrev_b32_e32 v57, 4, v55
	v_lshlrev_b32_e32 v58, 11, v55
	v_lshrrev_b32_e32 v59, 12, v55
	v_lshrrev_b32_e32 v60, 5, v55
	s_waitcnt vmcnt(11)
	v_pk_mul_f16 v47, v17, v47
	v_and_b32_e32 v57, 16, v57
	v_and_b32_e32 v58, 0x1000, v58
	s_waitcnt vmcnt(7)
	v_pk_mul_f16 v48, v17, v48
	s_waitcnt vmcnt(3)
	v_pk_mul_f16 v49, v17, v49
	v_pk_mul_f16 v45, v17, v45
	v_lshlrev_b32_e32 v61, 4, v18
	s_waitcnt vmcnt(0)
	v_pk_mul_f16 v17, v17, v29
	v_lshlrev_b32_e32 v29, 2, v55
	v_or3_b32 v56, v57, v56, v58
	v_lshlrev_b32_e32 v57, 11, v18
	v_lshlrev_b32_e32 v58, 18, v18
	v_and_b32_e32 v59, 16, v59
	v_and_b32_e32 v60, 0x1000, v60
	;; [unrolled: 1-line block ×7, first 2 shown]
	v_or3_b32 v29, v60, v59, v29
	v_lshrrev_b32_e32 v59, 12, v18
	v_lshrrev_b32_e32 v60, 5, v18
	v_or3_b32 v57, v57, v61, v58
	v_lshlrev_b32_e32 v58, 2, v18
	v_lshlrev_b32_e32 v61, 18, v55
	v_and_b32_e32 v59, 16, v59
	v_and_b32_e32 v60, 0x1000, v60
	;; [unrolled: 1-line block ×3, first 2 shown]
	v_or3_b32 v58, v60, v59, v58
	v_lshlrev_b32_e32 v59, 25, v55
	v_lshlrev_b32_e32 v55, 9, v55
	v_and_b32_e32 v60, 0x100000, v61
	v_cvt_f32_f16_sdwa v61, v45 dst_sel:DWORD dst_unused:UNUSED_PAD src0_sel:WORD_1
	v_and_b32_e32 v59, 0x10000000, v59
	v_and_b32_e32 v55, 0x10000000, v55
	v_mul_f32_e32 v61, 0.5, v61
	v_or3_b32 v56, v56, v60, v59
	v_lshlrev_b32_e32 v60, 25, v18
	v_and_b32_e32 v59, 0xf0f0f0f, v32
	v_lshrrev_b32_e32 v32, 4, v32
	v_lshlrev_b32_e32 v18, 9, v18
	v_or3_b32 v29, v29, v55, v31
	v_and_b32_e32 v60, 0x10000000, v60
	v_dot4c_i32_i8 v30, v56, v19
	v_dot4c_i32_i8 v50, v56, v43
	v_dot4c_i32_i8 v51, v56, v21
	v_dot4c_i32_i8 v52, v56, v35
	v_dot4c_i32_i8 v53, v56, v37
	v_dot4c_i32_i8 v54, v56, v27
	v_and_b32_e32 v32, 0xf0f0f0f, v32
	v_and_b32_e32 v18, 0x10000000, v18
	v_or3_b32 v57, v57, v60, v59
	v_dot4c_i32_i8 v30, v29, v15
	v_dot4c_i32_i8 v50, v29, v33
	;; [unrolled: 1-line block ×6, first 2 shown]
	v_or3_b32 v18, v58, v18, v32
	v_dot4c_i32_i8 v30, v57, v20
	v_dot4c_i32_i8 v50, v57, v44
	;; [unrolled: 1-line block ×6, first 2 shown]
	v_cvt_f32_f16_sdwa v31, v47 dst_sel:DWORD dst_unused:UNUSED_PAD src0_sel:WORD_1
	v_cvt_f32_f16_sdwa v55, v46 dst_sel:DWORD dst_unused:UNUSED_PAD src0_sel:WORD_1
	;; [unrolled: 1-line block ×5, first 2 shown]
	v_dot4c_i32_i8 v30, v18, v16
	v_dot4c_i32_i8 v50, v18, v34
	;; [unrolled: 1-line block ×6, first 2 shown]
	v_mul_f32_e32 v31, 0.5, v31
	v_mul_f32_e32 v55, 0.5, v55
	;; [unrolled: 1-line block ×5, first 2 shown]
	v_cvt_f32_i32_e32 v15, v30
	v_cvt_f32_i32_e32 v16, v50
	;; [unrolled: 1-line block ×6, first 2 shown]
	v_fma_mix_f32 v15, v15, v45, v61 op_sel_hi:[0,1,0]
	v_fma_mix_f32 v16, v16, v47, v31 op_sel_hi:[0,1,0]
	;; [unrolled: 1-line block ×6, first 2 shown]
	v_add_f32_e32 v10, v10, v15
	v_add_f32_e32 v8, v8, v16
	v_add_f32_e32 v7, v7, v18
	v_add_f32_e32 v6, v6, v19
	v_add_f32_e32 v5, v5, v20
	v_add_f32_e32 v4, v4, v17
	s_andn2_b32 exec_lo, exec_lo, s15
	s_cbranch_execnz .LBB57_2
; %bb.3:
	s_or_b32 exec_lo, exec_lo, s15
.LBB57_4:
	s_or_b32 exec_lo, exec_lo, s9
	s_mov_b32 s1, 0
	; wave barrier
	buffer_gl0_inv
	s_mov_b32 s0, exec_lo
	v_cmpx_eq_u32_e32 0, v1
	s_cbranch_execz .LBB57_17
; %bb.5:
	v_mbcnt_lo_u32_b32 v11, -1, 0
	s_load_dwordx2 s[4:5], s[4:5], 0x38
	s_mul_i32 s0, s14, s7
	s_mul_i32 s3, s18, s8
	s_add_i32 s0, s0, s6
	v_xor_b32_e32 v1, 16, v11
	v_xor_b32_e32 v2, 8, v11
	s_add_i32 s0, s0, s3
	s_lshl_b64 s[0:1], s[0:1], 2
	v_cmp_gt_i32_e32 vcc_lo, 32, v1
	v_cndmask_b32_e32 v1, v11, v1, vcc_lo
	v_cmp_gt_i32_e32 vcc_lo, 32, v2
	v_lshlrev_b32_e32 v1, 2, v1
	v_cndmask_b32_e32 v2, v11, v2, vcc_lo
	s_waitcnt lgkmcnt(0)
	s_add_u32 s0, s4, s0
	s_addc_u32 s1, s5, s1
	ds_bpermute_b32 v3, v1, v10
	v_lshlrev_b32_e32 v2, 2, v2
	s_waitcnt lgkmcnt(0)
	v_add_f32_e32 v9, v10, v3
	v_xor_b32_e32 v3, 4, v11
	ds_bpermute_b32 v10, v2, v9
	v_cmp_gt_i32_e32 vcc_lo, 32, v3
	v_cndmask_b32_e32 v3, v11, v3, vcc_lo
	v_lshlrev_b32_e32 v3, 2, v3
	s_waitcnt lgkmcnt(0)
	v_add_f32_e32 v10, v9, v10
	v_xor_b32_e32 v9, 2, v11
	ds_bpermute_b32 v12, v3, v10
	v_cmp_gt_i32_e32 vcc_lo, 32, v9
	v_cndmask_b32_e32 v9, v11, v9, vcc_lo
	;; [unrolled: 7-line block ×3, first 2 shown]
	v_cmp_eq_u32_e32 vcc_lo, 0, v0
	v_lshlrev_b32_e32 v10, 2, v10
	s_waitcnt lgkmcnt(0)
	v_add_f32_e32 v11, v12, v13
	ds_bpermute_b32 v12, v10, v11
	s_and_saveexec_b32 s3, vcc_lo
	s_cbranch_execz .LBB57_7
; %bb.6:
	s_waitcnt lgkmcnt(0)
	v_add_f32_e32 v0, v11, v12
	v_mov_b32_e32 v11, 0
	global_store_dword v11, v0, s[0:1]
.LBB57_7:
	s_or_b32 exec_lo, exec_lo, s3
	ds_bpermute_b32 v0, v1, v8
	s_waitcnt lgkmcnt(0)
	v_add_f32_e32 v0, v8, v0
	ds_bpermute_b32 v8, v2, v0
	s_waitcnt lgkmcnt(0)
	v_add_f32_e32 v0, v0, v8
	;; [unrolled: 3-line block ×4, first 2 shown]
	ds_bpermute_b32 v8, v10, v0
	s_and_saveexec_b32 s4, vcc_lo
	s_cbranch_execz .LBB57_9
; %bb.8:
	s_mov_b32 s3, 0
	s_waitcnt lgkmcnt(0)
	v_add_f32_e32 v0, v0, v8
	s_lshl_b64 s[6:7], s[2:3], 2
	v_mov_b32_e32 v8, 0
	s_add_u32 s6, s0, s6
	s_addc_u32 s7, s1, s7
	global_store_dword v8, v0, s[6:7]
.LBB57_9:
	s_or_b32 exec_lo, exec_lo, s4
	ds_bpermute_b32 v0, v1, v7
	s_waitcnt lgkmcnt(0)
	v_add_f32_e32 v0, v7, v0
	ds_bpermute_b32 v7, v2, v0
	s_waitcnt lgkmcnt(0)
	v_add_f32_e32 v0, v0, v7
	;; [unrolled: 3-line block ×4, first 2 shown]
	ds_bpermute_b32 v7, v10, v0
	s_and_saveexec_b32 s3, vcc_lo
	s_cbranch_execz .LBB57_11
; %bb.10:
	s_lshl_b32 s4, s2, 1
	s_mov_b32 s5, 0
	s_waitcnt lgkmcnt(0)
	v_add_f32_e32 v0, v0, v7
	s_lshl_b64 s[4:5], s[4:5], 2
	v_mov_b32_e32 v7, 0
	s_add_u32 s4, s0, s4
	s_addc_u32 s5, s1, s5
	global_store_dword v7, v0, s[4:5]
.LBB57_11:
	s_or_b32 exec_lo, exec_lo, s3
	ds_bpermute_b32 v0, v1, v6
	s_waitcnt lgkmcnt(0)
	v_add_f32_e32 v0, v6, v0
	ds_bpermute_b32 v6, v2, v0
	s_waitcnt lgkmcnt(0)
	v_add_f32_e32 v0, v0, v6
	;; [unrolled: 3-line block ×4, first 2 shown]
	ds_bpermute_b32 v6, v10, v0
	s_and_saveexec_b32 s3, vcc_lo
	s_cbranch_execz .LBB57_13
; %bb.12:
	s_mul_i32 s4, s2, 3
	s_mov_b32 s5, 0
	s_waitcnt lgkmcnt(0)
	v_add_f32_e32 v0, v0, v6
	s_lshl_b64 s[4:5], s[4:5], 2
	v_mov_b32_e32 v6, 0
	s_add_u32 s4, s0, s4
	s_addc_u32 s5, s1, s5
	global_store_dword v6, v0, s[4:5]
.LBB57_13:
	s_or_b32 exec_lo, exec_lo, s3
	ds_bpermute_b32 v0, v1, v5
	s_waitcnt lgkmcnt(0)
	v_add_f32_e32 v0, v5, v0
	ds_bpermute_b32 v5, v2, v0
	s_waitcnt lgkmcnt(0)
	v_add_f32_e32 v0, v0, v5
	;; [unrolled: 3-line block ×4, first 2 shown]
	ds_bpermute_b32 v5, v10, v0
	s_and_saveexec_b32 s3, vcc_lo
	s_cbranch_execz .LBB57_15
; %bb.14:
	s_lshl_b32 s4, s2, 2
	s_mov_b32 s5, 0
	s_waitcnt lgkmcnt(0)
	v_add_f32_e32 v0, v0, v5
	s_lshl_b64 s[4:5], s[4:5], 2
	v_mov_b32_e32 v5, 0
	s_add_u32 s4, s0, s4
	s_addc_u32 s5, s1, s5
	global_store_dword v5, v0, s[4:5]
.LBB57_15:
	s_or_b32 exec_lo, exec_lo, s3
	ds_bpermute_b32 v0, v1, v4
	s_waitcnt lgkmcnt(0)
	v_add_f32_e32 v0, v4, v0
	ds_bpermute_b32 v1, v2, v0
	s_waitcnt lgkmcnt(0)
	v_add_f32_e32 v0, v0, v1
	;; [unrolled: 3-line block ×4, first 2 shown]
	ds_bpermute_b32 v1, v10, v0
	s_and_b32 exec_lo, exec_lo, vcc_lo
	s_cbranch_execz .LBB57_17
; %bb.16:
	s_mul_i32 s2, s2, 5
	s_mov_b32 s3, 0
	s_waitcnt lgkmcnt(0)
	v_add_f32_e32 v0, v0, v1
	s_lshl_b64 s[2:3], s[2:3], 2
	v_mov_b32_e32 v1, 0
	s_add_u32 s0, s0, s2
	s_addc_u32 s1, s1, s3
	global_store_dword v1, v0, s[0:1]
.LBB57_17:
	s_endpgm
	.section	.rodata,"a",@progbits
	.p2align	6, 0x0
	.amdhsa_kernel _ZL13mul_mat_vec_qIL9ggml_type7ELi6ELb0ELb0EEvPKvS2_PKi31ggml_cuda_mm_fusion_args_devicePfj15HIP_vector_typeIjLj3EEjjjS8_jjjS8_jjjj
		.amdhsa_group_segment_fixed_size 0
		.amdhsa_private_segment_fixed_size 0
		.amdhsa_kernarg_size 144
		.amdhsa_user_sgpr_count 6
		.amdhsa_user_sgpr_private_segment_buffer 1
		.amdhsa_user_sgpr_dispatch_ptr 0
		.amdhsa_user_sgpr_queue_ptr 0
		.amdhsa_user_sgpr_kernarg_segment_ptr 1
		.amdhsa_user_sgpr_dispatch_id 0
		.amdhsa_user_sgpr_flat_scratch_init 0
		.amdhsa_user_sgpr_private_segment_size 0
		.amdhsa_wavefront_size32 1
		.amdhsa_uses_dynamic_stack 0
		.amdhsa_system_sgpr_private_segment_wavefront_offset 0
		.amdhsa_system_sgpr_workgroup_id_x 1
		.amdhsa_system_sgpr_workgroup_id_y 1
		.amdhsa_system_sgpr_workgroup_id_z 1
		.amdhsa_system_sgpr_workgroup_info 0
		.amdhsa_system_vgpr_workitem_id 1
		.amdhsa_next_free_vgpr 62
		.amdhsa_next_free_sgpr 26
		.amdhsa_reserve_vcc 1
		.amdhsa_reserve_flat_scratch 0
		.amdhsa_float_round_mode_32 0
		.amdhsa_float_round_mode_16_64 0
		.amdhsa_float_denorm_mode_32 3
		.amdhsa_float_denorm_mode_16_64 3
		.amdhsa_dx10_clamp 1
		.amdhsa_ieee_mode 1
		.amdhsa_fp16_overflow 0
		.amdhsa_workgroup_processor_mode 1
		.amdhsa_memory_ordered 1
		.amdhsa_forward_progress 1
		.amdhsa_shared_vgpr_count 0
		.amdhsa_exception_fp_ieee_invalid_op 0
		.amdhsa_exception_fp_denorm_src 0
		.amdhsa_exception_fp_ieee_div_zero 0
		.amdhsa_exception_fp_ieee_overflow 0
		.amdhsa_exception_fp_ieee_underflow 0
		.amdhsa_exception_fp_ieee_inexact 0
		.amdhsa_exception_int_div_zero 0
	.end_amdhsa_kernel
	.section	.text._ZL13mul_mat_vec_qIL9ggml_type7ELi6ELb0ELb0EEvPKvS2_PKi31ggml_cuda_mm_fusion_args_devicePfj15HIP_vector_typeIjLj3EEjjjS8_jjjS8_jjjj,"axG",@progbits,_ZL13mul_mat_vec_qIL9ggml_type7ELi6ELb0ELb0EEvPKvS2_PKi31ggml_cuda_mm_fusion_args_devicePfj15HIP_vector_typeIjLj3EEjjjS8_jjjS8_jjjj,comdat
.Lfunc_end57:
	.size	_ZL13mul_mat_vec_qIL9ggml_type7ELi6ELb0ELb0EEvPKvS2_PKi31ggml_cuda_mm_fusion_args_devicePfj15HIP_vector_typeIjLj3EEjjjS8_jjjS8_jjjj, .Lfunc_end57-_ZL13mul_mat_vec_qIL9ggml_type7ELi6ELb0ELb0EEvPKvS2_PKi31ggml_cuda_mm_fusion_args_devicePfj15HIP_vector_typeIjLj3EEjjjS8_jjjS8_jjjj
                                        ; -- End function
	.set _ZL13mul_mat_vec_qIL9ggml_type7ELi6ELb0ELb0EEvPKvS2_PKi31ggml_cuda_mm_fusion_args_devicePfj15HIP_vector_typeIjLj3EEjjjS8_jjjS8_jjjj.num_vgpr, 62
	.set _ZL13mul_mat_vec_qIL9ggml_type7ELi6ELb0ELb0EEvPKvS2_PKi31ggml_cuda_mm_fusion_args_devicePfj15HIP_vector_typeIjLj3EEjjjS8_jjjS8_jjjj.num_agpr, 0
	.set _ZL13mul_mat_vec_qIL9ggml_type7ELi6ELb0ELb0EEvPKvS2_PKi31ggml_cuda_mm_fusion_args_devicePfj15HIP_vector_typeIjLj3EEjjjS8_jjjS8_jjjj.numbered_sgpr, 26
	.set _ZL13mul_mat_vec_qIL9ggml_type7ELi6ELb0ELb0EEvPKvS2_PKi31ggml_cuda_mm_fusion_args_devicePfj15HIP_vector_typeIjLj3EEjjjS8_jjjS8_jjjj.num_named_barrier, 0
	.set _ZL13mul_mat_vec_qIL9ggml_type7ELi6ELb0ELb0EEvPKvS2_PKi31ggml_cuda_mm_fusion_args_devicePfj15HIP_vector_typeIjLj3EEjjjS8_jjjS8_jjjj.private_seg_size, 0
	.set _ZL13mul_mat_vec_qIL9ggml_type7ELi6ELb0ELb0EEvPKvS2_PKi31ggml_cuda_mm_fusion_args_devicePfj15HIP_vector_typeIjLj3EEjjjS8_jjjS8_jjjj.uses_vcc, 1
	.set _ZL13mul_mat_vec_qIL9ggml_type7ELi6ELb0ELb0EEvPKvS2_PKi31ggml_cuda_mm_fusion_args_devicePfj15HIP_vector_typeIjLj3EEjjjS8_jjjS8_jjjj.uses_flat_scratch, 0
	.set _ZL13mul_mat_vec_qIL9ggml_type7ELi6ELb0ELb0EEvPKvS2_PKi31ggml_cuda_mm_fusion_args_devicePfj15HIP_vector_typeIjLj3EEjjjS8_jjjS8_jjjj.has_dyn_sized_stack, 0
	.set _ZL13mul_mat_vec_qIL9ggml_type7ELi6ELb0ELb0EEvPKvS2_PKi31ggml_cuda_mm_fusion_args_devicePfj15HIP_vector_typeIjLj3EEjjjS8_jjjS8_jjjj.has_recursion, 0
	.set _ZL13mul_mat_vec_qIL9ggml_type7ELi6ELb0ELb0EEvPKvS2_PKi31ggml_cuda_mm_fusion_args_devicePfj15HIP_vector_typeIjLj3EEjjjS8_jjjS8_jjjj.has_indirect_call, 0
	.section	.AMDGPU.csdata,"",@progbits
; Kernel info:
; codeLenInByte = 2236
; TotalNumSgprs: 28
; NumVgprs: 62
; ScratchSize: 0
; MemoryBound: 0
; FloatMode: 240
; IeeeMode: 1
; LDSByteSize: 0 bytes/workgroup (compile time only)
; SGPRBlocks: 0
; VGPRBlocks: 7
; NumSGPRsForWavesPerEU: 28
; NumVGPRsForWavesPerEU: 62
; Occupancy: 16
; WaveLimiterHint : 0
; COMPUTE_PGM_RSRC2:SCRATCH_EN: 0
; COMPUTE_PGM_RSRC2:USER_SGPR: 6
; COMPUTE_PGM_RSRC2:TRAP_HANDLER: 0
; COMPUTE_PGM_RSRC2:TGID_X_EN: 1
; COMPUTE_PGM_RSRC2:TGID_Y_EN: 1
; COMPUTE_PGM_RSRC2:TGID_Z_EN: 1
; COMPUTE_PGM_RSRC2:TIDIG_COMP_CNT: 1
	.section	.text._ZL13mul_mat_vec_qIL9ggml_type7ELi7ELb0ELb0EEvPKvS2_PKi31ggml_cuda_mm_fusion_args_devicePfj15HIP_vector_typeIjLj3EEjjjS8_jjjS8_jjjj,"axG",@progbits,_ZL13mul_mat_vec_qIL9ggml_type7ELi7ELb0ELb0EEvPKvS2_PKi31ggml_cuda_mm_fusion_args_devicePfj15HIP_vector_typeIjLj3EEjjjS8_jjjS8_jjjj,comdat
	.globl	_ZL13mul_mat_vec_qIL9ggml_type7ELi7ELb0ELb0EEvPKvS2_PKi31ggml_cuda_mm_fusion_args_devicePfj15HIP_vector_typeIjLj3EEjjjS8_jjjS8_jjjj ; -- Begin function _ZL13mul_mat_vec_qIL9ggml_type7ELi7ELb0ELb0EEvPKvS2_PKi31ggml_cuda_mm_fusion_args_devicePfj15HIP_vector_typeIjLj3EEjjjS8_jjjS8_jjjj
	.p2align	8
	.type	_ZL13mul_mat_vec_qIL9ggml_type7ELi7ELb0ELb0EEvPKvS2_PKi31ggml_cuda_mm_fusion_args_devicePfj15HIP_vector_typeIjLj3EEjjjS8_jjjS8_jjjj,@function
_ZL13mul_mat_vec_qIL9ggml_type7ELi7ELb0ELb0EEvPKvS2_PKi31ggml_cuda_mm_fusion_args_devicePfj15HIP_vector_typeIjLj3EEjjjS8_jjjS8_jjjj: ; @_ZL13mul_mat_vec_qIL9ggml_type7ELi7ELb0ELb0EEvPKvS2_PKi31ggml_cuda_mm_fusion_args_devicePfj15HIP_vector_typeIjLj3EEjjjS8_jjjS8_jjjj
; %bb.0:
	s_clause 0x5
	s_load_dwordx4 s[16:19], s[4:5], 0x80
	s_load_dword s9, s[4:5], 0x40
	s_load_dwordx4 s[0:3], s[4:5], 0x50
	s_load_dword s24, s[4:5], 0x60
	;; [unrolled: 2-line block ×3, first 2 shown]
	v_lshl_or_b32 v2, v1, 5, v0
	v_mov_b32_e32 v4, 0
	v_mov_b32_e32 v5, 0
	;; [unrolled: 1-line block ×4, first 2 shown]
	v_lshrrev_b16 v3, 1, v2
	v_mov_b32_e32 v8, 0
	v_mov_b32_e32 v9, 0
	;; [unrolled: 1-line block ×3, first 2 shown]
	v_and_b32_e32 v10, 0xffff, v3
	s_waitcnt lgkmcnt(0)
	s_lshr_b32 s19, s9, 5
	s_mov_b32 s9, exec_lo
	v_cmpx_gt_u32_e64 s19, v10
	s_cbranch_execz .LBB58_4
; %bb.1:
	s_load_dwordx4 s[20:23], s[4:5], 0x0
	v_lshlrev_b32_e32 v3, 1, v0
	s_mul_i32 s10, s17, s8
	s_mul_i32 s11, s13, s7
	s_mul_hi_u32 s13, s15, s8
	s_mul_hi_u32 s15, s10, 36
	v_and_b32_e32 v5, 2, v3
	s_mul_i32 s10, s10, 36
	v_and_b32_e32 v3, 1, v0
	v_lshrrev_b32_e32 v2, 1, v2
	s_mul_hi_u32 s17, s11, 36
	s_mul_i32 s11, s11, 36
	s_mul_hi_u32 s3, s3, s7
	v_lshlrev_b32_e32 v12, 2, v5
	v_lshlrev_b32_e32 v13, 3, v3
	s_mul_i32 s0, s0, s6
	v_mov_b32_e32 v4, 0
	v_lshlrev_b32_e32 v15, 2, v5
	v_or_b32_e32 v14, 4, v12
	v_mov_b32_e32 v5, 0
	s_waitcnt lgkmcnt(0)
	s_add_u32 s10, s22, s10
	s_addc_u32 s15, s23, s15
	s_add_u32 s10, s10, s11
	s_addc_u32 s11, s15, s17
	s_add_i32 s3, s7, s3
	s_add_i32 s13, s8, s13
	s_lshr_b32 s3, s3, s24
	v_mad_u64_u32 v[2:3], null, v2, 36, s[10:11]
	s_lshr_b32 s13, s13, s25
	s_mul_i32 s3, s3, s12
	v_mov_b32_e32 v6, 0
	v_mov_b32_e32 v7, 0
	;; [unrolled: 1-line block ×5, first 2 shown]
	s_mul_i32 s12, s13, s16
	s_add_i32 s3, s3, s0
	s_lshl_b32 s13, s1, 2
	s_add_i32 s0, s12, s3
	s_lshl_b32 s3, s1, 1
	s_mul_i32 s12, s1, 3
	s_mul_i32 s15, s1, 5
	;; [unrolled: 1-line block ×3, first 2 shown]
	s_mov_b32 s16, 0
.LBB58_2:                               ; =>This Inner Loop Header: Depth=1
	v_add_nc_u32_e32 v18, s0, v10
	v_add_nc_u32_e32 v22, s1, v10
	;; [unrolled: 1-line block ×5, first 2 shown]
	v_mad_i64_i32 v[18:19], null, v18, 24, s[20:21]
	v_mad_u64_u32 v[22:23], null, v22, 36, s[10:11]
	v_mad_u64_u32 v[24:25], null, v24, 36, s[10:11]
	v_add_nc_u32_e32 v30, s15, v10
	v_add_co_u32 v16, vcc_lo, v2, v13
	v_mad_u64_u32 v[26:27], null, v26, 36, s[10:11]
	v_add_nc_u32_e32 v32, s17, v10
	v_add_co_ci_u32_e64 v17, null, 0, v3, vcc_lo
	v_mad_u64_u32 v[28:29], null, v28, 36, s[10:11]
	v_add_co_u32 v34, vcc_lo, v18, v15
	v_mad_u64_u32 v[30:31], null, v30, 36, s[10:11]
	v_add_co_ci_u32_e64 v35, null, 0, v19, vcc_lo
	v_add_co_u32 v36, vcc_lo, v22, v15
	v_mad_u64_u32 v[32:33], null, v32, 36, s[10:11]
	v_add_co_ci_u32_e64 v37, null, 0, v23, vcc_lo
	v_add_co_u32 v38, vcc_lo, v24, v15
	v_add_co_ci_u32_e64 v39, null, 0, v25, vcc_lo
	v_add_co_u32 v40, vcc_lo, v26, v15
	;; [unrolled: 2-line block ×5, first 2 shown]
	v_add_co_ci_u32_e64 v47, null, 0, v33, vcc_lo
	s_clause 0x2
	global_load_dword v52, v[2:3], off
	global_load_dwordx2 v[20:21], v[16:17], off offset:4
	global_load_dwordx2 v[16:17], v[16:17], off offset:20
	s_clause 0x1
	global_load_dwordx2 v[18:19], v[18:19], off
	global_load_dwordx2 v[34:35], v[34:35], off offset:8
	s_clause 0x11
	global_load_dwordx2 v[48:49], v[36:37], off offset:4
	global_load_dwordx2 v[36:37], v[36:37], off offset:20
	global_load_dword v53, v[24:25], off
	global_load_dword v54, v[22:23], off
	global_load_dwordx2 v[22:23], v[38:39], off offset:4
	global_load_dwordx2 v[24:25], v[38:39], off offset:20
	global_load_dwordx2 v[38:39], v[40:41], off offset:4
	global_load_dword v55, v[26:27], off
	global_load_dwordx2 v[26:27], v[40:41], off offset:20
	global_load_dwordx2 v[40:41], v[42:43], off offset:4
	global_load_dwordx2 v[42:43], v[42:43], off offset:20
	;; [unrolled: 4-line block ×3, first 2 shown]
	global_load_dwordx2 v[44:45], v[44:45], off offset:20
	global_load_dword v32, v[32:33], off
	global_load_dword v30, v[30:31], off
	v_mov_b32_e32 v31, 0
	v_add_nc_u32_e32 v10, 16, v10
	v_add_co_u32 v2, vcc_lo, 0x240, v2
	v_add_co_ci_u32_e64 v3, null, 0, v3, vcc_lo
	v_cmp_le_u32_e32 vcc_lo, s19, v10
	s_or_b32 s16, vcc_lo, s16
	s_waitcnt vmcnt(19)
	v_ashrrev_i32_e32 v33, v12, v19
	v_ashrrev_i32_e32 v19, v14, v19
	s_waitcnt vmcnt(18)
	v_and_b32_e32 v57, 0xf0f0f0f, v34
	v_lshrrev_b32_e32 v34, 4, v34
	s_waitcnt vmcnt(15)
	v_pk_mul_f16 v53, v18, v53
	v_lshlrev_b32_e32 v58, 4, v33
	v_lshlrev_b32_e32 v59, 11, v33
	v_lshrrev_b32_e32 v60, 12, v33
	s_waitcnt vmcnt(14)
	v_pk_mul_f16 v54, v18, v54
	s_waitcnt vmcnt(10)
	v_pk_mul_f16 v55, v18, v55
	v_lshlrev_b32_e32 v61, 2, v33
	v_and_b32_e32 v58, 16, v58
	v_and_b32_e32 v59, 0x1000, v59
	s_waitcnt vmcnt(6)
	v_pk_mul_f16 v56, v18, v56
	v_and_b32_e32 v60, 16, v60
	v_and_b32_e32 v61, 0x100000, v61
	;; [unrolled: 1-line block ×3, first 2 shown]
	v_pk_mul_f16 v52, v18, v52
	v_or3_b32 v57, v58, v57, v59
	s_waitcnt vmcnt(0)
	v_pk_mul_f16 v30, v18, v30
	v_pk_mul_f16 v18, v18, v32
	v_lshrrev_b32_e32 v32, 5, v33
	v_lshlrev_b32_e32 v58, 4, v19
	v_lshlrev_b32_e32 v59, 11, v19
	v_and_b32_e32 v32, 0x1000, v32
	v_and_b32_e32 v58, 16, v58
	;; [unrolled: 1-line block ×3, first 2 shown]
	v_or3_b32 v32, v32, v60, v61
	v_lshlrev_b32_e32 v60, 18, v19
	v_lshrrev_b32_e32 v61, 12, v19
	v_and_b32_e32 v60, 0x100000, v60
	v_and_b32_e32 v61, 16, v61
	v_or3_b32 v58, v59, v58, v60
	v_lshrrev_b32_e32 v59, 5, v19
	v_lshlrev_b32_e32 v60, 2, v19
	v_and_b32_e32 v59, 0x1000, v59
	v_and_b32_e32 v60, 0x100000, v60
	v_or3_b32 v59, v59, v61, v60
	v_lshlrev_b32_e32 v60, 18, v33
	v_lshlrev_b32_e32 v61, 25, v33
	;; [unrolled: 1-line block ×3, first 2 shown]
	v_and_b32_e32 v60, 0x100000, v60
	v_and_b32_e32 v61, 0x10000000, v61
	;; [unrolled: 1-line block ×3, first 2 shown]
	v_or3_b32 v57, v57, v60, v61
	v_or3_b32 v32, v32, v33, v34
	v_lshlrev_b32_e32 v33, 25, v19
	v_and_b32_e32 v34, 0xf0f0f0f, v35
	v_lshrrev_b32_e32 v35, 4, v35
	v_lshlrev_b32_e32 v19, 9, v19
	v_mov_b32_e32 v60, 0
	v_and_b32_e32 v33, 0x10000000, v33
	v_mov_b32_e32 v61, 0
	v_and_b32_e32 v35, 0xf0f0f0f, v35
	v_and_b32_e32 v19, 0x10000000, v19
	v_dot4c_i32_i8 v31, v57, v20
	v_or3_b32 v33, v58, v33, v34
	v_mov_b32_e32 v34, 0
	v_mov_b32_e32 v58, 0
	v_or3_b32 v19, v59, v19, v35
	v_mov_b32_e32 v35, 0
	v_mov_b32_e32 v59, 0
	v_dot4c_i32_i8 v60, v57, v48
	v_dot4c_i32_i8 v34, v57, v22
	v_dot4c_i32_i8 v58, v57, v38
	v_dot4c_i32_i8 v61, v57, v40
	v_dot4c_i32_i8 v35, v57, v50
	v_dot4c_i32_i8 v59, v57, v28
	v_dot4c_i32_i8 v31, v32, v16
	v_dot4c_i32_i8 v60, v32, v36
	v_dot4c_i32_i8 v34, v32, v24
	v_dot4c_i32_i8 v58, v32, v26
	v_dot4c_i32_i8 v61, v32, v42
	v_dot4c_i32_i8 v35, v32, v44
	v_dot4c_i32_i8 v59, v32, v46
	v_dot4c_i32_i8 v31, v33, v21
	v_dot4c_i32_i8 v60, v33, v49
	v_dot4c_i32_i8 v34, v33, v23
	v_dot4c_i32_i8 v58, v33, v39
	v_dot4c_i32_i8 v61, v33, v41
	v_dot4c_i32_i8 v35, v33, v51
	v_dot4c_i32_i8 v59, v33, v29
	v_cvt_f32_f16_sdwa v16, v52 dst_sel:DWORD dst_unused:UNUSED_PAD src0_sel:WORD_1
	v_cvt_f32_f16_sdwa v20, v54 dst_sel:DWORD dst_unused:UNUSED_PAD src0_sel:WORD_1
	;; [unrolled: 1-line block ×7, first 2 shown]
	v_dot4c_i32_i8 v31, v19, v17
	v_dot4c_i32_i8 v60, v19, v37
	v_dot4c_i32_i8 v34, v19, v25
	v_dot4c_i32_i8 v58, v19, v27
	v_dot4c_i32_i8 v61, v19, v43
	v_dot4c_i32_i8 v35, v19, v45
	v_dot4c_i32_i8 v59, v19, v47
	v_mul_f32_e32 v16, 0.5, v16
	v_mul_f32_e32 v20, 0.5, v20
	;; [unrolled: 1-line block ×7, first 2 shown]
	v_cvt_f32_i32_e32 v17, v31
	v_cvt_f32_i32_e32 v19, v60
	;; [unrolled: 1-line block ×7, first 2 shown]
	v_fma_mix_f32 v16, v17, v52, v16 op_sel_hi:[0,1,0]
	v_fma_mix_f32 v17, v19, v54, v20 op_sel_hi:[0,1,0]
	v_fma_mix_f32 v19, v25, v53, v21 op_sel_hi:[0,1,0]
	v_fma_mix_f32 v20, v26, v55, v28 op_sel_hi:[0,1,0]
	v_fma_mix_f32 v21, v27, v56, v22 op_sel_hi:[0,1,0]
	v_fma_mix_f32 v22, v29, v30, v23 op_sel_hi:[0,1,0]
	v_fma_mix_f32 v18, v31, v18, v24 op_sel_hi:[0,1,0]
	v_add_f32_e32 v11, v11, v16
	v_add_f32_e32 v9, v9, v17
	;; [unrolled: 1-line block ×7, first 2 shown]
	s_andn2_b32 exec_lo, exec_lo, s16
	s_cbranch_execnz .LBB58_2
; %bb.3:
	s_or_b32 exec_lo, exec_lo, s16
.LBB58_4:
	s_or_b32 exec_lo, exec_lo, s9
	s_mov_b32 s1, 0
	; wave barrier
	buffer_gl0_inv
	s_mov_b32 s0, exec_lo
	v_cmpx_eq_u32_e32 0, v1
	s_cbranch_execz .LBB58_19
; %bb.5:
	v_mbcnt_lo_u32_b32 v12, -1, 0
	s_load_dwordx2 s[4:5], s[4:5], 0x38
	s_mul_i32 s0, s14, s7
	s_mul_i32 s3, s18, s8
	s_add_i32 s0, s0, s6
	v_xor_b32_e32 v1, 16, v12
	v_xor_b32_e32 v2, 8, v12
	s_add_i32 s0, s0, s3
	s_lshl_b64 s[0:1], s[0:1], 2
	v_cmp_gt_i32_e32 vcc_lo, 32, v1
	v_cndmask_b32_e32 v1, v12, v1, vcc_lo
	v_cmp_gt_i32_e32 vcc_lo, 32, v2
	v_lshlrev_b32_e32 v1, 2, v1
	v_cndmask_b32_e32 v2, v12, v2, vcc_lo
	s_waitcnt lgkmcnt(0)
	s_add_u32 s0, s4, s0
	s_addc_u32 s1, s5, s1
	ds_bpermute_b32 v3, v1, v11
	v_lshlrev_b32_e32 v2, 2, v2
	s_waitcnt lgkmcnt(0)
	v_add_f32_e32 v10, v11, v3
	v_xor_b32_e32 v3, 4, v12
	ds_bpermute_b32 v11, v2, v10
	v_cmp_gt_i32_e32 vcc_lo, 32, v3
	v_cndmask_b32_e32 v3, v12, v3, vcc_lo
	v_lshlrev_b32_e32 v3, 2, v3
	s_waitcnt lgkmcnt(0)
	v_add_f32_e32 v11, v10, v11
	v_xor_b32_e32 v10, 2, v12
	ds_bpermute_b32 v13, v3, v11
	v_cmp_gt_i32_e32 vcc_lo, 32, v10
	v_cndmask_b32_e32 v10, v12, v10, vcc_lo
	;; [unrolled: 7-line block ×3, first 2 shown]
	v_cmp_eq_u32_e32 vcc_lo, 0, v0
	v_lshlrev_b32_e32 v11, 2, v11
	s_waitcnt lgkmcnt(0)
	v_add_f32_e32 v12, v13, v14
	ds_bpermute_b32 v13, v11, v12
	s_and_saveexec_b32 s3, vcc_lo
	s_cbranch_execz .LBB58_7
; %bb.6:
	s_waitcnt lgkmcnt(0)
	v_add_f32_e32 v0, v12, v13
	v_mov_b32_e32 v12, 0
	global_store_dword v12, v0, s[0:1]
.LBB58_7:
	s_or_b32 exec_lo, exec_lo, s3
	ds_bpermute_b32 v0, v1, v9
	s_waitcnt lgkmcnt(0)
	v_add_f32_e32 v0, v9, v0
	ds_bpermute_b32 v9, v2, v0
	s_waitcnt lgkmcnt(0)
	v_add_f32_e32 v0, v0, v9
	;; [unrolled: 3-line block ×4, first 2 shown]
	ds_bpermute_b32 v9, v11, v0
	s_and_saveexec_b32 s4, vcc_lo
	s_cbranch_execz .LBB58_9
; %bb.8:
	s_mov_b32 s3, 0
	s_waitcnt lgkmcnt(0)
	v_add_f32_e32 v0, v0, v9
	s_lshl_b64 s[6:7], s[2:3], 2
	v_mov_b32_e32 v9, 0
	s_add_u32 s6, s0, s6
	s_addc_u32 s7, s1, s7
	global_store_dword v9, v0, s[6:7]
.LBB58_9:
	s_or_b32 exec_lo, exec_lo, s4
	ds_bpermute_b32 v0, v1, v8
	s_waitcnt lgkmcnt(0)
	v_add_f32_e32 v0, v8, v0
	ds_bpermute_b32 v8, v2, v0
	s_waitcnt lgkmcnt(0)
	v_add_f32_e32 v0, v0, v8
	;; [unrolled: 3-line block ×4, first 2 shown]
	ds_bpermute_b32 v8, v11, v0
	s_and_saveexec_b32 s3, vcc_lo
	s_cbranch_execz .LBB58_11
; %bb.10:
	s_lshl_b32 s4, s2, 1
	s_mov_b32 s5, 0
	s_waitcnt lgkmcnt(0)
	v_add_f32_e32 v0, v0, v8
	s_lshl_b64 s[4:5], s[4:5], 2
	v_mov_b32_e32 v8, 0
	s_add_u32 s4, s0, s4
	s_addc_u32 s5, s1, s5
	global_store_dword v8, v0, s[4:5]
.LBB58_11:
	s_or_b32 exec_lo, exec_lo, s3
	ds_bpermute_b32 v0, v1, v7
	s_waitcnt lgkmcnt(0)
	v_add_f32_e32 v0, v7, v0
	ds_bpermute_b32 v7, v2, v0
	s_waitcnt lgkmcnt(0)
	v_add_f32_e32 v0, v0, v7
	;; [unrolled: 3-line block ×4, first 2 shown]
	ds_bpermute_b32 v7, v11, v0
	s_and_saveexec_b32 s3, vcc_lo
	s_cbranch_execz .LBB58_13
; %bb.12:
	s_mul_i32 s4, s2, 3
	s_mov_b32 s5, 0
	s_waitcnt lgkmcnt(0)
	v_add_f32_e32 v0, v0, v7
	s_lshl_b64 s[4:5], s[4:5], 2
	v_mov_b32_e32 v7, 0
	s_add_u32 s4, s0, s4
	s_addc_u32 s5, s1, s5
	global_store_dword v7, v0, s[4:5]
.LBB58_13:
	s_or_b32 exec_lo, exec_lo, s3
	ds_bpermute_b32 v0, v1, v6
	s_waitcnt lgkmcnt(0)
	v_add_f32_e32 v0, v6, v0
	ds_bpermute_b32 v6, v2, v0
	s_waitcnt lgkmcnt(0)
	v_add_f32_e32 v0, v0, v6
	;; [unrolled: 3-line block ×4, first 2 shown]
	ds_bpermute_b32 v6, v11, v0
	s_and_saveexec_b32 s3, vcc_lo
	s_cbranch_execz .LBB58_15
; %bb.14:
	s_lshl_b32 s4, s2, 2
	s_mov_b32 s5, 0
	s_waitcnt lgkmcnt(0)
	v_add_f32_e32 v0, v0, v6
	s_lshl_b64 s[4:5], s[4:5], 2
	v_mov_b32_e32 v6, 0
	s_add_u32 s4, s0, s4
	s_addc_u32 s5, s1, s5
	global_store_dword v6, v0, s[4:5]
.LBB58_15:
	s_or_b32 exec_lo, exec_lo, s3
	ds_bpermute_b32 v0, v1, v5
	s_waitcnt lgkmcnt(0)
	v_add_f32_e32 v0, v5, v0
	ds_bpermute_b32 v5, v2, v0
	s_waitcnt lgkmcnt(0)
	v_add_f32_e32 v0, v0, v5
	;; [unrolled: 3-line block ×4, first 2 shown]
	ds_bpermute_b32 v5, v11, v0
	s_and_saveexec_b32 s3, vcc_lo
	s_cbranch_execz .LBB58_17
; %bb.16:
	s_mul_i32 s4, s2, 5
	s_mov_b32 s5, 0
	s_waitcnt lgkmcnt(0)
	v_add_f32_e32 v0, v0, v5
	s_lshl_b64 s[4:5], s[4:5], 2
	v_mov_b32_e32 v5, 0
	s_add_u32 s4, s0, s4
	s_addc_u32 s5, s1, s5
	global_store_dword v5, v0, s[4:5]
.LBB58_17:
	s_or_b32 exec_lo, exec_lo, s3
	ds_bpermute_b32 v0, v1, v4
	s_waitcnt lgkmcnt(0)
	v_add_f32_e32 v0, v4, v0
	ds_bpermute_b32 v1, v2, v0
	s_waitcnt lgkmcnt(0)
	v_add_f32_e32 v0, v0, v1
	;; [unrolled: 3-line block ×4, first 2 shown]
	ds_bpermute_b32 v1, v11, v0
	s_and_b32 exec_lo, exec_lo, vcc_lo
	s_cbranch_execz .LBB58_19
; %bb.18:
	s_mul_i32 s2, s2, 6
	s_mov_b32 s3, 0
	s_waitcnt lgkmcnt(0)
	v_add_f32_e32 v0, v0, v1
	s_lshl_b64 s[2:3], s[2:3], 2
	v_mov_b32_e32 v1, 0
	s_add_u32 s0, s0, s2
	s_addc_u32 s1, s1, s3
	global_store_dword v1, v0, s[0:1]
.LBB58_19:
	s_endpgm
	.section	.rodata,"a",@progbits
	.p2align	6, 0x0
	.amdhsa_kernel _ZL13mul_mat_vec_qIL9ggml_type7ELi7ELb0ELb0EEvPKvS2_PKi31ggml_cuda_mm_fusion_args_devicePfj15HIP_vector_typeIjLj3EEjjjS8_jjjS8_jjjj
		.amdhsa_group_segment_fixed_size 0
		.amdhsa_private_segment_fixed_size 0
		.amdhsa_kernarg_size 144
		.amdhsa_user_sgpr_count 6
		.amdhsa_user_sgpr_private_segment_buffer 1
		.amdhsa_user_sgpr_dispatch_ptr 0
		.amdhsa_user_sgpr_queue_ptr 0
		.amdhsa_user_sgpr_kernarg_segment_ptr 1
		.amdhsa_user_sgpr_dispatch_id 0
		.amdhsa_user_sgpr_flat_scratch_init 0
		.amdhsa_user_sgpr_private_segment_size 0
		.amdhsa_wavefront_size32 1
		.amdhsa_uses_dynamic_stack 0
		.amdhsa_system_sgpr_private_segment_wavefront_offset 0
		.amdhsa_system_sgpr_workgroup_id_x 1
		.amdhsa_system_sgpr_workgroup_id_y 1
		.amdhsa_system_sgpr_workgroup_id_z 1
		.amdhsa_system_sgpr_workgroup_info 0
		.amdhsa_system_vgpr_workitem_id 1
		.amdhsa_next_free_vgpr 62
		.amdhsa_next_free_sgpr 26
		.amdhsa_reserve_vcc 1
		.amdhsa_reserve_flat_scratch 0
		.amdhsa_float_round_mode_32 0
		.amdhsa_float_round_mode_16_64 0
		.amdhsa_float_denorm_mode_32 3
		.amdhsa_float_denorm_mode_16_64 3
		.amdhsa_dx10_clamp 1
		.amdhsa_ieee_mode 1
		.amdhsa_fp16_overflow 0
		.amdhsa_workgroup_processor_mode 1
		.amdhsa_memory_ordered 1
		.amdhsa_forward_progress 1
		.amdhsa_shared_vgpr_count 0
		.amdhsa_exception_fp_ieee_invalid_op 0
		.amdhsa_exception_fp_denorm_src 0
		.amdhsa_exception_fp_ieee_div_zero 0
		.amdhsa_exception_fp_ieee_overflow 0
		.amdhsa_exception_fp_ieee_underflow 0
		.amdhsa_exception_fp_ieee_inexact 0
		.amdhsa_exception_int_div_zero 0
	.end_amdhsa_kernel
	.section	.text._ZL13mul_mat_vec_qIL9ggml_type7ELi7ELb0ELb0EEvPKvS2_PKi31ggml_cuda_mm_fusion_args_devicePfj15HIP_vector_typeIjLj3EEjjjS8_jjjS8_jjjj,"axG",@progbits,_ZL13mul_mat_vec_qIL9ggml_type7ELi7ELb0ELb0EEvPKvS2_PKi31ggml_cuda_mm_fusion_args_devicePfj15HIP_vector_typeIjLj3EEjjjS8_jjjS8_jjjj,comdat
.Lfunc_end58:
	.size	_ZL13mul_mat_vec_qIL9ggml_type7ELi7ELb0ELb0EEvPKvS2_PKi31ggml_cuda_mm_fusion_args_devicePfj15HIP_vector_typeIjLj3EEjjjS8_jjjS8_jjjj, .Lfunc_end58-_ZL13mul_mat_vec_qIL9ggml_type7ELi7ELb0ELb0EEvPKvS2_PKi31ggml_cuda_mm_fusion_args_devicePfj15HIP_vector_typeIjLj3EEjjjS8_jjjS8_jjjj
                                        ; -- End function
	.set _ZL13mul_mat_vec_qIL9ggml_type7ELi7ELb0ELb0EEvPKvS2_PKi31ggml_cuda_mm_fusion_args_devicePfj15HIP_vector_typeIjLj3EEjjjS8_jjjS8_jjjj.num_vgpr, 62
	.set _ZL13mul_mat_vec_qIL9ggml_type7ELi7ELb0ELb0EEvPKvS2_PKi31ggml_cuda_mm_fusion_args_devicePfj15HIP_vector_typeIjLj3EEjjjS8_jjjS8_jjjj.num_agpr, 0
	.set _ZL13mul_mat_vec_qIL9ggml_type7ELi7ELb0ELb0EEvPKvS2_PKi31ggml_cuda_mm_fusion_args_devicePfj15HIP_vector_typeIjLj3EEjjjS8_jjjS8_jjjj.numbered_sgpr, 26
	.set _ZL13mul_mat_vec_qIL9ggml_type7ELi7ELb0ELb0EEvPKvS2_PKi31ggml_cuda_mm_fusion_args_devicePfj15HIP_vector_typeIjLj3EEjjjS8_jjjS8_jjjj.num_named_barrier, 0
	.set _ZL13mul_mat_vec_qIL9ggml_type7ELi7ELb0ELb0EEvPKvS2_PKi31ggml_cuda_mm_fusion_args_devicePfj15HIP_vector_typeIjLj3EEjjjS8_jjjS8_jjjj.private_seg_size, 0
	.set _ZL13mul_mat_vec_qIL9ggml_type7ELi7ELb0ELb0EEvPKvS2_PKi31ggml_cuda_mm_fusion_args_devicePfj15HIP_vector_typeIjLj3EEjjjS8_jjjS8_jjjj.uses_vcc, 1
	.set _ZL13mul_mat_vec_qIL9ggml_type7ELi7ELb0ELb0EEvPKvS2_PKi31ggml_cuda_mm_fusion_args_devicePfj15HIP_vector_typeIjLj3EEjjjS8_jjjS8_jjjj.uses_flat_scratch, 0
	.set _ZL13mul_mat_vec_qIL9ggml_type7ELi7ELb0ELb0EEvPKvS2_PKi31ggml_cuda_mm_fusion_args_devicePfj15HIP_vector_typeIjLj3EEjjjS8_jjjS8_jjjj.has_dyn_sized_stack, 0
	.set _ZL13mul_mat_vec_qIL9ggml_type7ELi7ELb0ELb0EEvPKvS2_PKi31ggml_cuda_mm_fusion_args_devicePfj15HIP_vector_typeIjLj3EEjjjS8_jjjS8_jjjj.has_recursion, 0
	.set _ZL13mul_mat_vec_qIL9ggml_type7ELi7ELb0ELb0EEvPKvS2_PKi31ggml_cuda_mm_fusion_args_devicePfj15HIP_vector_typeIjLj3EEjjjS8_jjjS8_jjjj.has_indirect_call, 0
	.section	.AMDGPU.csdata,"",@progbits
; Kernel info:
; codeLenInByte = 2480
; TotalNumSgprs: 28
; NumVgprs: 62
; ScratchSize: 0
; MemoryBound: 0
; FloatMode: 240
; IeeeMode: 1
; LDSByteSize: 0 bytes/workgroup (compile time only)
; SGPRBlocks: 0
; VGPRBlocks: 7
; NumSGPRsForWavesPerEU: 28
; NumVGPRsForWavesPerEU: 62
; Occupancy: 16
; WaveLimiterHint : 0
; COMPUTE_PGM_RSRC2:SCRATCH_EN: 0
; COMPUTE_PGM_RSRC2:USER_SGPR: 6
; COMPUTE_PGM_RSRC2:TRAP_HANDLER: 0
; COMPUTE_PGM_RSRC2:TGID_X_EN: 1
; COMPUTE_PGM_RSRC2:TGID_Y_EN: 1
; COMPUTE_PGM_RSRC2:TGID_Z_EN: 1
; COMPUTE_PGM_RSRC2:TIDIG_COMP_CNT: 1
	.section	.text._ZL13mul_mat_vec_qIL9ggml_type7ELi8ELb0ELb0EEvPKvS2_PKi31ggml_cuda_mm_fusion_args_devicePfj15HIP_vector_typeIjLj3EEjjjS8_jjjS8_jjjj,"axG",@progbits,_ZL13mul_mat_vec_qIL9ggml_type7ELi8ELb0ELb0EEvPKvS2_PKi31ggml_cuda_mm_fusion_args_devicePfj15HIP_vector_typeIjLj3EEjjjS8_jjjS8_jjjj,comdat
	.globl	_ZL13mul_mat_vec_qIL9ggml_type7ELi8ELb0ELb0EEvPKvS2_PKi31ggml_cuda_mm_fusion_args_devicePfj15HIP_vector_typeIjLj3EEjjjS8_jjjS8_jjjj ; -- Begin function _ZL13mul_mat_vec_qIL9ggml_type7ELi8ELb0ELb0EEvPKvS2_PKi31ggml_cuda_mm_fusion_args_devicePfj15HIP_vector_typeIjLj3EEjjjS8_jjjS8_jjjj
	.p2align	8
	.type	_ZL13mul_mat_vec_qIL9ggml_type7ELi8ELb0ELb0EEvPKvS2_PKi31ggml_cuda_mm_fusion_args_devicePfj15HIP_vector_typeIjLj3EEjjjS8_jjjS8_jjjj,@function
_ZL13mul_mat_vec_qIL9ggml_type7ELi8ELb0ELb0EEvPKvS2_PKi31ggml_cuda_mm_fusion_args_devicePfj15HIP_vector_typeIjLj3EEjjjS8_jjjS8_jjjj: ; @_ZL13mul_mat_vec_qIL9ggml_type7ELi8ELb0ELb0EEvPKvS2_PKi31ggml_cuda_mm_fusion_args_devicePfj15HIP_vector_typeIjLj3EEjjjS8_jjjS8_jjjj
; %bb.0:
	s_clause 0x5
	s_load_dwordx4 s[16:19], s[4:5], 0x80
	s_load_dword s9, s[4:5], 0x40
	s_load_dwordx4 s[0:3], s[4:5], 0x50
	s_load_dword s24, s[4:5], 0x60
	;; [unrolled: 2-line block ×3, first 2 shown]
	v_lshl_or_b32 v2, v1, 5, v0
	v_mov_b32_e32 v4, 0
	v_mov_b32_e32 v5, 0
	v_mov_b32_e32 v6, 0
	v_mov_b32_e32 v7, 0
	v_lshrrev_b16 v3, 1, v2
	v_mov_b32_e32 v8, 0
	v_mov_b32_e32 v9, 0
	;; [unrolled: 1-line block ×4, first 2 shown]
	v_and_b32_e32 v11, 0xffff, v3
	s_waitcnt lgkmcnt(0)
	s_lshr_b32 s19, s9, 5
	s_mov_b32 s9, exec_lo
	v_cmpx_gt_u32_e64 s19, v11
	s_cbranch_execz .LBB59_4
; %bb.1:
	s_load_dwordx4 s[20:23], s[4:5], 0x0
	v_lshlrev_b32_e32 v3, 1, v0
	s_mul_i32 s10, s17, s8
	s_mul_i32 s11, s13, s7
	s_mul_hi_u32 s13, s15, s8
	s_mul_hi_u32 s15, s10, 36
	v_and_b32_e32 v5, 2, v3
	s_mul_i32 s10, s10, 36
	v_and_b32_e32 v3, 1, v0
	v_lshrrev_b32_e32 v2, 1, v2
	s_mul_hi_u32 s17, s11, 36
	s_mul_i32 s11, s11, 36
	s_mul_hi_u32 s3, s3, s7
	v_lshlrev_b32_e32 v13, 2, v5
	v_lshlrev_b32_e32 v14, 3, v3
	s_mul_i32 s0, s0, s6
	v_mov_b32_e32 v4, 0
	v_lshlrev_b32_e32 v16, 2, v5
	v_or_b32_e32 v15, 4, v13
	v_mov_b32_e32 v5, 0
	s_waitcnt lgkmcnt(0)
	s_add_u32 s10, s22, s10
	s_addc_u32 s15, s23, s15
	s_add_u32 s10, s10, s11
	s_addc_u32 s11, s15, s17
	s_add_i32 s3, s7, s3
	s_add_i32 s13, s8, s13
	s_lshr_b32 s3, s3, s24
	v_mad_u64_u32 v[2:3], null, v2, 36, s[10:11]
	s_lshr_b32 s13, s13, s25
	s_mul_i32 s3, s3, s12
	v_mov_b32_e32 v6, 0
	v_mov_b32_e32 v7, 0
	;; [unrolled: 1-line block ×6, first 2 shown]
	s_mul_i32 s12, s13, s16
	s_add_i32 s3, s3, s0
	s_lshl_b32 s13, s1, 2
	s_add_i32 s0, s12, s3
	s_lshl_b32 s3, s1, 1
	s_mul_i32 s12, s1, 3
	s_mul_i32 s15, s1, 5
	;; [unrolled: 1-line block ×4, first 2 shown]
	s_mov_b32 s17, 0
.LBB59_2:                               ; =>This Inner Loop Header: Depth=1
	v_add_nc_u32_e32 v19, s0, v11
	v_add_nc_u32_e32 v23, s1, v11
	;; [unrolled: 1-line block ×3, first 2 shown]
	v_add_co_u32 v17, vcc_lo, v2, v14
	v_mad_i64_i32 v[19:20], null, v19, 24, s[20:21]
	v_add_nc_u32_e32 v27, s12, v11
	v_mad_u64_u32 v[23:24], null, v23, 36, s[10:11]
	v_add_co_ci_u32_e64 v18, null, 0, v3, vcc_lo
	v_add_nc_u32_e32 v29, s13, v11
	v_mad_u64_u32 v[25:26], null, v25, 36, s[10:11]
	v_add_nc_u32_e32 v31, s15, v11
	v_mad_u64_u32 v[27:28], null, v27, 36, s[10:11]
	v_add_nc_u32_e32 v33, s16, v11
	s_clause 0x2
	global_load_dword v55, v[2:3], off
	global_load_dwordx2 v[21:22], v[17:18], off offset:4
	global_load_dwordx2 v[17:18], v[17:18], off offset:20
	v_mad_u64_u32 v[29:30], null, v29, 36, s[10:11]
	global_load_dwordx2 v[37:38], v[19:20], off
	v_add_co_u32 v19, vcc_lo, v19, v16
	v_add_nc_u32_e32 v35, s22, v11
	v_mad_u64_u32 v[31:32], null, v31, 36, s[10:11]
	v_add_co_ci_u32_e64 v20, null, 0, v20, vcc_lo
	v_add_co_u32 v39, vcc_lo, v23, v16
	v_mad_u64_u32 v[33:34], null, v33, 36, s[10:11]
	v_add_co_ci_u32_e64 v40, null, 0, v24, vcc_lo
	v_add_co_u32 v41, vcc_lo, v25, v16
	;; [unrolled: 3-line block ×3, first 2 shown]
	v_add_co_ci_u32_e64 v44, null, 0, v28, vcc_lo
	v_add_co_u32 v45, vcc_lo, v29, v16
	v_add_co_ci_u32_e64 v46, null, 0, v30, vcc_lo
	v_add_co_u32 v47, vcc_lo, v31, v16
	;; [unrolled: 2-line block ×4, first 2 shown]
	global_load_dwordx2 v[19:20], v[19:20], off offset:8
	s_clause 0xc
	global_load_dwordx2 v[53:54], v[39:40], off offset:20
	global_load_dword v56, v[25:26], off
	global_load_dword v57, v[23:24], off
	;; [unrolled: 1-line block ×3, first 2 shown]
	global_load_dwordx2 v[23:24], v[45:46], off offset:20
	global_load_dword v59, v[29:30], off
	global_load_dwordx2 v[25:26], v[47:48], off offset:20
	global_load_dword v33, v[33:34], off
	global_load_dword v34, v[31:32], off
	;; [unrolled: 1-line block ×3, first 2 shown]
	global_load_dwordx2 v[27:28], v[39:40], off offset:4
	global_load_dwordx2 v[29:30], v[41:42], off offset:4
	;; [unrolled: 1-line block ×3, first 2 shown]
	v_add_co_ci_u32_e64 v52, null, 0, v36, vcc_lo
	v_add_nc_u32_e32 v11, 16, v11
	v_add_co_u32 v2, vcc_lo, 0x240, v2
	v_add_co_ci_u32_e64 v3, null, 0, v3, vcc_lo
	v_cmp_le_u32_e32 vcc_lo, s19, v11
	s_or_b32 s17, vcc_lo, s17
	s_waitcnt vmcnt(14)
	v_ashrrev_i32_e32 v41, v13, v38
	v_ashrrev_i32_e32 v60, v15, v38
	v_pk_mul_f16 v55, v37, v55
	v_lshlrev_b32_e32 v38, 4, v41
	v_lshlrev_b32_e32 v39, 11, v41
	v_lshrrev_b32_e32 v40, 12, v41
	v_lshrrev_b32_e32 v42, 5, v41
	s_waitcnt vmcnt(13)
	v_and_b32_e32 v36, 0xf0f0f0f, v19
	v_lshrrev_b32_e32 v19, 4, v19
	s_waitcnt vmcnt(11)
	v_pk_mul_f16 v56, v37, v56
	s_waitcnt vmcnt(10)
	v_pk_mul_f16 v57, v37, v57
	;; [unrolled: 2-line block ×4, first 2 shown]
	v_and_b32_e32 v19, 0xf0f0f0f, v19
	s_waitcnt vmcnt(5)
	v_pk_mul_f16 v62, v37, v33
	s_waitcnt vmcnt(4)
	v_pk_mul_f16 v61, v37, v34
	;; [unrolled: 2-line block ×3, first 2 shown]
	v_and_b32_e32 v35, 16, v38
	v_and_b32_e32 v37, 0x1000, v39
	v_lshlrev_b32_e32 v33, 2, v41
	v_lshlrev_b32_e32 v34, 4, v60
	v_and_b32_e32 v38, 16, v40
	v_and_b32_e32 v39, 0x1000, v42
	v_or3_b32 v35, v35, v36, v37
	v_lshlrev_b32_e32 v36, 11, v60
	v_lshlrev_b32_e32 v37, 18, v60
	v_and_b32_e32 v33, 0x100000, v33
	v_and_b32_e32 v34, 16, v34
	;; [unrolled: 1-line block ×4, first 2 shown]
	v_or3_b32 v42, v39, v38, v33
	v_lshrrev_b32_e32 v33, 12, v60
	v_lshrrev_b32_e32 v38, 5, v60
	v_or3_b32 v64, v36, v34, v37
	v_lshlrev_b32_e32 v34, 2, v60
	v_and_b32_e32 v33, 16, v33
	v_and_b32_e32 v37, 0x1000, v38
	v_lshlrev_b32_e32 v36, 18, v41
	v_and_b32_e32 v34, 0x100000, v34
	v_or3_b32 v65, v37, v33, v34
	v_lshlrev_b32_e32 v33, 25, v41
	v_lshlrev_b32_e32 v41, 9, v41
	v_and_b32_e32 v34, 0x100000, v36
	v_and_b32_e32 v33, 0x10000000, v33
	;; [unrolled: 1-line block ×3, first 2 shown]
	v_or3_b32 v66, v35, v34, v33
	s_clause 0x3
	global_load_dwordx2 v[33:34], v[43:44], off offset:4
	global_load_dwordx2 v[35:36], v[43:44], off offset:20
	;; [unrolled: 1-line block ×4, first 2 shown]
	v_or3_b32 v47, v42, v41, v19
	v_lshlrev_b32_e32 v19, 25, v60
	v_and_b32_e32 v41, 0xf0f0f0f, v20
	v_and_b32_e32 v19, 0x10000000, v19
	v_or3_b32 v48, v64, v19, v41
	v_lshrrev_b32_e32 v19, 4, v20
	v_lshlrev_b32_e32 v20, 9, v60
	s_clause 0x1
	global_load_dwordx2 v[41:42], v[49:50], off offset:4
	global_load_dwordx2 v[43:44], v[49:50], off offset:20
	v_mov_b32_e32 v50, 0
	v_and_b32_e32 v19, 0xf0f0f0f, v19
	v_and_b32_e32 v20, 0x10000000, v20
	v_dot4c_i32_i8 v50, v66, v21
	v_mov_b32_e32 v21, 0
	v_or3_b32 v49, v65, v20, v19
	s_clause 0x1
	global_load_dwordx2 v[19:20], v[51:52], off offset:4
	global_load_dwordx2 v[45:46], v[51:52], off offset:20
	v_dot4c_i32_i8 v50, v47, v17
	v_mov_b32_e32 v17, 0
	s_waitcnt vmcnt(9)
	v_dot4c_i32_i8 v21, v66, v29
	v_mov_b32_e32 v29, 0
	v_dot4c_i32_i8 v50, v48, v22
	v_dot4c_i32_i8 v17, v66, v27
	s_waitcnt vmcnt(8)
	v_dot4c_i32_i8 v21, v47, v31
	v_mov_b32_e32 v22, 0
	v_mov_b32_e32 v27, 0
	v_cvt_f32_f16_sdwa v31, v55 dst_sel:DWORD dst_unused:UNUSED_PAD src0_sel:WORD_1
	v_dot4c_i32_i8 v17, v47, v53
	v_dot4c_i32_i8 v21, v48, v30
	v_mov_b32_e32 v30, 0
	v_dot4c_i32_i8 v50, v49, v18
	v_mul_f32_e32 v31, 0.5, v31
	v_dot4c_i32_i8 v17, v48, v28
	v_mov_b32_e32 v28, 0
	v_dot4c_i32_i8 v21, v49, v32
	v_cvt_f32_i32_e32 v18, v50
	v_dot4c_i32_i8 v17, v49, v54
	v_fma_mix_f32 v18, v18, v55, v31 op_sel_hi:[0,1,0]
	v_cvt_f32_i32_e32 v17, v17
	v_add_f32_e32 v12, v12, v18
	s_waitcnt vmcnt(7)
	v_dot4c_i32_i8 v22, v66, v33
	v_cvt_f32_f16_sdwa v33, v56 dst_sel:DWORD dst_unused:UNUSED_PAD src0_sel:WORD_1
	s_waitcnt vmcnt(5)
	v_dot4c_i32_i8 v27, v66, v37
	s_waitcnt vmcnt(4)
	v_dot4c_i32_i8 v28, v66, v39
	v_cvt_f32_f16_sdwa v37, v62 dst_sel:DWORD dst_unused:UNUSED_PAD src0_sel:WORD_1
	v_dot4c_i32_i8 v22, v47, v35
	v_cvt_f32_f16_sdwa v35, v61 dst_sel:DWORD dst_unused:UNUSED_PAD src0_sel:WORD_1
	v_dot4c_i32_i8 v27, v47, v23
	v_dot4c_i32_i8 v28, v47, v25
	v_cvt_f32_f16_sdwa v23, v57 dst_sel:DWORD dst_unused:UNUSED_PAD src0_sel:WORD_1
	v_dot4c_i32_i8 v22, v48, v34
	v_cvt_f32_f16_sdwa v25, v58 dst_sel:DWORD dst_unused:UNUSED_PAD src0_sel:WORD_1
	v_dot4c_i32_i8 v27, v48, v38
	v_dot4c_i32_i8 v28, v48, v40
	v_cvt_f32_f16_sdwa v34, v59 dst_sel:DWORD dst_unused:UNUSED_PAD src0_sel:WORD_1
	v_dot4c_i32_i8 v22, v49, v36
	v_mul_f32_e32 v23, 0.5, v23
	s_waitcnt vmcnt(3)
	v_dot4c_i32_i8 v29, v66, v41
	v_dot4c_i32_i8 v27, v49, v24
	;; [unrolled: 1-line block ×3, first 2 shown]
	v_mul_f32_e32 v33, 0.5, v33
	v_mul_f32_e32 v25, 0.5, v25
	s_waitcnt vmcnt(2)
	v_dot4c_i32_i8 v29, v47, v43
	v_mul_f32_e32 v34, 0.5, v34
	v_mul_f32_e32 v35, 0.5, v35
	;; [unrolled: 1-line block ×3, first 2 shown]
	v_cvt_f32_i32_e32 v24, v28
	s_waitcnt vmcnt(1)
	v_dot4c_i32_i8 v30, v66, v19
	v_dot4c_i32_i8 v29, v48, v42
	v_cvt_f32_f16_sdwa v19, v63 dst_sel:DWORD dst_unused:UNUSED_PAD src0_sel:WORD_1
	v_fma_mix_f32 v17, v17, v57, v23 op_sel_hi:[0,1,0]
	v_fma_mix_f32 v23, v24, v61, v35 op_sel_hi:[0,1,0]
	s_waitcnt vmcnt(0)
	v_dot4c_i32_i8 v30, v47, v45
	v_dot4c_i32_i8 v29, v49, v44
	v_mul_f32_e32 v19, 0.5, v19
	v_add_f32_e32 v10, v10, v17
	v_add_f32_e32 v6, v6, v23
	v_dot4c_i32_i8 v30, v48, v20
	v_cvt_f32_i32_e32 v20, v21
	v_cvt_f32_i32_e32 v21, v22
	;; [unrolled: 1-line block ×4, first 2 shown]
	v_dot4c_i32_i8 v30, v49, v46
	v_fma_mix_f32 v20, v20, v56, v33 op_sel_hi:[0,1,0]
	v_fma_mix_f32 v21, v21, v58, v25 op_sel_hi:[0,1,0]
	;; [unrolled: 1-line block ×4, first 2 shown]
	v_cvt_f32_i32_e32 v27, v30
	v_add_f32_e32 v9, v9, v20
	v_add_f32_e32 v8, v8, v21
	;; [unrolled: 1-line block ×4, first 2 shown]
	v_fma_mix_f32 v19, v27, v63, v19 op_sel_hi:[0,1,0]
	v_add_f32_e32 v4, v4, v19
	s_andn2_b32 exec_lo, exec_lo, s17
	s_cbranch_execnz .LBB59_2
; %bb.3:
	s_or_b32 exec_lo, exec_lo, s17
.LBB59_4:
	s_or_b32 exec_lo, exec_lo, s9
	s_mov_b32 s1, 0
	; wave barrier
	buffer_gl0_inv
	s_mov_b32 s0, exec_lo
	v_cmpx_eq_u32_e32 0, v1
	s_cbranch_execz .LBB59_21
; %bb.5:
	v_mbcnt_lo_u32_b32 v13, -1, 0
	s_load_dwordx2 s[4:5], s[4:5], 0x38
	s_mul_i32 s0, s14, s7
	s_mul_i32 s3, s18, s8
	s_add_i32 s0, s0, s6
	v_xor_b32_e32 v1, 16, v13
	v_xor_b32_e32 v2, 8, v13
	s_add_i32 s0, s0, s3
	s_lshl_b64 s[0:1], s[0:1], 2
	v_cmp_gt_i32_e32 vcc_lo, 32, v1
	v_cndmask_b32_e32 v1, v13, v1, vcc_lo
	v_cmp_gt_i32_e32 vcc_lo, 32, v2
	v_lshlrev_b32_e32 v1, 2, v1
	v_cndmask_b32_e32 v2, v13, v2, vcc_lo
	s_waitcnt lgkmcnt(0)
	s_add_u32 s0, s4, s0
	s_addc_u32 s1, s5, s1
	ds_bpermute_b32 v3, v1, v12
	v_lshlrev_b32_e32 v2, 2, v2
	s_waitcnt lgkmcnt(0)
	v_add_f32_e32 v11, v12, v3
	v_xor_b32_e32 v3, 4, v13
	ds_bpermute_b32 v12, v2, v11
	v_cmp_gt_i32_e32 vcc_lo, 32, v3
	v_cndmask_b32_e32 v3, v13, v3, vcc_lo
	v_lshlrev_b32_e32 v3, 2, v3
	s_waitcnt lgkmcnt(0)
	v_add_f32_e32 v12, v11, v12
	v_xor_b32_e32 v11, 2, v13
	ds_bpermute_b32 v14, v3, v12
	v_cmp_gt_i32_e32 vcc_lo, 32, v11
	v_cndmask_b32_e32 v11, v13, v11, vcc_lo
	;; [unrolled: 7-line block ×3, first 2 shown]
	v_cmp_eq_u32_e32 vcc_lo, 0, v0
	v_lshlrev_b32_e32 v12, 2, v12
	s_waitcnt lgkmcnt(0)
	v_add_f32_e32 v13, v14, v15
	ds_bpermute_b32 v14, v12, v13
	s_and_saveexec_b32 s3, vcc_lo
	s_cbranch_execz .LBB59_7
; %bb.6:
	s_waitcnt lgkmcnt(0)
	v_add_f32_e32 v0, v13, v14
	v_mov_b32_e32 v13, 0
	global_store_dword v13, v0, s[0:1]
.LBB59_7:
	s_or_b32 exec_lo, exec_lo, s3
	ds_bpermute_b32 v0, v1, v10
	s_waitcnt lgkmcnt(0)
	v_add_f32_e32 v0, v10, v0
	ds_bpermute_b32 v10, v2, v0
	s_waitcnt lgkmcnt(0)
	v_add_f32_e32 v0, v0, v10
	;; [unrolled: 3-line block ×4, first 2 shown]
	ds_bpermute_b32 v10, v12, v0
	s_and_saveexec_b32 s4, vcc_lo
	s_cbranch_execz .LBB59_9
; %bb.8:
	s_mov_b32 s3, 0
	s_waitcnt lgkmcnt(0)
	v_add_f32_e32 v0, v0, v10
	s_lshl_b64 s[6:7], s[2:3], 2
	v_mov_b32_e32 v10, 0
	s_add_u32 s6, s0, s6
	s_addc_u32 s7, s1, s7
	global_store_dword v10, v0, s[6:7]
.LBB59_9:
	s_or_b32 exec_lo, exec_lo, s4
	ds_bpermute_b32 v0, v1, v9
	s_waitcnt lgkmcnt(0)
	v_add_f32_e32 v0, v9, v0
	ds_bpermute_b32 v9, v2, v0
	s_waitcnt lgkmcnt(0)
	v_add_f32_e32 v0, v0, v9
	;; [unrolled: 3-line block ×4, first 2 shown]
	ds_bpermute_b32 v9, v12, v0
	s_and_saveexec_b32 s3, vcc_lo
	s_cbranch_execz .LBB59_11
; %bb.10:
	s_lshl_b32 s4, s2, 1
	s_mov_b32 s5, 0
	s_waitcnt lgkmcnt(0)
	v_add_f32_e32 v0, v0, v9
	s_lshl_b64 s[4:5], s[4:5], 2
	v_mov_b32_e32 v9, 0
	s_add_u32 s4, s0, s4
	s_addc_u32 s5, s1, s5
	global_store_dword v9, v0, s[4:5]
.LBB59_11:
	s_or_b32 exec_lo, exec_lo, s3
	ds_bpermute_b32 v0, v1, v8
	s_waitcnt lgkmcnt(0)
	v_add_f32_e32 v0, v8, v0
	ds_bpermute_b32 v8, v2, v0
	s_waitcnt lgkmcnt(0)
	v_add_f32_e32 v0, v0, v8
	;; [unrolled: 3-line block ×4, first 2 shown]
	ds_bpermute_b32 v8, v12, v0
	s_and_saveexec_b32 s3, vcc_lo
	s_cbranch_execz .LBB59_13
; %bb.12:
	s_mul_i32 s4, s2, 3
	s_mov_b32 s5, 0
	s_waitcnt lgkmcnt(0)
	v_add_f32_e32 v0, v0, v8
	s_lshl_b64 s[4:5], s[4:5], 2
	v_mov_b32_e32 v8, 0
	s_add_u32 s4, s0, s4
	s_addc_u32 s5, s1, s5
	global_store_dword v8, v0, s[4:5]
.LBB59_13:
	s_or_b32 exec_lo, exec_lo, s3
	ds_bpermute_b32 v0, v1, v7
	s_waitcnt lgkmcnt(0)
	v_add_f32_e32 v0, v7, v0
	ds_bpermute_b32 v7, v2, v0
	s_waitcnt lgkmcnt(0)
	v_add_f32_e32 v0, v0, v7
	;; [unrolled: 3-line block ×4, first 2 shown]
	ds_bpermute_b32 v7, v12, v0
	s_and_saveexec_b32 s3, vcc_lo
	s_cbranch_execz .LBB59_15
; %bb.14:
	s_lshl_b32 s4, s2, 2
	s_mov_b32 s5, 0
	s_waitcnt lgkmcnt(0)
	v_add_f32_e32 v0, v0, v7
	s_lshl_b64 s[4:5], s[4:5], 2
	v_mov_b32_e32 v7, 0
	s_add_u32 s4, s0, s4
	s_addc_u32 s5, s1, s5
	global_store_dword v7, v0, s[4:5]
.LBB59_15:
	s_or_b32 exec_lo, exec_lo, s3
	ds_bpermute_b32 v0, v1, v6
	s_waitcnt lgkmcnt(0)
	v_add_f32_e32 v0, v6, v0
	ds_bpermute_b32 v6, v2, v0
	s_waitcnt lgkmcnt(0)
	v_add_f32_e32 v0, v0, v6
	;; [unrolled: 3-line block ×4, first 2 shown]
	ds_bpermute_b32 v6, v12, v0
	s_and_saveexec_b32 s3, vcc_lo
	s_cbranch_execz .LBB59_17
; %bb.16:
	s_mul_i32 s4, s2, 5
	s_mov_b32 s5, 0
	s_waitcnt lgkmcnt(0)
	v_add_f32_e32 v0, v0, v6
	s_lshl_b64 s[4:5], s[4:5], 2
	v_mov_b32_e32 v6, 0
	s_add_u32 s4, s0, s4
	s_addc_u32 s5, s1, s5
	global_store_dword v6, v0, s[4:5]
.LBB59_17:
	s_or_b32 exec_lo, exec_lo, s3
	ds_bpermute_b32 v0, v1, v5
	s_waitcnt lgkmcnt(0)
	v_add_f32_e32 v0, v5, v0
	ds_bpermute_b32 v5, v2, v0
	s_waitcnt lgkmcnt(0)
	v_add_f32_e32 v0, v0, v5
	;; [unrolled: 3-line block ×4, first 2 shown]
	ds_bpermute_b32 v5, v12, v0
	s_and_saveexec_b32 s3, vcc_lo
	s_cbranch_execz .LBB59_19
; %bb.18:
	s_mul_i32 s4, s2, 6
	s_mov_b32 s5, 0
	s_waitcnt lgkmcnt(0)
	v_add_f32_e32 v0, v0, v5
	s_lshl_b64 s[4:5], s[4:5], 2
	v_mov_b32_e32 v5, 0
	s_add_u32 s4, s0, s4
	s_addc_u32 s5, s1, s5
	global_store_dword v5, v0, s[4:5]
.LBB59_19:
	s_or_b32 exec_lo, exec_lo, s3
	ds_bpermute_b32 v0, v1, v4
	s_waitcnt lgkmcnt(0)
	v_add_f32_e32 v0, v4, v0
	ds_bpermute_b32 v1, v2, v0
	s_waitcnt lgkmcnt(0)
	v_add_f32_e32 v0, v0, v1
	;; [unrolled: 3-line block ×4, first 2 shown]
	ds_bpermute_b32 v1, v12, v0
	s_and_b32 exec_lo, exec_lo, vcc_lo
	s_cbranch_execz .LBB59_21
; %bb.20:
	s_mul_i32 s2, s2, 7
	s_mov_b32 s3, 0
	s_waitcnt lgkmcnt(0)
	v_add_f32_e32 v0, v0, v1
	s_lshl_b64 s[2:3], s[2:3], 2
	v_mov_b32_e32 v1, 0
	s_add_u32 s0, s0, s2
	s_addc_u32 s1, s1, s3
	global_store_dword v1, v0, s[0:1]
.LBB59_21:
	s_endpgm
	.section	.rodata,"a",@progbits
	.p2align	6, 0x0
	.amdhsa_kernel _ZL13mul_mat_vec_qIL9ggml_type7ELi8ELb0ELb0EEvPKvS2_PKi31ggml_cuda_mm_fusion_args_devicePfj15HIP_vector_typeIjLj3EEjjjS8_jjjS8_jjjj
		.amdhsa_group_segment_fixed_size 0
		.amdhsa_private_segment_fixed_size 0
		.amdhsa_kernarg_size 144
		.amdhsa_user_sgpr_count 6
		.amdhsa_user_sgpr_private_segment_buffer 1
		.amdhsa_user_sgpr_dispatch_ptr 0
		.amdhsa_user_sgpr_queue_ptr 0
		.amdhsa_user_sgpr_kernarg_segment_ptr 1
		.amdhsa_user_sgpr_dispatch_id 0
		.amdhsa_user_sgpr_flat_scratch_init 0
		.amdhsa_user_sgpr_private_segment_size 0
		.amdhsa_wavefront_size32 1
		.amdhsa_uses_dynamic_stack 0
		.amdhsa_system_sgpr_private_segment_wavefront_offset 0
		.amdhsa_system_sgpr_workgroup_id_x 1
		.amdhsa_system_sgpr_workgroup_id_y 1
		.amdhsa_system_sgpr_workgroup_id_z 1
		.amdhsa_system_sgpr_workgroup_info 0
		.amdhsa_system_vgpr_workitem_id 1
		.amdhsa_next_free_vgpr 67
		.amdhsa_next_free_sgpr 26
		.amdhsa_reserve_vcc 1
		.amdhsa_reserve_flat_scratch 0
		.amdhsa_float_round_mode_32 0
		.amdhsa_float_round_mode_16_64 0
		.amdhsa_float_denorm_mode_32 3
		.amdhsa_float_denorm_mode_16_64 3
		.amdhsa_dx10_clamp 1
		.amdhsa_ieee_mode 1
		.amdhsa_fp16_overflow 0
		.amdhsa_workgroup_processor_mode 1
		.amdhsa_memory_ordered 1
		.amdhsa_forward_progress 1
		.amdhsa_shared_vgpr_count 0
		.amdhsa_exception_fp_ieee_invalid_op 0
		.amdhsa_exception_fp_denorm_src 0
		.amdhsa_exception_fp_ieee_div_zero 0
		.amdhsa_exception_fp_ieee_overflow 0
		.amdhsa_exception_fp_ieee_underflow 0
		.amdhsa_exception_fp_ieee_inexact 0
		.amdhsa_exception_int_div_zero 0
	.end_amdhsa_kernel
	.section	.text._ZL13mul_mat_vec_qIL9ggml_type7ELi8ELb0ELb0EEvPKvS2_PKi31ggml_cuda_mm_fusion_args_devicePfj15HIP_vector_typeIjLj3EEjjjS8_jjjS8_jjjj,"axG",@progbits,_ZL13mul_mat_vec_qIL9ggml_type7ELi8ELb0ELb0EEvPKvS2_PKi31ggml_cuda_mm_fusion_args_devicePfj15HIP_vector_typeIjLj3EEjjjS8_jjjS8_jjjj,comdat
.Lfunc_end59:
	.size	_ZL13mul_mat_vec_qIL9ggml_type7ELi8ELb0ELb0EEvPKvS2_PKi31ggml_cuda_mm_fusion_args_devicePfj15HIP_vector_typeIjLj3EEjjjS8_jjjS8_jjjj, .Lfunc_end59-_ZL13mul_mat_vec_qIL9ggml_type7ELi8ELb0ELb0EEvPKvS2_PKi31ggml_cuda_mm_fusion_args_devicePfj15HIP_vector_typeIjLj3EEjjjS8_jjjS8_jjjj
                                        ; -- End function
	.set _ZL13mul_mat_vec_qIL9ggml_type7ELi8ELb0ELb0EEvPKvS2_PKi31ggml_cuda_mm_fusion_args_devicePfj15HIP_vector_typeIjLj3EEjjjS8_jjjS8_jjjj.num_vgpr, 67
	.set _ZL13mul_mat_vec_qIL9ggml_type7ELi8ELb0ELb0EEvPKvS2_PKi31ggml_cuda_mm_fusion_args_devicePfj15HIP_vector_typeIjLj3EEjjjS8_jjjS8_jjjj.num_agpr, 0
	.set _ZL13mul_mat_vec_qIL9ggml_type7ELi8ELb0ELb0EEvPKvS2_PKi31ggml_cuda_mm_fusion_args_devicePfj15HIP_vector_typeIjLj3EEjjjS8_jjjS8_jjjj.numbered_sgpr, 26
	.set _ZL13mul_mat_vec_qIL9ggml_type7ELi8ELb0ELb0EEvPKvS2_PKi31ggml_cuda_mm_fusion_args_devicePfj15HIP_vector_typeIjLj3EEjjjS8_jjjS8_jjjj.num_named_barrier, 0
	.set _ZL13mul_mat_vec_qIL9ggml_type7ELi8ELb0ELb0EEvPKvS2_PKi31ggml_cuda_mm_fusion_args_devicePfj15HIP_vector_typeIjLj3EEjjjS8_jjjS8_jjjj.private_seg_size, 0
	.set _ZL13mul_mat_vec_qIL9ggml_type7ELi8ELb0ELb0EEvPKvS2_PKi31ggml_cuda_mm_fusion_args_devicePfj15HIP_vector_typeIjLj3EEjjjS8_jjjS8_jjjj.uses_vcc, 1
	.set _ZL13mul_mat_vec_qIL9ggml_type7ELi8ELb0ELb0EEvPKvS2_PKi31ggml_cuda_mm_fusion_args_devicePfj15HIP_vector_typeIjLj3EEjjjS8_jjjS8_jjjj.uses_flat_scratch, 0
	.set _ZL13mul_mat_vec_qIL9ggml_type7ELi8ELb0ELb0EEvPKvS2_PKi31ggml_cuda_mm_fusion_args_devicePfj15HIP_vector_typeIjLj3EEjjjS8_jjjS8_jjjj.has_dyn_sized_stack, 0
	.set _ZL13mul_mat_vec_qIL9ggml_type7ELi8ELb0ELb0EEvPKvS2_PKi31ggml_cuda_mm_fusion_args_devicePfj15HIP_vector_typeIjLj3EEjjjS8_jjjS8_jjjj.has_recursion, 0
	.set _ZL13mul_mat_vec_qIL9ggml_type7ELi8ELb0ELb0EEvPKvS2_PKi31ggml_cuda_mm_fusion_args_devicePfj15HIP_vector_typeIjLj3EEjjjS8_jjjS8_jjjj.has_indirect_call, 0
	.section	.AMDGPU.csdata,"",@progbits
; Kernel info:
; codeLenInByte = 2776
; TotalNumSgprs: 28
; NumVgprs: 67
; ScratchSize: 0
; MemoryBound: 0
; FloatMode: 240
; IeeeMode: 1
; LDSByteSize: 0 bytes/workgroup (compile time only)
; SGPRBlocks: 0
; VGPRBlocks: 8
; NumSGPRsForWavesPerEU: 28
; NumVGPRsForWavesPerEU: 67
; Occupancy: 12
; WaveLimiterHint : 0
; COMPUTE_PGM_RSRC2:SCRATCH_EN: 0
; COMPUTE_PGM_RSRC2:USER_SGPR: 6
; COMPUTE_PGM_RSRC2:TRAP_HANDLER: 0
; COMPUTE_PGM_RSRC2:TGID_X_EN: 1
; COMPUTE_PGM_RSRC2:TGID_Y_EN: 1
; COMPUTE_PGM_RSRC2:TGID_Z_EN: 1
; COMPUTE_PGM_RSRC2:TIDIG_COMP_CNT: 1
	.section	.text._ZL17mul_mat_vec_q_moeIL9ggml_type8ELi2EEvPKvS2_PKiPfj15HIP_vector_typeIjLj3EEjjjjjjjjj,"axG",@progbits,_ZL17mul_mat_vec_q_moeIL9ggml_type8ELi2EEvPKvS2_PKiPfj15HIP_vector_typeIjLj3EEjjjjjjjjj,comdat
	.globl	_ZL17mul_mat_vec_q_moeIL9ggml_type8ELi2EEvPKvS2_PKiPfj15HIP_vector_typeIjLj3EEjjjjjjjjj ; -- Begin function _ZL17mul_mat_vec_q_moeIL9ggml_type8ELi2EEvPKvS2_PKiPfj15HIP_vector_typeIjLj3EEjjjjjjjjj
	.p2align	8
	.type	_ZL17mul_mat_vec_q_moeIL9ggml_type8ELi2EEvPKvS2_PKiPfj15HIP_vector_typeIjLj3EEjjjjjjjjj,@function
_ZL17mul_mat_vec_q_moeIL9ggml_type8ELi2EEvPKvS2_PKiPfj15HIP_vector_typeIjLj3EEjjjjjjjjj: ; @_ZL17mul_mat_vec_q_moeIL9ggml_type8ELi2EEvPKvS2_PKiPfj15HIP_vector_typeIjLj3EEjjjjjjjjj
; %bb.0:
	s_load_dwordx8 s[16:23], s[4:5], 0x30
	s_mov_b32 s0, exec_lo
	s_waitcnt lgkmcnt(0)
	v_cmpx_gt_u32_e64 s23, v1
	s_cbranch_execz .LBB60_7
; %bb.1:
	s_clause 0x2
	s_load_dword s1, s[4:5], 0x20
	s_load_dword s0, s[4:5], 0x50
	s_load_dwordx8 s[8:15], s[4:5], 0x0
	v_lshrrev_b32_e32 v8, 2, v0
	v_mov_b32_e32 v2, 0
	v_mov_b32_e32 v3, 0
	s_mov_b32 s2, s7
	s_waitcnt lgkmcnt(0)
	s_lshr_b32 s3, s1, 5
	s_lshl_b32 s1, s6, 1
	s_mov_b32 s6, exec_lo
	v_cmpx_gt_u32_e64 s3, v8
	s_cbranch_execz .LBB60_5
; %bb.2:
	v_mad_u64_u32 v[2:3], null, s0, v1, s[2:3]
	v_mov_b32_e32 v3, 0
	s_load_dwordx4 s[24:27], s[4:5], 0x24
	v_lshrrev_b32_e32 v10, 2, v0
	v_lshlrev_b32_e32 v6, 2, v0
	s_add_i32 s0, s1, 1
	v_and_b32_e32 v7, 3, v0
	v_lshlrev_b64 v[4:5], 2, v[2:3]
	v_and_b32_e32 v12, 12, v6
	v_lshlrev_b32_e32 v9, 3, v7
	v_add_co_u32 v4, vcc_lo, s12, v4
	v_add_co_ci_u32_e64 v5, null, s13, v5, vcc_lo
	global_load_dword v2, v[4:5], off
	v_mul_lo_u32 v4, s18, v1
	s_waitcnt lgkmcnt(0)
	s_mul_hi_u32 s4, s24, s2
	s_add_i32 s4, s2, s4
	s_lshr_b32 s4, s4, s25
	s_mul_i32 s4, s4, s26
	v_mad_u64_u32 v[4:5], null, v4, 36, 0
	s_sub_i32 s4, s2, s4
	s_mul_i32 s4, s4, s21
	s_mul_i32 s5, s4, 36
	s_mul_hi_u32 s4, s4, 36
	v_mad_u64_u32 v[10:11], null, v10, 36, v[4:5]
	s_add_u32 s5, s10, s5
	s_addc_u32 s4, s11, s4
	s_waitcnt vmcnt(0)
	v_mul_lo_u32 v2, v2, s20
	v_mad_u64_u32 v[4:5], null, s1, s17, v[2:3]
	v_mad_u64_u32 v[5:6], null, s17, s0, v[2:3]
	v_add_co_u32 v6, vcc_lo, s5, v10
	v_add_co_ci_u32_e64 v7, null, s4, v11, vcc_lo
	v_lshlrev_b32_e32 v10, 1, v12
	v_mov_b32_e32 v2, v3
	s_mov_b32 s4, 0
.LBB60_3:                               ; =>This Inner Loop Header: Depth=1
	v_add_nc_u32_e32 v13, v4, v8
	v_add_nc_u32_e32 v15, v5, v8
	v_add_co_u32 v11, vcc_lo, v6, v9
	v_add_co_ci_u32_e64 v12, null, 0, v7, vcc_lo
	v_mad_i64_i32 v[13:14], null, v13, 34, s[8:9]
	v_mad_i64_i32 v[15:16], null, v15, 34, s[8:9]
	v_add_nc_u32_e32 v8, 8, v8
	v_add_co_u32 v17, vcc_lo, v13, v10
	v_add_co_ci_u32_e64 v18, null, 0, v14, vcc_lo
	v_add_co_u32 v19, vcc_lo, v15, v10
	v_add_co_ci_u32_e64 v20, null, 0, v16, vcc_lo
	s_clause 0x1
	global_load_dword v21, v[6:7], off
	global_load_dwordx2 v[11:12], v[11:12], off offset:4
	s_clause 0x3
	global_load_dwordx2 v[17:18], v[17:18], off offset:2
	global_load_dwordx2 v[19:20], v[19:20], off offset:2
	global_load_ushort v15, v[15:16], off
	global_load_ushort v13, v[13:14], off
	v_mov_b32_e32 v14, 0
	v_mov_b32_e32 v16, 0
	v_add_co_u32 v6, vcc_lo, 0x120, v6
	v_cmp_le_u32_e64 s0, s3, v8
	v_add_co_ci_u32_e64 v7, null, 0, v7, vcc_lo
	s_or_b32 s4, s0, s4
	s_waitcnt vmcnt(5)
	v_cvt_f32_f16_e32 v21, v21
	s_waitcnt vmcnt(3)
	v_dot4c_i32_i8 v14, v17, v11
	s_waitcnt vmcnt(2)
	v_dot4c_i32_i8 v16, v19, v11
	s_waitcnt vmcnt(0)
	v_cvt_f32_f16_e32 v11, v13
	v_cvt_f32_f16_e32 v13, v15
	v_dot4c_i32_i8 v14, v18, v12
	v_dot4c_i32_i8 v16, v20, v12
	v_mul_f32_e32 v11, v11, v21
	v_mul_f32_e32 v12, v13, v21
	v_cvt_f32_i32_e32 v13, v14
	v_cvt_f32_i32_e32 v14, v16
	v_fmac_f32_e32 v3, v11, v13
	v_fmac_f32_e32 v2, v12, v14
	s_andn2_b32 exec_lo, exec_lo, s4
	s_cbranch_execnz .LBB60_3
; %bb.4:
	s_or_b32 exec_lo, exec_lo, s4
.LBB60_5:
	s_or_b32 exec_lo, exec_lo, s6
	v_mbcnt_lo_u32_b32 v4, -1, 0
	v_xor_b32_e32 v5, 16, v4
	v_xor_b32_e32 v7, 8, v4
	v_cmp_gt_i32_e32 vcc_lo, 32, v5
	v_cndmask_b32_e32 v5, v4, v5, vcc_lo
	v_cmp_gt_i32_e32 vcc_lo, 32, v7
	v_lshlrev_b32_e32 v5, 2, v5
	v_cndmask_b32_e32 v7, v4, v7, vcc_lo
	ds_bpermute_b32 v6, v5, v3
	ds_bpermute_b32 v5, v5, v2
	v_lshlrev_b32_e32 v7, 2, v7
	s_waitcnt lgkmcnt(1)
	v_add_f32_e32 v3, v3, v6
	s_waitcnt lgkmcnt(0)
	v_add_f32_e32 v2, v2, v5
	ds_bpermute_b32 v5, v7, v3
	ds_bpermute_b32 v6, v7, v2
	v_xor_b32_e32 v7, 4, v4
	v_cmp_gt_i32_e32 vcc_lo, 32, v7
	v_cndmask_b32_e32 v7, v4, v7, vcc_lo
	v_lshlrev_b32_e32 v7, 2, v7
	s_waitcnt lgkmcnt(1)
	v_add_f32_e32 v3, v3, v5
	s_waitcnt lgkmcnt(0)
	v_add_f32_e32 v2, v2, v6
	ds_bpermute_b32 v5, v7, v3
	ds_bpermute_b32 v6, v7, v2
	v_xor_b32_e32 v7, 2, v4
	v_cmp_gt_i32_e32 vcc_lo, 32, v7
	v_cndmask_b32_e32 v7, v4, v7, vcc_lo
	v_lshlrev_b32_e32 v7, 2, v7
	s_waitcnt lgkmcnt(1)
	v_add_f32_e32 v3, v3, v5
	s_waitcnt lgkmcnt(0)
	v_add_f32_e32 v5, v2, v6
	ds_bpermute_b32 v2, v7, v3
	ds_bpermute_b32 v6, v7, v5
	v_xor_b32_e32 v7, 1, v4
	v_cmp_gt_i32_e32 vcc_lo, 32, v7
	v_cndmask_b32_e32 v4, v4, v7, vcc_lo
	v_cmp_gt_u32_e32 vcc_lo, 2, v0
	v_lshlrev_b32_e32 v7, 2, v4
	s_waitcnt lgkmcnt(1)
	v_add_f32_e32 v2, v3, v2
	s_waitcnt lgkmcnt(0)
	v_add_f32_e32 v3, v5, v6
	v_add_nc_u32_e32 v6, s1, v0
	ds_bpermute_b32 v4, v7, v2
	ds_bpermute_b32 v5, v7, v3
	v_cmp_gt_u32_e64 s0, s16, v6
	s_and_b32 s0, vcc_lo, s0
	s_and_b32 exec_lo, exec_lo, s0
	s_cbranch_execz .LBB60_7
; %bb.6:
	v_mul_lo_u32 v1, s19, v1
	v_or_b32_e32 v6, s1, v0
	s_mul_i32 s0, s22, s2
	v_mov_b32_e32 v7, 0
	s_waitcnt lgkmcnt(1)
	v_add_f32_e32 v4, v2, v4
	s_waitcnt lgkmcnt(0)
	v_add_f32_e32 v3, v3, v5
	v_cmp_eq_u32_e32 vcc_lo, 1, v0
	v_add3_u32 v6, v6, v1, s0
	v_cndmask_b32_e32 v3, v4, v3, vcc_lo
	v_lshlrev_b64 v[1:2], 2, v[6:7]
	v_add_co_u32 v0, vcc_lo, s14, v1
	v_add_co_ci_u32_e64 v1, null, s15, v2, vcc_lo
	global_store_dword v[0:1], v3, off
.LBB60_7:
	s_endpgm
	.section	.rodata,"a",@progbits
	.p2align	6, 0x0
	.amdhsa_kernel _ZL17mul_mat_vec_q_moeIL9ggml_type8ELi2EEvPKvS2_PKiPfj15HIP_vector_typeIjLj3EEjjjjjjjjj
		.amdhsa_group_segment_fixed_size 0
		.amdhsa_private_segment_fixed_size 0
		.amdhsa_kernarg_size 84
		.amdhsa_user_sgpr_count 6
		.amdhsa_user_sgpr_private_segment_buffer 1
		.amdhsa_user_sgpr_dispatch_ptr 0
		.amdhsa_user_sgpr_queue_ptr 0
		.amdhsa_user_sgpr_kernarg_segment_ptr 1
		.amdhsa_user_sgpr_dispatch_id 0
		.amdhsa_user_sgpr_flat_scratch_init 0
		.amdhsa_user_sgpr_private_segment_size 0
		.amdhsa_wavefront_size32 1
		.amdhsa_uses_dynamic_stack 0
		.amdhsa_system_sgpr_private_segment_wavefront_offset 0
		.amdhsa_system_sgpr_workgroup_id_x 1
		.amdhsa_system_sgpr_workgroup_id_y 1
		.amdhsa_system_sgpr_workgroup_id_z 0
		.amdhsa_system_sgpr_workgroup_info 0
		.amdhsa_system_vgpr_workitem_id 1
		.amdhsa_next_free_vgpr 22
		.amdhsa_next_free_sgpr 28
		.amdhsa_reserve_vcc 1
		.amdhsa_reserve_flat_scratch 0
		.amdhsa_float_round_mode_32 0
		.amdhsa_float_round_mode_16_64 0
		.amdhsa_float_denorm_mode_32 3
		.amdhsa_float_denorm_mode_16_64 3
		.amdhsa_dx10_clamp 1
		.amdhsa_ieee_mode 1
		.amdhsa_fp16_overflow 0
		.amdhsa_workgroup_processor_mode 1
		.amdhsa_memory_ordered 1
		.amdhsa_forward_progress 1
		.amdhsa_shared_vgpr_count 0
		.amdhsa_exception_fp_ieee_invalid_op 0
		.amdhsa_exception_fp_denorm_src 0
		.amdhsa_exception_fp_ieee_div_zero 0
		.amdhsa_exception_fp_ieee_overflow 0
		.amdhsa_exception_fp_ieee_underflow 0
		.amdhsa_exception_fp_ieee_inexact 0
		.amdhsa_exception_int_div_zero 0
	.end_amdhsa_kernel
	.section	.text._ZL17mul_mat_vec_q_moeIL9ggml_type8ELi2EEvPKvS2_PKiPfj15HIP_vector_typeIjLj3EEjjjjjjjjj,"axG",@progbits,_ZL17mul_mat_vec_q_moeIL9ggml_type8ELi2EEvPKvS2_PKiPfj15HIP_vector_typeIjLj3EEjjjjjjjjj,comdat
.Lfunc_end60:
	.size	_ZL17mul_mat_vec_q_moeIL9ggml_type8ELi2EEvPKvS2_PKiPfj15HIP_vector_typeIjLj3EEjjjjjjjjj, .Lfunc_end60-_ZL17mul_mat_vec_q_moeIL9ggml_type8ELi2EEvPKvS2_PKiPfj15HIP_vector_typeIjLj3EEjjjjjjjjj
                                        ; -- End function
	.set _ZL17mul_mat_vec_q_moeIL9ggml_type8ELi2EEvPKvS2_PKiPfj15HIP_vector_typeIjLj3EEjjjjjjjjj.num_vgpr, 22
	.set _ZL17mul_mat_vec_q_moeIL9ggml_type8ELi2EEvPKvS2_PKiPfj15HIP_vector_typeIjLj3EEjjjjjjjjj.num_agpr, 0
	.set _ZL17mul_mat_vec_q_moeIL9ggml_type8ELi2EEvPKvS2_PKiPfj15HIP_vector_typeIjLj3EEjjjjjjjjj.numbered_sgpr, 28
	.set _ZL17mul_mat_vec_q_moeIL9ggml_type8ELi2EEvPKvS2_PKiPfj15HIP_vector_typeIjLj3EEjjjjjjjjj.num_named_barrier, 0
	.set _ZL17mul_mat_vec_q_moeIL9ggml_type8ELi2EEvPKvS2_PKiPfj15HIP_vector_typeIjLj3EEjjjjjjjjj.private_seg_size, 0
	.set _ZL17mul_mat_vec_q_moeIL9ggml_type8ELi2EEvPKvS2_PKiPfj15HIP_vector_typeIjLj3EEjjjjjjjjj.uses_vcc, 1
	.set _ZL17mul_mat_vec_q_moeIL9ggml_type8ELi2EEvPKvS2_PKiPfj15HIP_vector_typeIjLj3EEjjjjjjjjj.uses_flat_scratch, 0
	.set _ZL17mul_mat_vec_q_moeIL9ggml_type8ELi2EEvPKvS2_PKiPfj15HIP_vector_typeIjLj3EEjjjjjjjjj.has_dyn_sized_stack, 0
	.set _ZL17mul_mat_vec_q_moeIL9ggml_type8ELi2EEvPKvS2_PKiPfj15HIP_vector_typeIjLj3EEjjjjjjjjj.has_recursion, 0
	.set _ZL17mul_mat_vec_q_moeIL9ggml_type8ELi2EEvPKvS2_PKiPfj15HIP_vector_typeIjLj3EEjjjjjjjjj.has_indirect_call, 0
	.section	.AMDGPU.csdata,"",@progbits
; Kernel info:
; codeLenInByte = 904
; TotalNumSgprs: 30
; NumVgprs: 22
; ScratchSize: 0
; MemoryBound: 0
; FloatMode: 240
; IeeeMode: 1
; LDSByteSize: 0 bytes/workgroup (compile time only)
; SGPRBlocks: 0
; VGPRBlocks: 2
; NumSGPRsForWavesPerEU: 30
; NumVGPRsForWavesPerEU: 22
; Occupancy: 16
; WaveLimiterHint : 1
; COMPUTE_PGM_RSRC2:SCRATCH_EN: 0
; COMPUTE_PGM_RSRC2:USER_SGPR: 6
; COMPUTE_PGM_RSRC2:TRAP_HANDLER: 0
; COMPUTE_PGM_RSRC2:TGID_X_EN: 1
; COMPUTE_PGM_RSRC2:TGID_Y_EN: 1
; COMPUTE_PGM_RSRC2:TGID_Z_EN: 0
; COMPUTE_PGM_RSRC2:TIDIG_COMP_CNT: 1
	.section	.text._ZL13mul_mat_vec_qIL9ggml_type8ELi1ELb1ELb1EEvPKvS2_PKi31ggml_cuda_mm_fusion_args_devicePfj15HIP_vector_typeIjLj3EEjjjS8_jjjS8_jjjj,"axG",@progbits,_ZL13mul_mat_vec_qIL9ggml_type8ELi1ELb1ELb1EEvPKvS2_PKi31ggml_cuda_mm_fusion_args_devicePfj15HIP_vector_typeIjLj3EEjjjS8_jjjS8_jjjj,comdat
	.globl	_ZL13mul_mat_vec_qIL9ggml_type8ELi1ELb1ELb1EEvPKvS2_PKi31ggml_cuda_mm_fusion_args_devicePfj15HIP_vector_typeIjLj3EEjjjS8_jjjS8_jjjj ; -- Begin function _ZL13mul_mat_vec_qIL9ggml_type8ELi1ELb1ELb1EEvPKvS2_PKi31ggml_cuda_mm_fusion_args_devicePfj15HIP_vector_typeIjLj3EEjjjS8_jjjS8_jjjj
	.p2align	8
	.type	_ZL13mul_mat_vec_qIL9ggml_type8ELi1ELb1ELb1EEvPKvS2_PKi31ggml_cuda_mm_fusion_args_devicePfj15HIP_vector_typeIjLj3EEjjjS8_jjjS8_jjjj,@function
_ZL13mul_mat_vec_qIL9ggml_type8ELi1ELb1ELb1EEvPKvS2_PKi31ggml_cuda_mm_fusion_args_devicePfj15HIP_vector_typeIjLj3EEjjjS8_jjjS8_jjjj: ; @_ZL13mul_mat_vec_qIL9ggml_type8ELi1ELb1ELb1EEvPKvS2_PKi31ggml_cuda_mm_fusion_args_devicePfj15HIP_vector_typeIjLj3EEjjjS8_jjjS8_jjjj
; %bb.0:
	s_clause 0x3
	s_load_dwordx8 s[12:19], s[4:5], 0x0
	s_load_dwordx4 s[28:31], s[4:5], 0x20
	s_load_dwordx4 s[36:39], s[4:5], 0x40
	;; [unrolled: 1-line block ×3, first 2 shown]
	s_mov_b32 s10, s7
	s_waitcnt lgkmcnt(0)
	s_cmp_lg_u64 s[16:17], 0
	s_cselect_b32 s0, -1, 0
	s_cmp_eq_u64 s[16:17], 0
	s_cbranch_scc1 .LBB61_5
; %bb.1:
	s_mov_b32 s11, 0
	s_lshl_b64 s[2:3], s[10:11], 2
	s_add_u32 s2, s16, s2
	s_addc_u32 s3, s17, s3
	s_load_dword s33, s[2:3], 0x0
	s_clause 0x1
	s_load_dword s34, s[4:5], 0x50
	s_load_dword s35, s[4:5], 0x78
	s_cbranch_execnz .LBB61_3
.LBB61_2:
	s_load_dwordx2 s[2:3], s[4:5], 0x5c
	s_waitcnt lgkmcnt(0)
	s_mul_hi_u32 s1, s2, s10
	s_add_i32 s1, s10, s1
	s_lshr_b32 s33, s1, s3
.LBB61_3:
	s_andn2_b32 vcc_lo, exec_lo, s0
	s_cbranch_vccnz .LBB61_6
; %bb.4:
	s_mul_hi_u32 s0, s37, s10
	s_waitcnt lgkmcnt(0)
	s_mov_b32 s1, s33
	s_add_i32 s0, s10, s0
	s_lshr_b32 s0, s0, s38
	s_mul_i32 s0, s0, s39
	s_sub_i32 s11, s10, s0
	s_branch .LBB61_7
.LBB61_5:
                                        ; implicit-def: $sgpr33
	s_clause 0x1
	s_load_dword s34, s[4:5], 0x50
	s_load_dword s35, s[4:5], 0x78
	s_branch .LBB61_2
.LBB61_6:
	s_mov_b32 s1, s10
	s_mov_b32 s11, s10
.LBB61_7:
	s_load_dwordx4 s[24:27], s[4:5], 0x80
	v_or_b32_e32 v2, v0, v1
	s_cmp_lg_u64 s[18:19], 0
	v_mov_b32_e32 v8, 0
	v_mov_b32_e32 v9, 0
	s_cselect_b32 s0, -1, 0
	v_cmp_eq_u32_e32 vcc_lo, 0, v2
	s_mov_b32 s17, 0
	s_mul_i32 s2, s1, s22
	s_and_b32 s3, s0, vcc_lo
	s_and_saveexec_b32 s1, s3
	s_cbranch_execz .LBB61_9
; %bb.8:
	s_waitcnt lgkmcnt(0)
	s_mul_i32 s16, s26, s8
	s_mov_b32 s3, s17
	s_lshl_b64 s[38:39], s[16:17], 2
	v_lshlrev_b32_e32 v2, 2, v0
	s_add_u32 s7, s18, s38
	s_addc_u32 s9, s19, s39
	s_lshl_b64 s[16:17], s[2:3], 2
	s_add_u32 s3, s7, s16
	s_addc_u32 s9, s9, s17
	s_ashr_i32 s7, s6, 31
	s_lshl_b64 s[16:17], s[6:7], 2
	s_add_u32 s16, s3, s16
	s_addc_u32 s17, s9, s17
	global_load_dword v9, v2, s[16:17]
.LBB61_9:
	s_or_b32 exec_lo, exec_lo, s1
	s_cmp_lg_u64 s[28:29], 0
	s_cselect_b32 s9, -1, 0
	s_cmp_lg_u64 s[30:31], 0
	s_cselect_b32 s1, -1, 0
	s_and_b32 s3, s1, s9
	s_and_b32 s3, s3, vcc_lo
	s_and_saveexec_b32 s16, s3
	s_cbranch_execz .LBB61_11
; %bb.10:
	s_waitcnt lgkmcnt(0)
	s_mul_i32 s18, s26, s8
	s_mov_b32 s19, 0
	v_lshlrev_b32_e32 v2, 2, v0
	s_lshl_b64 s[38:39], s[18:19], 2
	s_mov_b32 s3, s19
	s_add_u32 s7, s30, s38
	s_addc_u32 s17, s31, s39
	s_lshl_b64 s[2:3], s[2:3], 2
	s_add_u32 s18, s7, s2
	s_addc_u32 s17, s17, s3
	s_ashr_i32 s7, s6, 31
	s_lshl_b64 s[2:3], s[6:7], 2
	s_add_u32 s2, s18, s2
	s_addc_u32 s3, s17, s3
	global_load_dword v8, v2, s[2:3]
.LBB61_11:
	s_or_b32 exec_lo, exec_lo, s16
	v_lshl_or_b32 v2, v1, 5, v0
	v_mov_b32_e32 v12, 0
	v_cndmask_b32_e64 v10, 0, 1, s9
	v_mov_b32_e32 v11, 0
	s_lshr_b32 s3, s36, 5
	v_lshrrev_b32_e32 v13, 2, v2
	s_mov_b32 s7, exec_lo
	v_cmpx_gt_u32_e64 s3, v13
	s_cbranch_execz .LBB61_17
; %bb.12:
	s_mul_hi_u32 s2, s23, s8
	s_waitcnt lgkmcnt(0)
	s_mul_i32 s34, s34, s6
	s_add_i32 s2, s8, s2
	s_mul_i32 s16, s25, s8
	s_lshr_b32 s2, s2, s35
	s_mul_i32 s17, s33, s20
	s_mul_i32 s2, s2, s24
	v_lshlrev_b32_e32 v3, 2, v0
	s_add_i32 s2, s2, s34
	s_mul_i32 s18, s11, s21
	s_add_i32 s11, s17, s2
	s_mul_i32 s17, s16, 36
	s_mul_hi_u32 s16, s16, 36
	v_lshrrev_b32_e32 v2, 2, v2
	s_mul_hi_u32 s2, s18, 36
	s_mul_i32 s18, s18, 36
	s_add_u32 s14, s14, s17
	s_addc_u32 s15, s15, s16
	s_add_u32 s14, s14, s18
	v_and_b32_e32 v4, 12, v3
	v_and_b32_e32 v5, 3, v0
	s_addc_u32 s15, s15, s2
	v_mov_b32_e32 v12, 0
	v_mad_u64_u32 v[2:3], null, v2, 36, s[14:15]
	v_lshlrev_b32_e32 v14, 3, v5
	v_lshlrev_b32_e32 v15, 1, v4
	v_mov_b32_e32 v11, 0
	s_mov_b32 s14, 0
	s_branch .LBB61_14
.LBB61_13:                              ;   in Loop: Header=BB61_14 Depth=1
	v_mov_b32_e32 v18, 0
	v_add_nc_u32_e32 v13, 8, v13
	v_add_co_u32 v2, s2, 0x120, v2
	v_add_co_ci_u32_e64 v3, null, 0, v3, s2
	s_waitcnt vmcnt(1)
	v_dot4c_i32_i8 v18, v6, v4
	s_waitcnt vmcnt(0)
	v_cvt_f32_f16_e32 v4, v17
	v_cmp_le_u32_e32 vcc_lo, s3, v13
	v_dot4c_i32_i8 v18, v7, v5
	v_mul_f32_e32 v4, v4, v16
	s_or_b32 s14, vcc_lo, s14
	v_cvt_f32_i32_e32 v5, v18
	v_fmac_f32_e32 v12, v4, v5
	s_andn2_b32 exec_lo, exec_lo, s14
	s_cbranch_execz .LBB61_16
.LBB61_14:                              ; =>This Inner Loop Header: Depth=1
	v_add_nc_u32_e32 v18, s11, v13
	v_add_co_u32 v4, vcc_lo, v2, v14
	v_add_co_ci_u32_e64 v5, null, 0, v3, vcc_lo
	v_mad_i64_i32 v[16:17], null, v18, 34, s[12:13]
	v_add_co_u32 v6, vcc_lo, v16, v15
	v_add_co_ci_u32_e64 v7, null, 0, v17, vcc_lo
	s_andn2_b32 vcc_lo, exec_lo, s9
	s_clause 0x1
	global_load_dword v19, v[2:3], off
	global_load_dwordx2 v[4:5], v[4:5], off offset:4
	s_clause 0x1
	global_load_dwordx2 v[6:7], v[6:7], off offset:2
	global_load_ushort v17, v[16:17], off
	s_waitcnt vmcnt(3)
	v_cvt_f32_f16_e32 v16, v19
	s_cbranch_vccnz .LBB61_13
; %bb.15:                               ;   in Loop: Header=BB61_14 Depth=1
	v_mad_i64_i32 v[18:19], null, v18, 34, s[28:29]
	v_add_co_u32 v20, vcc_lo, v18, v15
	v_add_co_ci_u32_e64 v21, null, 0, v19, vcc_lo
	s_clause 0x1
	global_load_dwordx2 v[20:21], v[20:21], off offset:2
	global_load_ushort v18, v[18:19], off
	v_mov_b32_e32 v19, 0
	s_waitcnt vmcnt(1)
	v_dot4c_i32_i8 v19, v20, v4
	s_waitcnt vmcnt(0)
	v_cvt_f32_f16_e32 v18, v18
	v_dot4c_i32_i8 v19, v21, v5
	v_mul_f32_e32 v18, v16, v18
	v_cvt_f32_i32_e32 v19, v19
	v_fmac_f32_e32 v11, v18, v19
	s_branch .LBB61_13
.LBB61_16:
	s_or_b32 exec_lo, exec_lo, s14
.LBB61_17:
	s_or_b32 exec_lo, exec_lo, s7
	s_load_dword s2, s[4:5], 0x30
	s_waitcnt vmcnt(0) lgkmcnt(0)
	; wave barrier
	buffer_gl0_inv
	s_mov_b32 s3, exec_lo
	v_cmpx_eq_u32_e32 0, v1
	s_cbranch_execz .LBB61_44
; %bb.18:
	v_mbcnt_lo_u32_b32 v2, -1, 0
	v_xor_b32_e32 v1, 16, v2
	v_xor_b32_e32 v4, 8, v2
	;; [unrolled: 1-line block ×3, first 2 shown]
	v_cmp_gt_i32_e32 vcc_lo, 32, v1
	v_cndmask_b32_e32 v1, v2, v1, vcc_lo
	v_cmp_gt_i32_e32 vcc_lo, 32, v4
	v_lshlrev_b32_e32 v1, 2, v1
	v_cndmask_b32_e32 v4, v2, v4, vcc_lo
	v_cmp_gt_i32_e32 vcc_lo, 32, v5
	ds_bpermute_b32 v3, v1, v12
	v_lshlrev_b32_e32 v4, 2, v4
	v_cndmask_b32_e32 v5, v2, v5, vcc_lo
	v_lshlrev_b32_e32 v5, 2, v5
	s_waitcnt lgkmcnt(0)
	v_add_f32_e32 v3, v12, v3
	ds_bpermute_b32 v6, v4, v3
	s_waitcnt lgkmcnt(0)
	v_add_f32_e32 v3, v3, v6
	v_xor_b32_e32 v6, 2, v2
	ds_bpermute_b32 v7, v5, v3
	v_cmp_gt_i32_e32 vcc_lo, 32, v6
	v_cndmask_b32_e32 v6, v2, v6, vcc_lo
	v_lshlrev_b32_e32 v6, 2, v6
	s_waitcnt lgkmcnt(0)
	v_add_f32_e32 v3, v3, v7
	v_xor_b32_e32 v7, 1, v2
	ds_bpermute_b32 v12, v6, v3
	v_cmp_gt_i32_e32 vcc_lo, 32, v7
	v_cndmask_b32_e32 v2, v2, v7, vcc_lo
	v_cmp_ne_u32_e32 vcc_lo, 1, v10
	v_lshlrev_b32_e32 v7, 2, v2
	s_waitcnt lgkmcnt(0)
	v_add_f32_e32 v2, v3, v12
	ds_bpermute_b32 v3, v7, v2
	s_cbranch_vccnz .LBB61_20
; %bb.19:
	ds_bpermute_b32 v1, v1, v11
	s_waitcnt lgkmcnt(0)
	v_add_f32_e32 v1, v11, v1
	ds_bpermute_b32 v4, v4, v1
	s_waitcnt lgkmcnt(0)
	v_add_f32_e32 v1, v1, v4
	;; [unrolled: 3-line block ×5, first 2 shown]
.LBB61_20:
	v_cmp_eq_u32_e32 vcc_lo, 0, v0
	s_and_b32 exec_lo, exec_lo, vcc_lo
	s_cbranch_execz .LBB61_44
; %bb.21:
	s_waitcnt lgkmcnt(0)
	v_add_f32_e32 v1, v2, v3
	v_cmp_ne_u32_e32 vcc_lo, 1, v10
	v_add_f32_e32 v2, v9, v1
	v_cndmask_b32_e64 v1, v1, v2, s0
	s_cbranch_vccnz .LBB61_43
; %bb.22:
	v_add_f32_e32 v2, v8, v11
	s_cmp_lt_i32 s2, 2
	s_mov_b32 s0, 0
	v_cndmask_b32_e64 v2, v11, v2, s1
	s_cbranch_scc1 .LBB61_26
; %bb.23:
	s_cmp_gt_i32 s2, 2
	s_cbranch_scc0 .LBB61_27
; %bb.24:
	s_cmp_eq_u32 s2, 3
	s_cbranch_scc0 .LBB61_28
; %bb.25:
	v_max_f32_e32 v3, v2, v2
	s_mov_b32 s1, 0
	v_min_f32_e32 v3, 0x40e00000, v3
	v_mul_f32_e32 v4, 0xbfd9db23, v3
	v_mul_f32_e32 v5, 0x3fb8aa3b, v4
	v_cmp_ngt_f32_e32 vcc_lo, 0xc2ce8ed0, v4
	v_fma_f32 v6, 0x3fb8aa3b, v4, -v5
	v_rndne_f32_e32 v7, v5
	v_fmamk_f32 v6, v4, 0x32a5705f, v6
	v_sub_f32_e32 v5, v5, v7
	v_add_f32_e32 v5, v5, v6
	v_cvt_i32_f32_e32 v6, v7
	v_exp_f32_e32 v5, v5
	v_ldexp_f32 v5, v5, v6
	v_cndmask_b32_e32 v5, 0, v5, vcc_lo
	v_cmp_nlt_f32_e32 vcc_lo, 0x42b17218, v4
	v_cndmask_b32_e32 v4, 0x7f800000, v5, vcc_lo
	v_add_f32_e32 v4, 1.0, v4
	v_div_scale_f32 v5, null, v4, v4, v3
	v_div_scale_f32 v8, vcc_lo, v3, v4, v3
	v_rcp_f32_e32 v6, v5
	v_fma_f32 v7, -v5, v6, 1.0
	v_fmac_f32_e32 v6, v7, v6
	v_mul_f32_e32 v7, v8, v6
	v_fma_f32 v9, -v5, v7, v8
	v_fmac_f32_e32 v7, v9, v6
	v_max_f32_e32 v9, v1, v1
	v_fma_f32 v5, -v5, v7, v8
	v_min_f32_e32 v8, 0x40e00000, v9
	v_div_fmas_f32 v5, v5, v6, v7
	v_max_f32_e32 v6, 0xc0e00000, v8
	v_div_fixup_f32 v3, v5, v4, v3
	v_add_f32_e32 v4, 1.0, v6
	v_mul_f32_e32 v3, v4, v3
	s_branch .LBB61_29
.LBB61_26:
	s_mov_b32 s1, 0
                                        ; implicit-def: $vgpr3
	s_cbranch_execnz .LBB61_33
	s_branch .LBB61_34
.LBB61_27:
	s_mov_b32 s3, -1
	s_mov_b32 s1, 0
                                        ; implicit-def: $vgpr3
	s_branch .LBB61_30
.LBB61_28:
	s_mov_b32 s1, -1
                                        ; implicit-def: $vgpr3
.LBB61_29:
	s_mov_b32 s3, 0
.LBB61_30:
	s_and_b32 vcc_lo, exec_lo, s3
	s_cbranch_vccz .LBB61_32
; %bb.31:
	v_mul_f32_e32 v3, 0xbfb8aa3b, v2
	v_cmp_nlt_f32_e32 vcc_lo, 0x42ce8ed0, v2
	v_rndne_f32_e32 v4, v3
	v_fma_f32 v5, 0xbfb8aa3b, v2, -v3
	v_sub_f32_e32 v3, v3, v4
	v_fmamk_f32 v5, v2, 0xb2a5705f, v5
	v_cvt_i32_f32_e32 v4, v4
	v_add_f32_e32 v3, v3, v5
	v_exp_f32_e32 v3, v3
	v_ldexp_f32 v3, v3, v4
	v_cndmask_b32_e32 v3, 0, v3, vcc_lo
	v_cmp_ngt_f32_e32 vcc_lo, 0xc2b17218, v2
	v_cndmask_b32_e32 v3, 0x7f800000, v3, vcc_lo
	v_add_f32_e32 v3, 1.0, v3
	v_div_scale_f32 v4, null, v3, v3, v2
	v_rcp_f32_e32 v5, v4
	v_fma_f32 v6, -v4, v5, 1.0
	v_fmac_f32_e32 v5, v6, v5
	v_div_scale_f32 v6, vcc_lo, v2, v3, v2
	v_mul_f32_e32 v7, v6, v5
	v_fma_f32 v8, -v4, v7, v6
	v_fmac_f32_e32 v7, v8, v5
	v_fma_f32 v4, -v4, v7, v6
	v_div_fmas_f32 v4, v4, v5, v7
	v_div_fixup_f32 v3, v4, v3, v2
	v_mul_f32_e32 v3, v1, v3
.LBB61_32:
	s_branch .LBB61_34
.LBB61_33:
	s_cmp_lg_u32 s2, 1
	s_mov_b32 s0, -1
	s_cselect_b32 s1, -1, 0
.LBB61_34:
	s_andn2_b32 vcc_lo, exec_lo, s1
	s_cbranch_vccz .LBB61_36
; %bb.35:
	s_andn2_b32 vcc_lo, exec_lo, s0
	s_cbranch_vccz .LBB61_37
	s_branch .LBB61_42
.LBB61_36:
	v_mul_f32_e32 v3, v2, v1
	s_cbranch_execnz .LBB61_42
.LBB61_37:
	v_mul_f32_e32 v3, 0x3d372713, v2
	v_mul_f32_e32 v4, 0x3f4c422a, v2
	v_fma_f32 v3, v2, v3, 1.0
	v_mul_f32_e32 v3, v4, v3
                                        ; implicit-def: $vgpr4
	v_cmp_ngt_f32_e64 s0, 0x3f200000, |v3|
	s_and_saveexec_b32 s1, s0
	s_xor_b32 s0, exec_lo, s1
	s_cbranch_execz .LBB61_39
; %bb.38:
	v_add_f32_e64 v4, |v3|, |v3|
	v_mul_f32_e32 v5, 0x3fb8aa3b, v4
	v_cmp_ngt_f32_e32 vcc_lo, 0xc2ce8ed0, v4
	v_rndne_f32_e32 v6, v5
	v_fma_f32 v7, 0x3fb8aa3b, v4, -v5
	v_sub_f32_e32 v5, v5, v6
	v_fmamk_f32 v7, v4, 0x32a5705f, v7
	v_cvt_i32_f32_e32 v6, v6
	v_add_f32_e32 v5, v5, v7
	v_exp_f32_e32 v5, v5
	v_ldexp_f32 v5, v5, v6
	v_cndmask_b32_e32 v5, 0, v5, vcc_lo
	v_cmp_nlt_f32_e32 vcc_lo, 0x42b17218, v4
	v_cndmask_b32_e32 v4, 0x7f800000, v5, vcc_lo
	v_add_f32_e32 v4, 1.0, v4
	v_rcp_f32_e32 v4, v4
	v_fma_f32 v4, v4, -2.0, 1.0
.LBB61_39:
	s_andn2_saveexec_b32 s0, s0
	s_cbranch_execz .LBB61_41
; %bb.40:
	v_mul_f32_e32 v4, v3, v3
	s_mov_b32 s1, 0xbbbac73d
	v_fmaak_f32 v5, s1, v4, 0x3ca908c9
	v_fmaak_f32 v5, v4, v5, 0xbd5c1c4e
	;; [unrolled: 1-line block ×4, first 2 shown]
	v_mul_f32_e64 v5, |v3|, v5
	v_fma_f32 v4, v4, v5, |v3|
.LBB61_41:
	s_or_b32 exec_lo, exec_lo, s0
	v_bfi_b32 v3, 0x7fffffff, v4, v3
	v_mul_f32_e32 v2, 0.5, v2
	v_add_f32_e32 v3, 1.0, v3
	v_mul_f32_e32 v2, v2, v3
	v_mul_f32_e32 v3, v1, v2
.LBB61_42:
	v_mov_b32_e32 v1, v3
.LBB61_43:
	s_load_dwordx2 s[0:1], s[4:5], 0x38
	s_mul_i32 s2, s22, s10
	s_mul_i32 s3, s26, s8
	s_add_i32 s2, s2, s6
	v_lshlrev_b32_e32 v0, 2, v0
	s_add_i32 s2, s2, s3
	s_mov_b32 s3, 0
	s_lshl_b64 s[2:3], s[2:3], 2
	s_waitcnt lgkmcnt(0)
	s_add_u32 s0, s0, s2
	s_addc_u32 s1, s1, s3
	global_store_dword v0, v1, s[0:1]
.LBB61_44:
	s_endpgm
	.section	.rodata,"a",@progbits
	.p2align	6, 0x0
	.amdhsa_kernel _ZL13mul_mat_vec_qIL9ggml_type8ELi1ELb1ELb1EEvPKvS2_PKi31ggml_cuda_mm_fusion_args_devicePfj15HIP_vector_typeIjLj3EEjjjS8_jjjS8_jjjj
		.amdhsa_group_segment_fixed_size 0
		.amdhsa_private_segment_fixed_size 0
		.amdhsa_kernarg_size 144
		.amdhsa_user_sgpr_count 6
		.amdhsa_user_sgpr_private_segment_buffer 1
		.amdhsa_user_sgpr_dispatch_ptr 0
		.amdhsa_user_sgpr_queue_ptr 0
		.amdhsa_user_sgpr_kernarg_segment_ptr 1
		.amdhsa_user_sgpr_dispatch_id 0
		.amdhsa_user_sgpr_flat_scratch_init 0
		.amdhsa_user_sgpr_private_segment_size 0
		.amdhsa_wavefront_size32 1
		.amdhsa_uses_dynamic_stack 0
		.amdhsa_system_sgpr_private_segment_wavefront_offset 0
		.amdhsa_system_sgpr_workgroup_id_x 1
		.amdhsa_system_sgpr_workgroup_id_y 1
		.amdhsa_system_sgpr_workgroup_id_z 1
		.amdhsa_system_sgpr_workgroup_info 0
		.amdhsa_system_vgpr_workitem_id 1
		.amdhsa_next_free_vgpr 22
		.amdhsa_next_free_sgpr 40
		.amdhsa_reserve_vcc 1
		.amdhsa_reserve_flat_scratch 0
		.amdhsa_float_round_mode_32 0
		.amdhsa_float_round_mode_16_64 0
		.amdhsa_float_denorm_mode_32 3
		.amdhsa_float_denorm_mode_16_64 3
		.amdhsa_dx10_clamp 1
		.amdhsa_ieee_mode 1
		.amdhsa_fp16_overflow 0
		.amdhsa_workgroup_processor_mode 1
		.amdhsa_memory_ordered 1
		.amdhsa_forward_progress 1
		.amdhsa_shared_vgpr_count 0
		.amdhsa_exception_fp_ieee_invalid_op 0
		.amdhsa_exception_fp_denorm_src 0
		.amdhsa_exception_fp_ieee_div_zero 0
		.amdhsa_exception_fp_ieee_overflow 0
		.amdhsa_exception_fp_ieee_underflow 0
		.amdhsa_exception_fp_ieee_inexact 0
		.amdhsa_exception_int_div_zero 0
	.end_amdhsa_kernel
	.section	.text._ZL13mul_mat_vec_qIL9ggml_type8ELi1ELb1ELb1EEvPKvS2_PKi31ggml_cuda_mm_fusion_args_devicePfj15HIP_vector_typeIjLj3EEjjjS8_jjjS8_jjjj,"axG",@progbits,_ZL13mul_mat_vec_qIL9ggml_type8ELi1ELb1ELb1EEvPKvS2_PKi31ggml_cuda_mm_fusion_args_devicePfj15HIP_vector_typeIjLj3EEjjjS8_jjjS8_jjjj,comdat
.Lfunc_end61:
	.size	_ZL13mul_mat_vec_qIL9ggml_type8ELi1ELb1ELb1EEvPKvS2_PKi31ggml_cuda_mm_fusion_args_devicePfj15HIP_vector_typeIjLj3EEjjjS8_jjjS8_jjjj, .Lfunc_end61-_ZL13mul_mat_vec_qIL9ggml_type8ELi1ELb1ELb1EEvPKvS2_PKi31ggml_cuda_mm_fusion_args_devicePfj15HIP_vector_typeIjLj3EEjjjS8_jjjS8_jjjj
                                        ; -- End function
	.set _ZL13mul_mat_vec_qIL9ggml_type8ELi1ELb1ELb1EEvPKvS2_PKi31ggml_cuda_mm_fusion_args_devicePfj15HIP_vector_typeIjLj3EEjjjS8_jjjS8_jjjj.num_vgpr, 22
	.set _ZL13mul_mat_vec_qIL9ggml_type8ELi1ELb1ELb1EEvPKvS2_PKi31ggml_cuda_mm_fusion_args_devicePfj15HIP_vector_typeIjLj3EEjjjS8_jjjS8_jjjj.num_agpr, 0
	.set _ZL13mul_mat_vec_qIL9ggml_type8ELi1ELb1ELb1EEvPKvS2_PKi31ggml_cuda_mm_fusion_args_devicePfj15HIP_vector_typeIjLj3EEjjjS8_jjjS8_jjjj.numbered_sgpr, 40
	.set _ZL13mul_mat_vec_qIL9ggml_type8ELi1ELb1ELb1EEvPKvS2_PKi31ggml_cuda_mm_fusion_args_devicePfj15HIP_vector_typeIjLj3EEjjjS8_jjjS8_jjjj.num_named_barrier, 0
	.set _ZL13mul_mat_vec_qIL9ggml_type8ELi1ELb1ELb1EEvPKvS2_PKi31ggml_cuda_mm_fusion_args_devicePfj15HIP_vector_typeIjLj3EEjjjS8_jjjS8_jjjj.private_seg_size, 0
	.set _ZL13mul_mat_vec_qIL9ggml_type8ELi1ELb1ELb1EEvPKvS2_PKi31ggml_cuda_mm_fusion_args_devicePfj15HIP_vector_typeIjLj3EEjjjS8_jjjS8_jjjj.uses_vcc, 1
	.set _ZL13mul_mat_vec_qIL9ggml_type8ELi1ELb1ELb1EEvPKvS2_PKi31ggml_cuda_mm_fusion_args_devicePfj15HIP_vector_typeIjLj3EEjjjS8_jjjS8_jjjj.uses_flat_scratch, 0
	.set _ZL13mul_mat_vec_qIL9ggml_type8ELi1ELb1ELb1EEvPKvS2_PKi31ggml_cuda_mm_fusion_args_devicePfj15HIP_vector_typeIjLj3EEjjjS8_jjjS8_jjjj.has_dyn_sized_stack, 0
	.set _ZL13mul_mat_vec_qIL9ggml_type8ELi1ELb1ELb1EEvPKvS2_PKi31ggml_cuda_mm_fusion_args_devicePfj15HIP_vector_typeIjLj3EEjjjS8_jjjS8_jjjj.has_recursion, 0
	.set _ZL13mul_mat_vec_qIL9ggml_type8ELi1ELb1ELb1EEvPKvS2_PKi31ggml_cuda_mm_fusion_args_devicePfj15HIP_vector_typeIjLj3EEjjjS8_jjjS8_jjjj.has_indirect_call, 0
	.section	.AMDGPU.csdata,"",@progbits
; Kernel info:
; codeLenInByte = 2016
; TotalNumSgprs: 42
; NumVgprs: 22
; ScratchSize: 0
; MemoryBound: 0
; FloatMode: 240
; IeeeMode: 1
; LDSByteSize: 0 bytes/workgroup (compile time only)
; SGPRBlocks: 0
; VGPRBlocks: 2
; NumSGPRsForWavesPerEU: 42
; NumVGPRsForWavesPerEU: 22
; Occupancy: 16
; WaveLimiterHint : 0
; COMPUTE_PGM_RSRC2:SCRATCH_EN: 0
; COMPUTE_PGM_RSRC2:USER_SGPR: 6
; COMPUTE_PGM_RSRC2:TRAP_HANDLER: 0
; COMPUTE_PGM_RSRC2:TGID_X_EN: 1
; COMPUTE_PGM_RSRC2:TGID_Y_EN: 1
; COMPUTE_PGM_RSRC2:TGID_Z_EN: 1
; COMPUTE_PGM_RSRC2:TIDIG_COMP_CNT: 1
	.section	.text._ZL13mul_mat_vec_qIL9ggml_type8ELi1ELb0ELb1EEvPKvS2_PKi31ggml_cuda_mm_fusion_args_devicePfj15HIP_vector_typeIjLj3EEjjjS8_jjjS8_jjjj,"axG",@progbits,_ZL13mul_mat_vec_qIL9ggml_type8ELi1ELb0ELb1EEvPKvS2_PKi31ggml_cuda_mm_fusion_args_devicePfj15HIP_vector_typeIjLj3EEjjjS8_jjjS8_jjjj,comdat
	.globl	_ZL13mul_mat_vec_qIL9ggml_type8ELi1ELb0ELb1EEvPKvS2_PKi31ggml_cuda_mm_fusion_args_devicePfj15HIP_vector_typeIjLj3EEjjjS8_jjjS8_jjjj ; -- Begin function _ZL13mul_mat_vec_qIL9ggml_type8ELi1ELb0ELb1EEvPKvS2_PKi31ggml_cuda_mm_fusion_args_devicePfj15HIP_vector_typeIjLj3EEjjjS8_jjjS8_jjjj
	.p2align	8
	.type	_ZL13mul_mat_vec_qIL9ggml_type8ELi1ELb0ELb1EEvPKvS2_PKi31ggml_cuda_mm_fusion_args_devicePfj15HIP_vector_typeIjLj3EEjjjS8_jjjS8_jjjj,@function
_ZL13mul_mat_vec_qIL9ggml_type8ELi1ELb0ELb1EEvPKvS2_PKi31ggml_cuda_mm_fusion_args_devicePfj15HIP_vector_typeIjLj3EEjjjS8_jjjS8_jjjj: ; @_ZL13mul_mat_vec_qIL9ggml_type8ELi1ELb0ELb1EEvPKvS2_PKi31ggml_cuda_mm_fusion_args_devicePfj15HIP_vector_typeIjLj3EEjjjS8_jjjS8_jjjj
; %bb.0:
	s_clause 0x1
	s_load_dwordx2 s[0:1], s[4:5], 0x10
	s_load_dwordx4 s[16:19], s[4:5], 0x40
	s_mov_b32 s10, s7
	s_waitcnt lgkmcnt(0)
	s_cmp_lg_u64 s[0:1], 0
	s_cselect_b32 s7, -1, 0
	s_cmp_eq_u64 s[0:1], 0
	s_cbranch_scc1 .LBB62_5
; %bb.1:
	s_mov_b32 s11, 0
	s_lshl_b64 s[2:3], s[10:11], 2
	s_add_u32 s0, s0, s2
	s_addc_u32 s1, s1, s3
	s_load_dword s20, s[0:1], 0x0
	s_clause 0x1
	s_load_dwordx4 s[0:3], s[4:5], 0x68
	s_load_dword s21, s[4:5], 0x50
	s_cbranch_execnz .LBB62_3
.LBB62_2:
	s_load_dwordx2 s[12:13], s[4:5], 0x5c
	s_waitcnt lgkmcnt(0)
	s_mul_hi_u32 s9, s12, s10
	s_add_i32 s9, s10, s9
	s_lshr_b32 s20, s9, s13
.LBB62_3:
	s_load_dword s11, s[4:5], 0x78
	s_andn2_b32 vcc_lo, exec_lo, s7
	s_cbranch_vccnz .LBB62_6
; %bb.4:
	s_mul_hi_u32 s7, s17, s10
	s_add_i32 s7, s10, s7
	s_lshr_b32 s7, s7, s18
	s_mul_i32 s7, s7, s19
	s_sub_i32 s22, s10, s7
	s_branch .LBB62_7
.LBB62_5:
                                        ; implicit-def: $sgpr20
	s_clause 0x1
	s_load_dwordx4 s[0:3], s[4:5], 0x68
	s_load_dword s21, s[4:5], 0x50
	s_branch .LBB62_2
.LBB62_6:
	s_mov_b32 s22, s10
.LBB62_7:
	s_load_dwordx4 s[12:15], s[4:5], 0x80
	v_lshl_or_b32 v2, v1, 5, v0
	v_mov_b32_e32 v4, 0
	s_lshr_b32 s9, s16, 5
	s_mov_b32 s7, exec_lo
	v_lshrrev_b32_e32 v5, 2, v2
	v_cmpx_gt_u32_e64 s9, v5
	s_cbranch_execz .LBB62_11
; %bb.8:
	s_load_dwordx4 s[16:19], s[4:5], 0x0
	s_waitcnt lgkmcnt(0)
	s_mul_hi_u32 s3, s3, s8
	s_mul_i32 s21, s21, s6
	s_add_i32 s3, s8, s3
	s_mul_i32 s13, s13, s8
	s_lshr_b32 s3, s3, s11
	s_mul_i32 s0, s20, s0
	s_mul_i32 s3, s3, s12
	v_lshlrev_b32_e32 v3, 2, v0
	s_add_i32 s3, s3, s21
	s_mul_i32 s11, s22, s1
	s_add_i32 s1, s0, s3
	s_mul_i32 s3, s13, 36
	s_mul_hi_u32 s12, s13, 36
	v_lshrrev_b32_e32 v2, 2, v2
	s_mul_hi_u32 s0, s11, 36
	s_mul_i32 s11, s11, 36
	v_and_b32_e32 v7, 12, v3
	v_and_b32_e32 v6, 3, v0
	v_mov_b32_e32 v4, 0
	s_add_u32 s3, s18, s3
	s_addc_u32 s13, s19, s12
	s_add_u32 s12, s3, s11
	s_addc_u32 s13, s13, s0
	v_lshlrev_b32_e32 v6, 3, v6
	v_mad_u64_u32 v[2:3], null, v2, 36, s[12:13]
	v_lshlrev_b32_e32 v7, 1, v7
	s_mov_b32 s3, 0
	s_inst_prefetch 0x1
	.p2align	6
.LBB62_9:                               ; =>This Inner Loop Header: Depth=1
	v_add_nc_u32_e32 v10, s1, v5
	v_add_co_u32 v8, vcc_lo, v2, v6
	v_add_co_ci_u32_e64 v9, null, 0, v3, vcc_lo
	v_mad_i64_i32 v[10:11], null, v10, 34, s[16:17]
	v_add_nc_u32_e32 v5, 8, v5
	global_load_dwordx2 v[8:9], v[8:9], off offset:4
	v_add_co_u32 v12, vcc_lo, v10, v7
	v_add_co_ci_u32_e64 v13, null, 0, v11, vcc_lo
	v_cmp_le_u32_e32 vcc_lo, s9, v5
	global_load_dword v14, v[2:3], off
	s_clause 0x1
	global_load_dwordx2 v[12:13], v[12:13], off offset:2
	global_load_ushort v10, v[10:11], off
	v_mov_b32_e32 v11, 0
	v_add_co_u32 v2, s0, 0x120, v2
	v_add_co_ci_u32_e64 v3, null, 0, v3, s0
	s_or_b32 s3, vcc_lo, s3
	s_waitcnt vmcnt(2)
	v_cvt_f32_f16_e32 v14, v14
	s_waitcnt vmcnt(1)
	v_dot4c_i32_i8 v11, v12, v8
	s_waitcnt vmcnt(0)
	v_cvt_f32_f16_e32 v8, v10
	v_dot4c_i32_i8 v11, v13, v9
	v_mul_f32_e32 v8, v8, v14
	v_cvt_f32_i32_e32 v9, v11
	v_fmac_f32_e32 v4, v8, v9
	s_andn2_b32 exec_lo, exec_lo, s3
	s_cbranch_execnz .LBB62_9
; %bb.10:
	s_inst_prefetch 0x2
	s_or_b32 exec_lo, exec_lo, s3
.LBB62_11:
	s_or_b32 exec_lo, exec_lo, s7
	s_waitcnt lgkmcnt(0)
	; wave barrier
	buffer_gl0_inv
	s_mov_b32 s0, exec_lo
	v_cmpx_eq_u32_e32 0, v1
	s_cbranch_execz .LBB62_14
; %bb.12:
	v_mbcnt_lo_u32_b32 v1, -1, 0
	v_xor_b32_e32 v2, 16, v1
	v_xor_b32_e32 v3, 8, v1
	v_cmp_gt_i32_e32 vcc_lo, 32, v2
	v_cndmask_b32_e32 v2, v1, v2, vcc_lo
	v_cmp_gt_i32_e32 vcc_lo, 32, v3
	v_lshlrev_b32_e32 v2, 2, v2
	v_cndmask_b32_e32 v3, v1, v3, vcc_lo
	ds_bpermute_b32 v2, v2, v4
	v_lshlrev_b32_e32 v3, 2, v3
	s_waitcnt lgkmcnt(0)
	v_add_f32_e32 v2, v4, v2
	v_xor_b32_e32 v4, 4, v1
	ds_bpermute_b32 v3, v3, v2
	v_cmp_gt_i32_e32 vcc_lo, 32, v4
	v_cndmask_b32_e32 v4, v1, v4, vcc_lo
	v_lshlrev_b32_e32 v4, 2, v4
	s_waitcnt lgkmcnt(0)
	v_add_f32_e32 v2, v2, v3
	ds_bpermute_b32 v3, v4, v2
	v_xor_b32_e32 v4, 2, v1
	v_cmp_gt_i32_e32 vcc_lo, 32, v4
	v_cndmask_b32_e32 v4, v1, v4, vcc_lo
	v_lshlrev_b32_e32 v4, 2, v4
	s_waitcnt lgkmcnt(0)
	v_add_f32_e32 v2, v2, v3
	ds_bpermute_b32 v3, v4, v2
	v_xor_b32_e32 v4, 1, v1
	v_cmp_gt_i32_e32 vcc_lo, 32, v4
	v_cndmask_b32_e32 v1, v1, v4, vcc_lo
	v_cmp_eq_u32_e32 vcc_lo, 0, v0
	v_lshlrev_b32_e32 v4, 2, v1
	s_waitcnt lgkmcnt(0)
	v_add_f32_e32 v1, v2, v3
	ds_bpermute_b32 v2, v4, v1
	s_and_b32 exec_lo, exec_lo, vcc_lo
	s_cbranch_execz .LBB62_14
; %bb.13:
	s_load_dwordx2 s[0:1], s[4:5], 0x38
	s_mul_i32 s2, s2, s10
	s_mul_i32 s3, s14, s8
	s_add_i32 s2, s2, s6
	s_waitcnt lgkmcnt(0)
	v_add_f32_e32 v0, v1, v2
	s_add_i32 s2, s2, s3
	s_mov_b32 s3, 0
	v_mov_b32_e32 v1, 0
	s_lshl_b64 s[2:3], s[2:3], 2
	s_add_u32 s0, s0, s2
	s_addc_u32 s1, s1, s3
	global_store_dword v1, v0, s[0:1]
.LBB62_14:
	s_endpgm
	.section	.rodata,"a",@progbits
	.p2align	6, 0x0
	.amdhsa_kernel _ZL13mul_mat_vec_qIL9ggml_type8ELi1ELb0ELb1EEvPKvS2_PKi31ggml_cuda_mm_fusion_args_devicePfj15HIP_vector_typeIjLj3EEjjjS8_jjjS8_jjjj
		.amdhsa_group_segment_fixed_size 0
		.amdhsa_private_segment_fixed_size 0
		.amdhsa_kernarg_size 144
		.amdhsa_user_sgpr_count 6
		.amdhsa_user_sgpr_private_segment_buffer 1
		.amdhsa_user_sgpr_dispatch_ptr 0
		.amdhsa_user_sgpr_queue_ptr 0
		.amdhsa_user_sgpr_kernarg_segment_ptr 1
		.amdhsa_user_sgpr_dispatch_id 0
		.amdhsa_user_sgpr_flat_scratch_init 0
		.amdhsa_user_sgpr_private_segment_size 0
		.amdhsa_wavefront_size32 1
		.amdhsa_uses_dynamic_stack 0
		.amdhsa_system_sgpr_private_segment_wavefront_offset 0
		.amdhsa_system_sgpr_workgroup_id_x 1
		.amdhsa_system_sgpr_workgroup_id_y 1
		.amdhsa_system_sgpr_workgroup_id_z 1
		.amdhsa_system_sgpr_workgroup_info 0
		.amdhsa_system_vgpr_workitem_id 1
		.amdhsa_next_free_vgpr 15
		.amdhsa_next_free_sgpr 23
		.amdhsa_reserve_vcc 1
		.amdhsa_reserve_flat_scratch 0
		.amdhsa_float_round_mode_32 0
		.amdhsa_float_round_mode_16_64 0
		.amdhsa_float_denorm_mode_32 3
		.amdhsa_float_denorm_mode_16_64 3
		.amdhsa_dx10_clamp 1
		.amdhsa_ieee_mode 1
		.amdhsa_fp16_overflow 0
		.amdhsa_workgroup_processor_mode 1
		.amdhsa_memory_ordered 1
		.amdhsa_forward_progress 1
		.amdhsa_shared_vgpr_count 0
		.amdhsa_exception_fp_ieee_invalid_op 0
		.amdhsa_exception_fp_denorm_src 0
		.amdhsa_exception_fp_ieee_div_zero 0
		.amdhsa_exception_fp_ieee_overflow 0
		.amdhsa_exception_fp_ieee_underflow 0
		.amdhsa_exception_fp_ieee_inexact 0
		.amdhsa_exception_int_div_zero 0
	.end_amdhsa_kernel
	.section	.text._ZL13mul_mat_vec_qIL9ggml_type8ELi1ELb0ELb1EEvPKvS2_PKi31ggml_cuda_mm_fusion_args_devicePfj15HIP_vector_typeIjLj3EEjjjS8_jjjS8_jjjj,"axG",@progbits,_ZL13mul_mat_vec_qIL9ggml_type8ELi1ELb0ELb1EEvPKvS2_PKi31ggml_cuda_mm_fusion_args_devicePfj15HIP_vector_typeIjLj3EEjjjS8_jjjS8_jjjj,comdat
.Lfunc_end62:
	.size	_ZL13mul_mat_vec_qIL9ggml_type8ELi1ELb0ELb1EEvPKvS2_PKi31ggml_cuda_mm_fusion_args_devicePfj15HIP_vector_typeIjLj3EEjjjS8_jjjS8_jjjj, .Lfunc_end62-_ZL13mul_mat_vec_qIL9ggml_type8ELi1ELb0ELb1EEvPKvS2_PKi31ggml_cuda_mm_fusion_args_devicePfj15HIP_vector_typeIjLj3EEjjjS8_jjjS8_jjjj
                                        ; -- End function
	.set _ZL13mul_mat_vec_qIL9ggml_type8ELi1ELb0ELb1EEvPKvS2_PKi31ggml_cuda_mm_fusion_args_devicePfj15HIP_vector_typeIjLj3EEjjjS8_jjjS8_jjjj.num_vgpr, 15
	.set _ZL13mul_mat_vec_qIL9ggml_type8ELi1ELb0ELb1EEvPKvS2_PKi31ggml_cuda_mm_fusion_args_devicePfj15HIP_vector_typeIjLj3EEjjjS8_jjjS8_jjjj.num_agpr, 0
	.set _ZL13mul_mat_vec_qIL9ggml_type8ELi1ELb0ELb1EEvPKvS2_PKi31ggml_cuda_mm_fusion_args_devicePfj15HIP_vector_typeIjLj3EEjjjS8_jjjS8_jjjj.numbered_sgpr, 23
	.set _ZL13mul_mat_vec_qIL9ggml_type8ELi1ELb0ELb1EEvPKvS2_PKi31ggml_cuda_mm_fusion_args_devicePfj15HIP_vector_typeIjLj3EEjjjS8_jjjS8_jjjj.num_named_barrier, 0
	.set _ZL13mul_mat_vec_qIL9ggml_type8ELi1ELb0ELb1EEvPKvS2_PKi31ggml_cuda_mm_fusion_args_devicePfj15HIP_vector_typeIjLj3EEjjjS8_jjjS8_jjjj.private_seg_size, 0
	.set _ZL13mul_mat_vec_qIL9ggml_type8ELi1ELb0ELb1EEvPKvS2_PKi31ggml_cuda_mm_fusion_args_devicePfj15HIP_vector_typeIjLj3EEjjjS8_jjjS8_jjjj.uses_vcc, 1
	.set _ZL13mul_mat_vec_qIL9ggml_type8ELi1ELb0ELb1EEvPKvS2_PKi31ggml_cuda_mm_fusion_args_devicePfj15HIP_vector_typeIjLj3EEjjjS8_jjjS8_jjjj.uses_flat_scratch, 0
	.set _ZL13mul_mat_vec_qIL9ggml_type8ELi1ELb0ELb1EEvPKvS2_PKi31ggml_cuda_mm_fusion_args_devicePfj15HIP_vector_typeIjLj3EEjjjS8_jjjS8_jjjj.has_dyn_sized_stack, 0
	.set _ZL13mul_mat_vec_qIL9ggml_type8ELi1ELb0ELb1EEvPKvS2_PKi31ggml_cuda_mm_fusion_args_devicePfj15HIP_vector_typeIjLj3EEjjjS8_jjjS8_jjjj.has_recursion, 0
	.set _ZL13mul_mat_vec_qIL9ggml_type8ELi1ELb0ELb1EEvPKvS2_PKi31ggml_cuda_mm_fusion_args_devicePfj15HIP_vector_typeIjLj3EEjjjS8_jjjS8_jjjj.has_indirect_call, 0
	.section	.AMDGPU.csdata,"",@progbits
; Kernel info:
; codeLenInByte = 820
; TotalNumSgprs: 25
; NumVgprs: 15
; ScratchSize: 0
; MemoryBound: 0
; FloatMode: 240
; IeeeMode: 1
; LDSByteSize: 0 bytes/workgroup (compile time only)
; SGPRBlocks: 0
; VGPRBlocks: 1
; NumSGPRsForWavesPerEU: 25
; NumVGPRsForWavesPerEU: 15
; Occupancy: 16
; WaveLimiterHint : 0
; COMPUTE_PGM_RSRC2:SCRATCH_EN: 0
; COMPUTE_PGM_RSRC2:USER_SGPR: 6
; COMPUTE_PGM_RSRC2:TRAP_HANDLER: 0
; COMPUTE_PGM_RSRC2:TGID_X_EN: 1
; COMPUTE_PGM_RSRC2:TGID_Y_EN: 1
; COMPUTE_PGM_RSRC2:TGID_Z_EN: 1
; COMPUTE_PGM_RSRC2:TIDIG_COMP_CNT: 1
	.section	.text._ZL13mul_mat_vec_qIL9ggml_type8ELi1ELb1ELb0EEvPKvS2_PKi31ggml_cuda_mm_fusion_args_devicePfj15HIP_vector_typeIjLj3EEjjjS8_jjjS8_jjjj,"axG",@progbits,_ZL13mul_mat_vec_qIL9ggml_type8ELi1ELb1ELb0EEvPKvS2_PKi31ggml_cuda_mm_fusion_args_devicePfj15HIP_vector_typeIjLj3EEjjjS8_jjjS8_jjjj,comdat
	.globl	_ZL13mul_mat_vec_qIL9ggml_type8ELi1ELb1ELb0EEvPKvS2_PKi31ggml_cuda_mm_fusion_args_devicePfj15HIP_vector_typeIjLj3EEjjjS8_jjjS8_jjjj ; -- Begin function _ZL13mul_mat_vec_qIL9ggml_type8ELi1ELb1ELb0EEvPKvS2_PKi31ggml_cuda_mm_fusion_args_devicePfj15HIP_vector_typeIjLj3EEjjjS8_jjjS8_jjjj
	.p2align	8
	.type	_ZL13mul_mat_vec_qIL9ggml_type8ELi1ELb1ELb0EEvPKvS2_PKi31ggml_cuda_mm_fusion_args_devicePfj15HIP_vector_typeIjLj3EEjjjS8_jjjS8_jjjj,@function
_ZL13mul_mat_vec_qIL9ggml_type8ELi1ELb1ELb0EEvPKvS2_PKi31ggml_cuda_mm_fusion_args_devicePfj15HIP_vector_typeIjLj3EEjjjS8_jjjS8_jjjj: ; @_ZL13mul_mat_vec_qIL9ggml_type8ELi1ELb1ELb0EEvPKvS2_PKi31ggml_cuda_mm_fusion_args_devicePfj15HIP_vector_typeIjLj3EEjjjS8_jjjS8_jjjj
; %bb.0:
	s_clause 0x3
	s_load_dwordx8 s[12:19], s[4:5], 0x0
	s_load_dwordx4 s[28:31], s[4:5], 0x20
	s_load_dwordx4 s[36:39], s[4:5], 0x40
	;; [unrolled: 1-line block ×3, first 2 shown]
	s_mov_b32 s10, s7
	s_waitcnt lgkmcnt(0)
	s_cmp_lg_u64 s[16:17], 0
	s_cselect_b32 s0, -1, 0
	s_cmp_eq_u64 s[16:17], 0
	s_cbranch_scc1 .LBB63_5
; %bb.1:
	s_mov_b32 s11, 0
	s_lshl_b64 s[2:3], s[10:11], 2
	s_add_u32 s2, s16, s2
	s_addc_u32 s3, s17, s3
	s_load_dword s33, s[2:3], 0x0
	s_clause 0x1
	s_load_dword s34, s[4:5], 0x50
	s_load_dword s35, s[4:5], 0x78
	s_cbranch_execnz .LBB63_3
.LBB63_2:
	s_load_dwordx2 s[2:3], s[4:5], 0x5c
	s_waitcnt lgkmcnt(0)
	s_mul_hi_u32 s1, s2, s10
	s_add_i32 s1, s10, s1
	s_lshr_b32 s33, s1, s3
.LBB63_3:
	s_andn2_b32 vcc_lo, exec_lo, s0
	s_cbranch_vccnz .LBB63_6
; %bb.4:
	s_mul_hi_u32 s0, s37, s10
	s_waitcnt lgkmcnt(0)
	s_mov_b32 s1, s33
	s_add_i32 s0, s10, s0
	s_lshr_b32 s0, s0, s38
	s_mul_i32 s0, s0, s39
	s_sub_i32 s11, s10, s0
	s_branch .LBB63_7
.LBB63_5:
                                        ; implicit-def: $sgpr33
	s_clause 0x1
	s_load_dword s34, s[4:5], 0x50
	s_load_dword s35, s[4:5], 0x78
	s_branch .LBB63_2
.LBB63_6:
	s_mov_b32 s1, s10
	s_mov_b32 s11, s10
.LBB63_7:
	s_load_dwordx4 s[24:27], s[4:5], 0x80
	v_or_b32_e32 v2, v0, v1
	s_cmp_lg_u64 s[18:19], 0
	v_mov_b32_e32 v8, 0
	v_mov_b32_e32 v9, 0
	s_cselect_b32 s0, -1, 0
	v_cmp_eq_u32_e32 vcc_lo, 0, v2
	s_mov_b32 s17, 0
	s_mul_i32 s2, s1, s22
	s_and_b32 s3, s0, vcc_lo
	s_and_saveexec_b32 s1, s3
	s_cbranch_execz .LBB63_9
; %bb.8:
	s_waitcnt lgkmcnt(0)
	s_mul_i32 s16, s26, s8
	s_mov_b32 s3, s17
	s_lshl_b64 s[38:39], s[16:17], 2
	v_lshlrev_b32_e32 v2, 2, v0
	s_add_u32 s7, s18, s38
	s_addc_u32 s9, s19, s39
	s_lshl_b64 s[16:17], s[2:3], 2
	s_add_u32 s3, s7, s16
	s_addc_u32 s9, s9, s17
	s_ashr_i32 s7, s6, 31
	s_lshl_b64 s[16:17], s[6:7], 2
	s_add_u32 s16, s3, s16
	s_addc_u32 s17, s9, s17
	global_load_dword v9, v2, s[16:17]
.LBB63_9:
	s_or_b32 exec_lo, exec_lo, s1
	s_cmp_lg_u64 s[28:29], 0
	s_cselect_b32 s9, -1, 0
	s_cmp_lg_u64 s[30:31], 0
	s_cselect_b32 s1, -1, 0
	s_and_b32 s3, s1, s9
	s_and_b32 s3, s3, vcc_lo
	s_and_saveexec_b32 s16, s3
	s_cbranch_execz .LBB63_11
; %bb.10:
	s_waitcnt lgkmcnt(0)
	s_mul_i32 s18, s26, s8
	s_mov_b32 s19, 0
	v_lshlrev_b32_e32 v2, 2, v0
	s_lshl_b64 s[38:39], s[18:19], 2
	s_mov_b32 s3, s19
	s_add_u32 s7, s30, s38
	s_addc_u32 s17, s31, s39
	s_lshl_b64 s[2:3], s[2:3], 2
	s_add_u32 s18, s7, s2
	s_addc_u32 s17, s17, s3
	s_ashr_i32 s7, s6, 31
	s_lshl_b64 s[2:3], s[6:7], 2
	s_add_u32 s2, s18, s2
	s_addc_u32 s3, s17, s3
	global_load_dword v8, v2, s[2:3]
.LBB63_11:
	s_or_b32 exec_lo, exec_lo, s16
	v_lshl_or_b32 v2, v1, 5, v0
	v_mov_b32_e32 v12, 0
	v_cndmask_b32_e64 v10, 0, 1, s9
	v_mov_b32_e32 v11, 0
	s_lshr_b32 s3, s36, 5
	v_lshrrev_b32_e32 v13, 2, v2
	s_mov_b32 s7, exec_lo
	v_cmpx_gt_u32_e64 s3, v13
	s_cbranch_execz .LBB63_17
; %bb.12:
	s_mul_hi_u32 s2, s23, s8
	s_waitcnt lgkmcnt(0)
	s_mul_i32 s34, s34, s6
	s_add_i32 s2, s8, s2
	s_mul_i32 s16, s25, s8
	s_lshr_b32 s2, s2, s35
	s_mul_i32 s17, s33, s20
	s_mul_i32 s2, s2, s24
	v_lshlrev_b32_e32 v3, 2, v0
	s_add_i32 s2, s2, s34
	s_mul_i32 s18, s11, s21
	s_add_i32 s11, s17, s2
	s_mul_i32 s17, s16, 36
	s_mul_hi_u32 s16, s16, 36
	v_lshrrev_b32_e32 v2, 2, v2
	s_mul_hi_u32 s2, s18, 36
	s_mul_i32 s18, s18, 36
	s_add_u32 s14, s14, s17
	s_addc_u32 s15, s15, s16
	s_add_u32 s14, s14, s18
	v_and_b32_e32 v4, 12, v3
	v_and_b32_e32 v5, 3, v0
	s_addc_u32 s15, s15, s2
	v_mov_b32_e32 v12, 0
	v_mad_u64_u32 v[2:3], null, v2, 36, s[14:15]
	v_lshlrev_b32_e32 v14, 3, v5
	v_lshlrev_b32_e32 v15, 1, v4
	v_mov_b32_e32 v11, 0
	s_mov_b32 s14, 0
	s_branch .LBB63_14
.LBB63_13:                              ;   in Loop: Header=BB63_14 Depth=1
	v_mov_b32_e32 v18, 0
	v_add_nc_u32_e32 v13, 8, v13
	v_add_co_u32 v2, s2, 0x120, v2
	v_add_co_ci_u32_e64 v3, null, 0, v3, s2
	s_waitcnt vmcnt(1)
	v_dot4c_i32_i8 v18, v6, v4
	s_waitcnt vmcnt(0)
	v_cvt_f32_f16_e32 v4, v17
	v_cmp_le_u32_e32 vcc_lo, s3, v13
	v_dot4c_i32_i8 v18, v7, v5
	v_mul_f32_e32 v4, v4, v16
	s_or_b32 s14, vcc_lo, s14
	v_cvt_f32_i32_e32 v5, v18
	v_fmac_f32_e32 v12, v4, v5
	s_andn2_b32 exec_lo, exec_lo, s14
	s_cbranch_execz .LBB63_16
.LBB63_14:                              ; =>This Inner Loop Header: Depth=1
	v_add_nc_u32_e32 v18, s11, v13
	v_add_co_u32 v4, vcc_lo, v2, v14
	v_add_co_ci_u32_e64 v5, null, 0, v3, vcc_lo
	v_mad_i64_i32 v[16:17], null, v18, 34, s[12:13]
	v_add_co_u32 v6, vcc_lo, v16, v15
	v_add_co_ci_u32_e64 v7, null, 0, v17, vcc_lo
	s_andn2_b32 vcc_lo, exec_lo, s9
	s_clause 0x1
	global_load_dword v19, v[2:3], off
	global_load_dwordx2 v[4:5], v[4:5], off offset:4
	s_clause 0x1
	global_load_dwordx2 v[6:7], v[6:7], off offset:2
	global_load_ushort v17, v[16:17], off
	s_waitcnt vmcnt(3)
	v_cvt_f32_f16_e32 v16, v19
	s_cbranch_vccnz .LBB63_13
; %bb.15:                               ;   in Loop: Header=BB63_14 Depth=1
	v_mad_i64_i32 v[18:19], null, v18, 34, s[28:29]
	v_add_co_u32 v20, vcc_lo, v18, v15
	v_add_co_ci_u32_e64 v21, null, 0, v19, vcc_lo
	s_clause 0x1
	global_load_dwordx2 v[20:21], v[20:21], off offset:2
	global_load_ushort v18, v[18:19], off
	v_mov_b32_e32 v19, 0
	s_waitcnt vmcnt(1)
	v_dot4c_i32_i8 v19, v20, v4
	s_waitcnt vmcnt(0)
	v_cvt_f32_f16_e32 v18, v18
	v_dot4c_i32_i8 v19, v21, v5
	v_mul_f32_e32 v18, v16, v18
	v_cvt_f32_i32_e32 v19, v19
	v_fmac_f32_e32 v11, v18, v19
	s_branch .LBB63_13
.LBB63_16:
	s_or_b32 exec_lo, exec_lo, s14
.LBB63_17:
	s_or_b32 exec_lo, exec_lo, s7
	s_load_dword s2, s[4:5], 0x30
	s_waitcnt vmcnt(0) lgkmcnt(0)
	; wave barrier
	buffer_gl0_inv
	s_mov_b32 s3, exec_lo
	v_cmpx_eq_u32_e32 0, v1
	s_cbranch_execz .LBB63_44
; %bb.18:
	v_mbcnt_lo_u32_b32 v2, -1, 0
	v_xor_b32_e32 v1, 16, v2
	v_xor_b32_e32 v4, 8, v2
	;; [unrolled: 1-line block ×3, first 2 shown]
	v_cmp_gt_i32_e32 vcc_lo, 32, v1
	v_cndmask_b32_e32 v1, v2, v1, vcc_lo
	v_cmp_gt_i32_e32 vcc_lo, 32, v4
	v_lshlrev_b32_e32 v1, 2, v1
	v_cndmask_b32_e32 v4, v2, v4, vcc_lo
	v_cmp_gt_i32_e32 vcc_lo, 32, v5
	ds_bpermute_b32 v3, v1, v12
	v_lshlrev_b32_e32 v4, 2, v4
	v_cndmask_b32_e32 v5, v2, v5, vcc_lo
	v_lshlrev_b32_e32 v5, 2, v5
	s_waitcnt lgkmcnt(0)
	v_add_f32_e32 v3, v12, v3
	ds_bpermute_b32 v6, v4, v3
	s_waitcnt lgkmcnt(0)
	v_add_f32_e32 v3, v3, v6
	v_xor_b32_e32 v6, 2, v2
	ds_bpermute_b32 v7, v5, v3
	v_cmp_gt_i32_e32 vcc_lo, 32, v6
	v_cndmask_b32_e32 v6, v2, v6, vcc_lo
	v_lshlrev_b32_e32 v6, 2, v6
	s_waitcnt lgkmcnt(0)
	v_add_f32_e32 v3, v3, v7
	v_xor_b32_e32 v7, 1, v2
	ds_bpermute_b32 v12, v6, v3
	v_cmp_gt_i32_e32 vcc_lo, 32, v7
	v_cndmask_b32_e32 v2, v2, v7, vcc_lo
	v_cmp_ne_u32_e32 vcc_lo, 1, v10
	v_lshlrev_b32_e32 v7, 2, v2
	s_waitcnt lgkmcnt(0)
	v_add_f32_e32 v2, v3, v12
	ds_bpermute_b32 v3, v7, v2
	s_cbranch_vccnz .LBB63_20
; %bb.19:
	ds_bpermute_b32 v1, v1, v11
	s_waitcnt lgkmcnt(0)
	v_add_f32_e32 v1, v11, v1
	ds_bpermute_b32 v4, v4, v1
	s_waitcnt lgkmcnt(0)
	v_add_f32_e32 v1, v1, v4
	;; [unrolled: 3-line block ×5, first 2 shown]
.LBB63_20:
	v_cmp_eq_u32_e32 vcc_lo, 0, v0
	s_and_b32 exec_lo, exec_lo, vcc_lo
	s_cbranch_execz .LBB63_44
; %bb.21:
	s_waitcnt lgkmcnt(0)
	v_add_f32_e32 v1, v2, v3
	v_cmp_ne_u32_e32 vcc_lo, 1, v10
	v_add_f32_e32 v2, v9, v1
	v_cndmask_b32_e64 v1, v1, v2, s0
	s_cbranch_vccnz .LBB63_43
; %bb.22:
	v_add_f32_e32 v2, v8, v11
	s_cmp_lt_i32 s2, 2
	s_mov_b32 s0, 0
	v_cndmask_b32_e64 v2, v11, v2, s1
	s_cbranch_scc1 .LBB63_26
; %bb.23:
	s_cmp_gt_i32 s2, 2
	s_cbranch_scc0 .LBB63_27
; %bb.24:
	s_cmp_eq_u32 s2, 3
	s_cbranch_scc0 .LBB63_28
; %bb.25:
	v_max_f32_e32 v3, v2, v2
	s_mov_b32 s1, 0
	v_min_f32_e32 v3, 0x40e00000, v3
	v_mul_f32_e32 v4, 0xbfd9db23, v3
	v_mul_f32_e32 v5, 0x3fb8aa3b, v4
	v_cmp_ngt_f32_e32 vcc_lo, 0xc2ce8ed0, v4
	v_fma_f32 v6, 0x3fb8aa3b, v4, -v5
	v_rndne_f32_e32 v7, v5
	v_fmamk_f32 v6, v4, 0x32a5705f, v6
	v_sub_f32_e32 v5, v5, v7
	v_add_f32_e32 v5, v5, v6
	v_cvt_i32_f32_e32 v6, v7
	v_exp_f32_e32 v5, v5
	v_ldexp_f32 v5, v5, v6
	v_cndmask_b32_e32 v5, 0, v5, vcc_lo
	v_cmp_nlt_f32_e32 vcc_lo, 0x42b17218, v4
	v_cndmask_b32_e32 v4, 0x7f800000, v5, vcc_lo
	v_add_f32_e32 v4, 1.0, v4
	v_div_scale_f32 v5, null, v4, v4, v3
	v_div_scale_f32 v8, vcc_lo, v3, v4, v3
	v_rcp_f32_e32 v6, v5
	v_fma_f32 v7, -v5, v6, 1.0
	v_fmac_f32_e32 v6, v7, v6
	v_mul_f32_e32 v7, v8, v6
	v_fma_f32 v9, -v5, v7, v8
	v_fmac_f32_e32 v7, v9, v6
	v_max_f32_e32 v9, v1, v1
	v_fma_f32 v5, -v5, v7, v8
	v_min_f32_e32 v8, 0x40e00000, v9
	v_div_fmas_f32 v5, v5, v6, v7
	v_max_f32_e32 v6, 0xc0e00000, v8
	v_div_fixup_f32 v3, v5, v4, v3
	v_add_f32_e32 v4, 1.0, v6
	v_mul_f32_e32 v3, v4, v3
	s_branch .LBB63_29
.LBB63_26:
	s_mov_b32 s1, 0
                                        ; implicit-def: $vgpr3
	s_cbranch_execnz .LBB63_33
	s_branch .LBB63_34
.LBB63_27:
	s_mov_b32 s3, -1
	s_mov_b32 s1, 0
                                        ; implicit-def: $vgpr3
	s_branch .LBB63_30
.LBB63_28:
	s_mov_b32 s1, -1
                                        ; implicit-def: $vgpr3
.LBB63_29:
	s_mov_b32 s3, 0
.LBB63_30:
	s_and_b32 vcc_lo, exec_lo, s3
	s_cbranch_vccz .LBB63_32
; %bb.31:
	v_mul_f32_e32 v3, 0xbfb8aa3b, v2
	v_cmp_nlt_f32_e32 vcc_lo, 0x42ce8ed0, v2
	v_rndne_f32_e32 v4, v3
	v_fma_f32 v5, 0xbfb8aa3b, v2, -v3
	v_sub_f32_e32 v3, v3, v4
	v_fmamk_f32 v5, v2, 0xb2a5705f, v5
	v_cvt_i32_f32_e32 v4, v4
	v_add_f32_e32 v3, v3, v5
	v_exp_f32_e32 v3, v3
	v_ldexp_f32 v3, v3, v4
	v_cndmask_b32_e32 v3, 0, v3, vcc_lo
	v_cmp_ngt_f32_e32 vcc_lo, 0xc2b17218, v2
	v_cndmask_b32_e32 v3, 0x7f800000, v3, vcc_lo
	v_add_f32_e32 v3, 1.0, v3
	v_div_scale_f32 v4, null, v3, v3, v2
	v_rcp_f32_e32 v5, v4
	v_fma_f32 v6, -v4, v5, 1.0
	v_fmac_f32_e32 v5, v6, v5
	v_div_scale_f32 v6, vcc_lo, v2, v3, v2
	v_mul_f32_e32 v7, v6, v5
	v_fma_f32 v8, -v4, v7, v6
	v_fmac_f32_e32 v7, v8, v5
	v_fma_f32 v4, -v4, v7, v6
	v_div_fmas_f32 v4, v4, v5, v7
	v_div_fixup_f32 v3, v4, v3, v2
	v_mul_f32_e32 v3, v1, v3
.LBB63_32:
	s_branch .LBB63_34
.LBB63_33:
	s_cmp_lg_u32 s2, 1
	s_mov_b32 s0, -1
	s_cselect_b32 s1, -1, 0
.LBB63_34:
	s_andn2_b32 vcc_lo, exec_lo, s1
	s_cbranch_vccz .LBB63_36
; %bb.35:
	s_andn2_b32 vcc_lo, exec_lo, s0
	s_cbranch_vccz .LBB63_37
	s_branch .LBB63_42
.LBB63_36:
	v_mul_f32_e32 v3, v2, v1
	s_cbranch_execnz .LBB63_42
.LBB63_37:
	v_mul_f32_e32 v3, 0x3d372713, v2
	v_mul_f32_e32 v4, 0x3f4c422a, v2
	v_fma_f32 v3, v2, v3, 1.0
	v_mul_f32_e32 v3, v4, v3
                                        ; implicit-def: $vgpr4
	v_cmp_ngt_f32_e64 s0, 0x3f200000, |v3|
	s_and_saveexec_b32 s1, s0
	s_xor_b32 s0, exec_lo, s1
	s_cbranch_execz .LBB63_39
; %bb.38:
	v_add_f32_e64 v4, |v3|, |v3|
	v_mul_f32_e32 v5, 0x3fb8aa3b, v4
	v_cmp_ngt_f32_e32 vcc_lo, 0xc2ce8ed0, v4
	v_rndne_f32_e32 v6, v5
	v_fma_f32 v7, 0x3fb8aa3b, v4, -v5
	v_sub_f32_e32 v5, v5, v6
	v_fmamk_f32 v7, v4, 0x32a5705f, v7
	v_cvt_i32_f32_e32 v6, v6
	v_add_f32_e32 v5, v5, v7
	v_exp_f32_e32 v5, v5
	v_ldexp_f32 v5, v5, v6
	v_cndmask_b32_e32 v5, 0, v5, vcc_lo
	v_cmp_nlt_f32_e32 vcc_lo, 0x42b17218, v4
	v_cndmask_b32_e32 v4, 0x7f800000, v5, vcc_lo
	v_add_f32_e32 v4, 1.0, v4
	v_rcp_f32_e32 v4, v4
	v_fma_f32 v4, v4, -2.0, 1.0
.LBB63_39:
	s_andn2_saveexec_b32 s0, s0
	s_cbranch_execz .LBB63_41
; %bb.40:
	v_mul_f32_e32 v4, v3, v3
	s_mov_b32 s1, 0xbbbac73d
	v_fmaak_f32 v5, s1, v4, 0x3ca908c9
	v_fmaak_f32 v5, v4, v5, 0xbd5c1c4e
	;; [unrolled: 1-line block ×4, first 2 shown]
	v_mul_f32_e64 v5, |v3|, v5
	v_fma_f32 v4, v4, v5, |v3|
.LBB63_41:
	s_or_b32 exec_lo, exec_lo, s0
	v_bfi_b32 v3, 0x7fffffff, v4, v3
	v_mul_f32_e32 v2, 0.5, v2
	v_add_f32_e32 v3, 1.0, v3
	v_mul_f32_e32 v2, v2, v3
	v_mul_f32_e32 v3, v1, v2
.LBB63_42:
	v_mov_b32_e32 v1, v3
.LBB63_43:
	s_load_dwordx2 s[0:1], s[4:5], 0x38
	s_mul_i32 s2, s22, s10
	s_mul_i32 s3, s26, s8
	s_add_i32 s2, s2, s6
	v_lshlrev_b32_e32 v0, 2, v0
	s_add_i32 s2, s2, s3
	s_mov_b32 s3, 0
	s_lshl_b64 s[2:3], s[2:3], 2
	s_waitcnt lgkmcnt(0)
	s_add_u32 s0, s0, s2
	s_addc_u32 s1, s1, s3
	global_store_dword v0, v1, s[0:1]
.LBB63_44:
	s_endpgm
	.section	.rodata,"a",@progbits
	.p2align	6, 0x0
	.amdhsa_kernel _ZL13mul_mat_vec_qIL9ggml_type8ELi1ELb1ELb0EEvPKvS2_PKi31ggml_cuda_mm_fusion_args_devicePfj15HIP_vector_typeIjLj3EEjjjS8_jjjS8_jjjj
		.amdhsa_group_segment_fixed_size 0
		.amdhsa_private_segment_fixed_size 0
		.amdhsa_kernarg_size 144
		.amdhsa_user_sgpr_count 6
		.amdhsa_user_sgpr_private_segment_buffer 1
		.amdhsa_user_sgpr_dispatch_ptr 0
		.amdhsa_user_sgpr_queue_ptr 0
		.amdhsa_user_sgpr_kernarg_segment_ptr 1
		.amdhsa_user_sgpr_dispatch_id 0
		.amdhsa_user_sgpr_flat_scratch_init 0
		.amdhsa_user_sgpr_private_segment_size 0
		.amdhsa_wavefront_size32 1
		.amdhsa_uses_dynamic_stack 0
		.amdhsa_system_sgpr_private_segment_wavefront_offset 0
		.amdhsa_system_sgpr_workgroup_id_x 1
		.amdhsa_system_sgpr_workgroup_id_y 1
		.amdhsa_system_sgpr_workgroup_id_z 1
		.amdhsa_system_sgpr_workgroup_info 0
		.amdhsa_system_vgpr_workitem_id 1
		.amdhsa_next_free_vgpr 22
		.amdhsa_next_free_sgpr 40
		.amdhsa_reserve_vcc 1
		.amdhsa_reserve_flat_scratch 0
		.amdhsa_float_round_mode_32 0
		.amdhsa_float_round_mode_16_64 0
		.amdhsa_float_denorm_mode_32 3
		.amdhsa_float_denorm_mode_16_64 3
		.amdhsa_dx10_clamp 1
		.amdhsa_ieee_mode 1
		.amdhsa_fp16_overflow 0
		.amdhsa_workgroup_processor_mode 1
		.amdhsa_memory_ordered 1
		.amdhsa_forward_progress 1
		.amdhsa_shared_vgpr_count 0
		.amdhsa_exception_fp_ieee_invalid_op 0
		.amdhsa_exception_fp_denorm_src 0
		.amdhsa_exception_fp_ieee_div_zero 0
		.amdhsa_exception_fp_ieee_overflow 0
		.amdhsa_exception_fp_ieee_underflow 0
		.amdhsa_exception_fp_ieee_inexact 0
		.amdhsa_exception_int_div_zero 0
	.end_amdhsa_kernel
	.section	.text._ZL13mul_mat_vec_qIL9ggml_type8ELi1ELb1ELb0EEvPKvS2_PKi31ggml_cuda_mm_fusion_args_devicePfj15HIP_vector_typeIjLj3EEjjjS8_jjjS8_jjjj,"axG",@progbits,_ZL13mul_mat_vec_qIL9ggml_type8ELi1ELb1ELb0EEvPKvS2_PKi31ggml_cuda_mm_fusion_args_devicePfj15HIP_vector_typeIjLj3EEjjjS8_jjjS8_jjjj,comdat
.Lfunc_end63:
	.size	_ZL13mul_mat_vec_qIL9ggml_type8ELi1ELb1ELb0EEvPKvS2_PKi31ggml_cuda_mm_fusion_args_devicePfj15HIP_vector_typeIjLj3EEjjjS8_jjjS8_jjjj, .Lfunc_end63-_ZL13mul_mat_vec_qIL9ggml_type8ELi1ELb1ELb0EEvPKvS2_PKi31ggml_cuda_mm_fusion_args_devicePfj15HIP_vector_typeIjLj3EEjjjS8_jjjS8_jjjj
                                        ; -- End function
	.set _ZL13mul_mat_vec_qIL9ggml_type8ELi1ELb1ELb0EEvPKvS2_PKi31ggml_cuda_mm_fusion_args_devicePfj15HIP_vector_typeIjLj3EEjjjS8_jjjS8_jjjj.num_vgpr, 22
	.set _ZL13mul_mat_vec_qIL9ggml_type8ELi1ELb1ELb0EEvPKvS2_PKi31ggml_cuda_mm_fusion_args_devicePfj15HIP_vector_typeIjLj3EEjjjS8_jjjS8_jjjj.num_agpr, 0
	.set _ZL13mul_mat_vec_qIL9ggml_type8ELi1ELb1ELb0EEvPKvS2_PKi31ggml_cuda_mm_fusion_args_devicePfj15HIP_vector_typeIjLj3EEjjjS8_jjjS8_jjjj.numbered_sgpr, 40
	.set _ZL13mul_mat_vec_qIL9ggml_type8ELi1ELb1ELb0EEvPKvS2_PKi31ggml_cuda_mm_fusion_args_devicePfj15HIP_vector_typeIjLj3EEjjjS8_jjjS8_jjjj.num_named_barrier, 0
	.set _ZL13mul_mat_vec_qIL9ggml_type8ELi1ELb1ELb0EEvPKvS2_PKi31ggml_cuda_mm_fusion_args_devicePfj15HIP_vector_typeIjLj3EEjjjS8_jjjS8_jjjj.private_seg_size, 0
	.set _ZL13mul_mat_vec_qIL9ggml_type8ELi1ELb1ELb0EEvPKvS2_PKi31ggml_cuda_mm_fusion_args_devicePfj15HIP_vector_typeIjLj3EEjjjS8_jjjS8_jjjj.uses_vcc, 1
	.set _ZL13mul_mat_vec_qIL9ggml_type8ELi1ELb1ELb0EEvPKvS2_PKi31ggml_cuda_mm_fusion_args_devicePfj15HIP_vector_typeIjLj3EEjjjS8_jjjS8_jjjj.uses_flat_scratch, 0
	.set _ZL13mul_mat_vec_qIL9ggml_type8ELi1ELb1ELb0EEvPKvS2_PKi31ggml_cuda_mm_fusion_args_devicePfj15HIP_vector_typeIjLj3EEjjjS8_jjjS8_jjjj.has_dyn_sized_stack, 0
	.set _ZL13mul_mat_vec_qIL9ggml_type8ELi1ELb1ELb0EEvPKvS2_PKi31ggml_cuda_mm_fusion_args_devicePfj15HIP_vector_typeIjLj3EEjjjS8_jjjS8_jjjj.has_recursion, 0
	.set _ZL13mul_mat_vec_qIL9ggml_type8ELi1ELb1ELb0EEvPKvS2_PKi31ggml_cuda_mm_fusion_args_devicePfj15HIP_vector_typeIjLj3EEjjjS8_jjjS8_jjjj.has_indirect_call, 0
	.section	.AMDGPU.csdata,"",@progbits
; Kernel info:
; codeLenInByte = 2016
; TotalNumSgprs: 42
; NumVgprs: 22
; ScratchSize: 0
; MemoryBound: 0
; FloatMode: 240
; IeeeMode: 1
; LDSByteSize: 0 bytes/workgroup (compile time only)
; SGPRBlocks: 0
; VGPRBlocks: 2
; NumSGPRsForWavesPerEU: 42
; NumVGPRsForWavesPerEU: 22
; Occupancy: 16
; WaveLimiterHint : 0
; COMPUTE_PGM_RSRC2:SCRATCH_EN: 0
; COMPUTE_PGM_RSRC2:USER_SGPR: 6
; COMPUTE_PGM_RSRC2:TRAP_HANDLER: 0
; COMPUTE_PGM_RSRC2:TGID_X_EN: 1
; COMPUTE_PGM_RSRC2:TGID_Y_EN: 1
; COMPUTE_PGM_RSRC2:TGID_Z_EN: 1
; COMPUTE_PGM_RSRC2:TIDIG_COMP_CNT: 1
	.section	.text._ZL13mul_mat_vec_qIL9ggml_type8ELi1ELb0ELb0EEvPKvS2_PKi31ggml_cuda_mm_fusion_args_devicePfj15HIP_vector_typeIjLj3EEjjjS8_jjjS8_jjjj,"axG",@progbits,_ZL13mul_mat_vec_qIL9ggml_type8ELi1ELb0ELb0EEvPKvS2_PKi31ggml_cuda_mm_fusion_args_devicePfj15HIP_vector_typeIjLj3EEjjjS8_jjjS8_jjjj,comdat
	.globl	_ZL13mul_mat_vec_qIL9ggml_type8ELi1ELb0ELb0EEvPKvS2_PKi31ggml_cuda_mm_fusion_args_devicePfj15HIP_vector_typeIjLj3EEjjjS8_jjjS8_jjjj ; -- Begin function _ZL13mul_mat_vec_qIL9ggml_type8ELi1ELb0ELb0EEvPKvS2_PKi31ggml_cuda_mm_fusion_args_devicePfj15HIP_vector_typeIjLj3EEjjjS8_jjjS8_jjjj
	.p2align	8
	.type	_ZL13mul_mat_vec_qIL9ggml_type8ELi1ELb0ELb0EEvPKvS2_PKi31ggml_cuda_mm_fusion_args_devicePfj15HIP_vector_typeIjLj3EEjjjS8_jjjS8_jjjj,@function
_ZL13mul_mat_vec_qIL9ggml_type8ELi1ELb0ELb0EEvPKvS2_PKi31ggml_cuda_mm_fusion_args_devicePfj15HIP_vector_typeIjLj3EEjjjS8_jjjS8_jjjj: ; @_ZL13mul_mat_vec_qIL9ggml_type8ELi1ELb0ELb0EEvPKvS2_PKi31ggml_cuda_mm_fusion_args_devicePfj15HIP_vector_typeIjLj3EEjjjS8_jjjS8_jjjj
; %bb.0:
	s_clause 0x1
	s_load_dwordx2 s[0:1], s[4:5], 0x10
	s_load_dwordx4 s[16:19], s[4:5], 0x40
	s_mov_b32 s10, s7
	s_waitcnt lgkmcnt(0)
	s_cmp_lg_u64 s[0:1], 0
	s_cselect_b32 s7, -1, 0
	s_cmp_eq_u64 s[0:1], 0
	s_cbranch_scc1 .LBB64_5
; %bb.1:
	s_mov_b32 s11, 0
	s_lshl_b64 s[2:3], s[10:11], 2
	s_add_u32 s0, s0, s2
	s_addc_u32 s1, s1, s3
	s_load_dword s20, s[0:1], 0x0
	s_clause 0x1
	s_load_dwordx4 s[0:3], s[4:5], 0x68
	s_load_dword s21, s[4:5], 0x50
	s_cbranch_execnz .LBB64_3
.LBB64_2:
	s_load_dwordx2 s[12:13], s[4:5], 0x5c
	s_waitcnt lgkmcnt(0)
	s_mul_hi_u32 s9, s12, s10
	s_add_i32 s9, s10, s9
	s_lshr_b32 s20, s9, s13
.LBB64_3:
	s_load_dword s11, s[4:5], 0x78
	s_andn2_b32 vcc_lo, exec_lo, s7
	s_cbranch_vccnz .LBB64_6
; %bb.4:
	s_mul_hi_u32 s7, s17, s10
	s_add_i32 s7, s10, s7
	s_lshr_b32 s7, s7, s18
	s_mul_i32 s7, s7, s19
	s_sub_i32 s22, s10, s7
	s_branch .LBB64_7
.LBB64_5:
                                        ; implicit-def: $sgpr20
	s_clause 0x1
	s_load_dwordx4 s[0:3], s[4:5], 0x68
	s_load_dword s21, s[4:5], 0x50
	s_branch .LBB64_2
.LBB64_6:
	s_mov_b32 s22, s10
.LBB64_7:
	s_load_dwordx4 s[12:15], s[4:5], 0x80
	v_lshl_or_b32 v2, v1, 5, v0
	v_mov_b32_e32 v4, 0
	s_lshr_b32 s9, s16, 5
	s_mov_b32 s7, exec_lo
	v_lshrrev_b32_e32 v5, 2, v2
	v_cmpx_gt_u32_e64 s9, v5
	s_cbranch_execz .LBB64_11
; %bb.8:
	s_load_dwordx4 s[16:19], s[4:5], 0x0
	s_waitcnt lgkmcnt(0)
	s_mul_hi_u32 s3, s3, s8
	s_mul_i32 s21, s21, s6
	s_add_i32 s3, s8, s3
	s_mul_i32 s13, s13, s8
	s_lshr_b32 s3, s3, s11
	s_mul_i32 s0, s20, s0
	s_mul_i32 s3, s3, s12
	v_lshlrev_b32_e32 v3, 2, v0
	s_add_i32 s3, s3, s21
	s_mul_i32 s11, s22, s1
	s_add_i32 s1, s0, s3
	s_mul_i32 s3, s13, 36
	s_mul_hi_u32 s12, s13, 36
	v_lshrrev_b32_e32 v2, 2, v2
	s_mul_hi_u32 s0, s11, 36
	s_mul_i32 s11, s11, 36
	v_and_b32_e32 v7, 12, v3
	v_and_b32_e32 v6, 3, v0
	v_mov_b32_e32 v4, 0
	s_add_u32 s3, s18, s3
	s_addc_u32 s13, s19, s12
	s_add_u32 s12, s3, s11
	s_addc_u32 s13, s13, s0
	v_lshlrev_b32_e32 v6, 3, v6
	v_mad_u64_u32 v[2:3], null, v2, 36, s[12:13]
	v_lshlrev_b32_e32 v7, 1, v7
	s_mov_b32 s3, 0
	s_inst_prefetch 0x1
	.p2align	6
.LBB64_9:                               ; =>This Inner Loop Header: Depth=1
	v_add_nc_u32_e32 v10, s1, v5
	v_add_co_u32 v8, vcc_lo, v2, v6
	v_add_co_ci_u32_e64 v9, null, 0, v3, vcc_lo
	v_mad_i64_i32 v[10:11], null, v10, 34, s[16:17]
	v_add_nc_u32_e32 v5, 8, v5
	global_load_dwordx2 v[8:9], v[8:9], off offset:4
	v_add_co_u32 v12, vcc_lo, v10, v7
	v_add_co_ci_u32_e64 v13, null, 0, v11, vcc_lo
	v_cmp_le_u32_e32 vcc_lo, s9, v5
	global_load_dword v14, v[2:3], off
	s_clause 0x1
	global_load_dwordx2 v[12:13], v[12:13], off offset:2
	global_load_ushort v10, v[10:11], off
	v_mov_b32_e32 v11, 0
	v_add_co_u32 v2, s0, 0x120, v2
	v_add_co_ci_u32_e64 v3, null, 0, v3, s0
	s_or_b32 s3, vcc_lo, s3
	s_waitcnt vmcnt(2)
	v_cvt_f32_f16_e32 v14, v14
	s_waitcnt vmcnt(1)
	v_dot4c_i32_i8 v11, v12, v8
	s_waitcnt vmcnt(0)
	v_cvt_f32_f16_e32 v8, v10
	v_dot4c_i32_i8 v11, v13, v9
	v_mul_f32_e32 v8, v8, v14
	v_cvt_f32_i32_e32 v9, v11
	v_fmac_f32_e32 v4, v8, v9
	s_andn2_b32 exec_lo, exec_lo, s3
	s_cbranch_execnz .LBB64_9
; %bb.10:
	s_inst_prefetch 0x2
	s_or_b32 exec_lo, exec_lo, s3
.LBB64_11:
	s_or_b32 exec_lo, exec_lo, s7
	s_waitcnt lgkmcnt(0)
	; wave barrier
	buffer_gl0_inv
	s_mov_b32 s0, exec_lo
	v_cmpx_eq_u32_e32 0, v1
	s_cbranch_execz .LBB64_14
; %bb.12:
	v_mbcnt_lo_u32_b32 v1, -1, 0
	v_xor_b32_e32 v2, 16, v1
	v_xor_b32_e32 v3, 8, v1
	v_cmp_gt_i32_e32 vcc_lo, 32, v2
	v_cndmask_b32_e32 v2, v1, v2, vcc_lo
	v_cmp_gt_i32_e32 vcc_lo, 32, v3
	v_lshlrev_b32_e32 v2, 2, v2
	v_cndmask_b32_e32 v3, v1, v3, vcc_lo
	ds_bpermute_b32 v2, v2, v4
	v_lshlrev_b32_e32 v3, 2, v3
	s_waitcnt lgkmcnt(0)
	v_add_f32_e32 v2, v4, v2
	v_xor_b32_e32 v4, 4, v1
	ds_bpermute_b32 v3, v3, v2
	v_cmp_gt_i32_e32 vcc_lo, 32, v4
	v_cndmask_b32_e32 v4, v1, v4, vcc_lo
	v_lshlrev_b32_e32 v4, 2, v4
	s_waitcnt lgkmcnt(0)
	v_add_f32_e32 v2, v2, v3
	ds_bpermute_b32 v3, v4, v2
	v_xor_b32_e32 v4, 2, v1
	v_cmp_gt_i32_e32 vcc_lo, 32, v4
	v_cndmask_b32_e32 v4, v1, v4, vcc_lo
	v_lshlrev_b32_e32 v4, 2, v4
	s_waitcnt lgkmcnt(0)
	v_add_f32_e32 v2, v2, v3
	ds_bpermute_b32 v3, v4, v2
	v_xor_b32_e32 v4, 1, v1
	v_cmp_gt_i32_e32 vcc_lo, 32, v4
	v_cndmask_b32_e32 v1, v1, v4, vcc_lo
	v_cmp_eq_u32_e32 vcc_lo, 0, v0
	v_lshlrev_b32_e32 v4, 2, v1
	s_waitcnt lgkmcnt(0)
	v_add_f32_e32 v1, v2, v3
	ds_bpermute_b32 v2, v4, v1
	s_and_b32 exec_lo, exec_lo, vcc_lo
	s_cbranch_execz .LBB64_14
; %bb.13:
	s_load_dwordx2 s[0:1], s[4:5], 0x38
	s_mul_i32 s2, s2, s10
	s_mul_i32 s3, s14, s8
	s_add_i32 s2, s2, s6
	s_waitcnt lgkmcnt(0)
	v_add_f32_e32 v0, v1, v2
	s_add_i32 s2, s2, s3
	s_mov_b32 s3, 0
	v_mov_b32_e32 v1, 0
	s_lshl_b64 s[2:3], s[2:3], 2
	s_add_u32 s0, s0, s2
	s_addc_u32 s1, s1, s3
	global_store_dword v1, v0, s[0:1]
.LBB64_14:
	s_endpgm
	.section	.rodata,"a",@progbits
	.p2align	6, 0x0
	.amdhsa_kernel _ZL13mul_mat_vec_qIL9ggml_type8ELi1ELb0ELb0EEvPKvS2_PKi31ggml_cuda_mm_fusion_args_devicePfj15HIP_vector_typeIjLj3EEjjjS8_jjjS8_jjjj
		.amdhsa_group_segment_fixed_size 0
		.amdhsa_private_segment_fixed_size 0
		.amdhsa_kernarg_size 144
		.amdhsa_user_sgpr_count 6
		.amdhsa_user_sgpr_private_segment_buffer 1
		.amdhsa_user_sgpr_dispatch_ptr 0
		.amdhsa_user_sgpr_queue_ptr 0
		.amdhsa_user_sgpr_kernarg_segment_ptr 1
		.amdhsa_user_sgpr_dispatch_id 0
		.amdhsa_user_sgpr_flat_scratch_init 0
		.amdhsa_user_sgpr_private_segment_size 0
		.amdhsa_wavefront_size32 1
		.amdhsa_uses_dynamic_stack 0
		.amdhsa_system_sgpr_private_segment_wavefront_offset 0
		.amdhsa_system_sgpr_workgroup_id_x 1
		.amdhsa_system_sgpr_workgroup_id_y 1
		.amdhsa_system_sgpr_workgroup_id_z 1
		.amdhsa_system_sgpr_workgroup_info 0
		.amdhsa_system_vgpr_workitem_id 1
		.amdhsa_next_free_vgpr 15
		.amdhsa_next_free_sgpr 23
		.amdhsa_reserve_vcc 1
		.amdhsa_reserve_flat_scratch 0
		.amdhsa_float_round_mode_32 0
		.amdhsa_float_round_mode_16_64 0
		.amdhsa_float_denorm_mode_32 3
		.amdhsa_float_denorm_mode_16_64 3
		.amdhsa_dx10_clamp 1
		.amdhsa_ieee_mode 1
		.amdhsa_fp16_overflow 0
		.amdhsa_workgroup_processor_mode 1
		.amdhsa_memory_ordered 1
		.amdhsa_forward_progress 1
		.amdhsa_shared_vgpr_count 0
		.amdhsa_exception_fp_ieee_invalid_op 0
		.amdhsa_exception_fp_denorm_src 0
		.amdhsa_exception_fp_ieee_div_zero 0
		.amdhsa_exception_fp_ieee_overflow 0
		.amdhsa_exception_fp_ieee_underflow 0
		.amdhsa_exception_fp_ieee_inexact 0
		.amdhsa_exception_int_div_zero 0
	.end_amdhsa_kernel
	.section	.text._ZL13mul_mat_vec_qIL9ggml_type8ELi1ELb0ELb0EEvPKvS2_PKi31ggml_cuda_mm_fusion_args_devicePfj15HIP_vector_typeIjLj3EEjjjS8_jjjS8_jjjj,"axG",@progbits,_ZL13mul_mat_vec_qIL9ggml_type8ELi1ELb0ELb0EEvPKvS2_PKi31ggml_cuda_mm_fusion_args_devicePfj15HIP_vector_typeIjLj3EEjjjS8_jjjS8_jjjj,comdat
.Lfunc_end64:
	.size	_ZL13mul_mat_vec_qIL9ggml_type8ELi1ELb0ELb0EEvPKvS2_PKi31ggml_cuda_mm_fusion_args_devicePfj15HIP_vector_typeIjLj3EEjjjS8_jjjS8_jjjj, .Lfunc_end64-_ZL13mul_mat_vec_qIL9ggml_type8ELi1ELb0ELb0EEvPKvS2_PKi31ggml_cuda_mm_fusion_args_devicePfj15HIP_vector_typeIjLj3EEjjjS8_jjjS8_jjjj
                                        ; -- End function
	.set _ZL13mul_mat_vec_qIL9ggml_type8ELi1ELb0ELb0EEvPKvS2_PKi31ggml_cuda_mm_fusion_args_devicePfj15HIP_vector_typeIjLj3EEjjjS8_jjjS8_jjjj.num_vgpr, 15
	.set _ZL13mul_mat_vec_qIL9ggml_type8ELi1ELb0ELb0EEvPKvS2_PKi31ggml_cuda_mm_fusion_args_devicePfj15HIP_vector_typeIjLj3EEjjjS8_jjjS8_jjjj.num_agpr, 0
	.set _ZL13mul_mat_vec_qIL9ggml_type8ELi1ELb0ELb0EEvPKvS2_PKi31ggml_cuda_mm_fusion_args_devicePfj15HIP_vector_typeIjLj3EEjjjS8_jjjS8_jjjj.numbered_sgpr, 23
	.set _ZL13mul_mat_vec_qIL9ggml_type8ELi1ELb0ELb0EEvPKvS2_PKi31ggml_cuda_mm_fusion_args_devicePfj15HIP_vector_typeIjLj3EEjjjS8_jjjS8_jjjj.num_named_barrier, 0
	.set _ZL13mul_mat_vec_qIL9ggml_type8ELi1ELb0ELb0EEvPKvS2_PKi31ggml_cuda_mm_fusion_args_devicePfj15HIP_vector_typeIjLj3EEjjjS8_jjjS8_jjjj.private_seg_size, 0
	.set _ZL13mul_mat_vec_qIL9ggml_type8ELi1ELb0ELb0EEvPKvS2_PKi31ggml_cuda_mm_fusion_args_devicePfj15HIP_vector_typeIjLj3EEjjjS8_jjjS8_jjjj.uses_vcc, 1
	.set _ZL13mul_mat_vec_qIL9ggml_type8ELi1ELb0ELb0EEvPKvS2_PKi31ggml_cuda_mm_fusion_args_devicePfj15HIP_vector_typeIjLj3EEjjjS8_jjjS8_jjjj.uses_flat_scratch, 0
	.set _ZL13mul_mat_vec_qIL9ggml_type8ELi1ELb0ELb0EEvPKvS2_PKi31ggml_cuda_mm_fusion_args_devicePfj15HIP_vector_typeIjLj3EEjjjS8_jjjS8_jjjj.has_dyn_sized_stack, 0
	.set _ZL13mul_mat_vec_qIL9ggml_type8ELi1ELb0ELb0EEvPKvS2_PKi31ggml_cuda_mm_fusion_args_devicePfj15HIP_vector_typeIjLj3EEjjjS8_jjjS8_jjjj.has_recursion, 0
	.set _ZL13mul_mat_vec_qIL9ggml_type8ELi1ELb0ELb0EEvPKvS2_PKi31ggml_cuda_mm_fusion_args_devicePfj15HIP_vector_typeIjLj3EEjjjS8_jjjS8_jjjj.has_indirect_call, 0
	.section	.AMDGPU.csdata,"",@progbits
; Kernel info:
; codeLenInByte = 820
; TotalNumSgprs: 25
; NumVgprs: 15
; ScratchSize: 0
; MemoryBound: 0
; FloatMode: 240
; IeeeMode: 1
; LDSByteSize: 0 bytes/workgroup (compile time only)
; SGPRBlocks: 0
; VGPRBlocks: 1
; NumSGPRsForWavesPerEU: 25
; NumVGPRsForWavesPerEU: 15
; Occupancy: 16
; WaveLimiterHint : 0
; COMPUTE_PGM_RSRC2:SCRATCH_EN: 0
; COMPUTE_PGM_RSRC2:USER_SGPR: 6
; COMPUTE_PGM_RSRC2:TRAP_HANDLER: 0
; COMPUTE_PGM_RSRC2:TGID_X_EN: 1
; COMPUTE_PGM_RSRC2:TGID_Y_EN: 1
; COMPUTE_PGM_RSRC2:TGID_Z_EN: 1
; COMPUTE_PGM_RSRC2:TIDIG_COMP_CNT: 1
	.section	.text._ZL13mul_mat_vec_qIL9ggml_type8ELi2ELb0ELb0EEvPKvS2_PKi31ggml_cuda_mm_fusion_args_devicePfj15HIP_vector_typeIjLj3EEjjjS8_jjjS8_jjjj,"axG",@progbits,_ZL13mul_mat_vec_qIL9ggml_type8ELi2ELb0ELb0EEvPKvS2_PKi31ggml_cuda_mm_fusion_args_devicePfj15HIP_vector_typeIjLj3EEjjjS8_jjjS8_jjjj,comdat
	.globl	_ZL13mul_mat_vec_qIL9ggml_type8ELi2ELb0ELb0EEvPKvS2_PKi31ggml_cuda_mm_fusion_args_devicePfj15HIP_vector_typeIjLj3EEjjjS8_jjjS8_jjjj ; -- Begin function _ZL13mul_mat_vec_qIL9ggml_type8ELi2ELb0ELb0EEvPKvS2_PKi31ggml_cuda_mm_fusion_args_devicePfj15HIP_vector_typeIjLj3EEjjjS8_jjjS8_jjjj
	.p2align	8
	.type	_ZL13mul_mat_vec_qIL9ggml_type8ELi2ELb0ELb0EEvPKvS2_PKi31ggml_cuda_mm_fusion_args_devicePfj15HIP_vector_typeIjLj3EEjjjS8_jjjS8_jjjj,@function
_ZL13mul_mat_vec_qIL9ggml_type8ELi2ELb0ELb0EEvPKvS2_PKi31ggml_cuda_mm_fusion_args_devicePfj15HIP_vector_typeIjLj3EEjjjS8_jjjS8_jjjj: ; @_ZL13mul_mat_vec_qIL9ggml_type8ELi2ELb0ELb0EEvPKvS2_PKi31ggml_cuda_mm_fusion_args_devicePfj15HIP_vector_typeIjLj3EEjjjS8_jjjS8_jjjj
; %bb.0:
	s_clause 0x5
	s_load_dword s9, s[4:5], 0x40
	s_load_dwordx4 s[0:3], s[4:5], 0x50
	s_load_dword s24, s[4:5], 0x60
	s_load_dwordx4 s[12:15], s[4:5], 0x68
	;; [unrolled: 2-line block ×3, first 2 shown]
	v_lshl_or_b32 v2, v1, 5, v0
	v_mov_b32_e32 v4, 0
	v_mov_b32_e32 v6, 0
	v_lshrrev_b32_e32 v5, 2, v2
	s_waitcnt lgkmcnt(0)
	s_lshr_b32 s19, s9, 5
	s_mov_b32 s9, exec_lo
	v_cmpx_gt_u32_e64 s19, v5
	s_cbranch_execz .LBB65_4
; %bb.1:
	s_load_dwordx4 s[20:23], s[4:5], 0x0
	v_lshlrev_b32_e32 v3, 1, v0
	s_mul_i32 s10, s17, s8
	s_mul_i32 s11, s13, s7
	s_mul_hi_u32 s13, s15, s8
	v_and_b32_e32 v6, 3, v0
	s_mul_hi_u32 s15, s10, 36
	v_and_b32_e32 v9, 6, v3
	s_mul_i32 s10, s10, 36
	v_lshrrev_b32_e32 v2, 2, v2
	s_mul_hi_u32 s17, s11, 36
	s_mul_i32 s11, s11, 36
	s_mul_hi_u32 s3, s3, s7
	v_lshlrev_b32_e32 v7, 3, v6
	v_lshlrev_b32_e32 v6, 1, v9
	s_mul_i32 s0, s0, s6
	v_mov_b32_e32 v4, 0
	v_lshlrev_b32_e32 v9, 2, v9
	v_lshlrev_b32_e32 v8, 1, v6
	s_waitcnt lgkmcnt(0)
	s_add_u32 s10, s22, s10
	s_addc_u32 s15, s23, s15
	s_add_u32 s10, s10, s11
	s_addc_u32 s11, s15, s17
	s_add_i32 s3, s7, s3
	s_add_i32 s13, s8, s13
	s_lshr_b32 s3, s3, s24
	v_mad_u64_u32 v[2:3], null, v2, 36, s[10:11]
	s_lshr_b32 s13, s13, s25
	s_mul_i32 s3, s3, s12
	v_mov_b32_e32 v6, 0
	s_mul_i32 s12, s13, s16
	s_add_i32 s3, s3, s0
	s_add_i32 s12, s12, s3
	s_mov_b32 s3, 0
.LBB65_2:                               ; =>This Inner Loop Header: Depth=1
	v_add_nc_u32_e32 v12, s12, v5
	v_add_nc_u32_e32 v14, s1, v5
	v_add_co_u32 v10, vcc_lo, v2, v7
	v_add_co_ci_u32_e64 v11, null, 0, v3, vcc_lo
	v_mad_i64_i32 v[12:13], null, v12, 34, s[20:21]
	v_mad_u64_u32 v[14:15], null, v14, 36, s[10:11]
	v_add_nc_u32_e32 v5, 8, v5
	v_add_co_u32 v16, vcc_lo, v12, v8
	v_add_co_ci_u32_e64 v17, null, 0, v13, vcc_lo
	v_add_co_u32 v18, vcc_lo, v14, v9
	v_add_co_ci_u32_e64 v19, null, 0, v15, vcc_lo
	s_clause 0x1
	global_load_dword v20, v[2:3], off
	global_load_dwordx2 v[10:11], v[10:11], off offset:4
	global_load_dwordx2 v[16:17], v[16:17], off offset:2
	global_load_dwordx2 v[18:19], v[18:19], off offset:4
	global_load_ushort v12, v[12:13], off
	global_load_dword v13, v[14:15], off
	v_mov_b32_e32 v14, 0
	v_mov_b32_e32 v15, 0
	v_add_co_u32 v2, vcc_lo, 0x120, v2
	v_cmp_le_u32_e64 s0, s19, v5
	v_add_co_ci_u32_e64 v3, null, 0, v3, vcc_lo
	s_or_b32 s3, s0, s3
	s_waitcnt vmcnt(5)
	v_cvt_f32_f16_e32 v20, v20
	s_waitcnt vmcnt(3)
	v_dot4c_i32_i8 v14, v16, v10
	s_waitcnt vmcnt(2)
	v_dot4c_i32_i8 v15, v16, v18
	s_waitcnt vmcnt(1)
	v_cvt_f32_f16_e32 v10, v12
	s_waitcnt vmcnt(0)
	v_cvt_f32_f16_e32 v12, v13
	v_dot4c_i32_i8 v14, v17, v11
	v_dot4c_i32_i8 v15, v17, v19
	v_mul_f32_e32 v11, v10, v20
	v_mul_f32_e32 v10, v10, v12
	v_cvt_f32_i32_e32 v12, v14
	v_cvt_f32_i32_e32 v13, v15
	v_fmac_f32_e32 v6, v11, v12
	v_fmac_f32_e32 v4, v10, v13
	s_andn2_b32 exec_lo, exec_lo, s3
	s_cbranch_execnz .LBB65_2
; %bb.3:
	s_or_b32 exec_lo, exec_lo, s3
.LBB65_4:
	s_or_b32 exec_lo, exec_lo, s9
	s_mov_b32 s1, 0
	; wave barrier
	buffer_gl0_inv
	s_mov_b32 s0, exec_lo
	v_cmpx_eq_u32_e32 0, v1
	s_cbranch_execz .LBB65_9
; %bb.5:
	v_mbcnt_lo_u32_b32 v7, -1, 0
	s_load_dwordx2 s[4:5], s[4:5], 0x38
	s_mul_i32 s0, s14, s7
	s_mul_i32 s3, s18, s8
	s_add_i32 s0, s0, s6
	v_xor_b32_e32 v1, 16, v7
	v_xor_b32_e32 v2, 8, v7
	s_add_i32 s0, s0, s3
	s_lshl_b64 s[0:1], s[0:1], 2
	v_cmp_gt_i32_e32 vcc_lo, 32, v1
	v_cndmask_b32_e32 v1, v7, v1, vcc_lo
	v_cmp_gt_i32_e32 vcc_lo, 32, v2
	v_lshlrev_b32_e32 v1, 2, v1
	v_cndmask_b32_e32 v2, v7, v2, vcc_lo
	s_waitcnt lgkmcnt(0)
	s_add_u32 s0, s4, s0
	s_addc_u32 s1, s5, s1
	ds_bpermute_b32 v3, v1, v6
	v_lshlrev_b32_e32 v2, 2, v2
	s_waitcnt lgkmcnt(0)
	v_add_f32_e32 v5, v6, v3
	v_xor_b32_e32 v3, 4, v7
	ds_bpermute_b32 v6, v2, v5
	v_cmp_gt_i32_e32 vcc_lo, 32, v3
	v_cndmask_b32_e32 v3, v7, v3, vcc_lo
	v_lshlrev_b32_e32 v3, 2, v3
	s_waitcnt lgkmcnt(0)
	v_add_f32_e32 v6, v5, v6
	v_xor_b32_e32 v5, 2, v7
	ds_bpermute_b32 v8, v3, v6
	v_cmp_gt_i32_e32 vcc_lo, 32, v5
	v_cndmask_b32_e32 v5, v7, v5, vcc_lo
	;; [unrolled: 7-line block ×3, first 2 shown]
	v_cmp_eq_u32_e32 vcc_lo, 0, v0
	v_lshlrev_b32_e32 v6, 2, v6
	s_waitcnt lgkmcnt(0)
	v_add_f32_e32 v7, v8, v9
	ds_bpermute_b32 v8, v6, v7
	s_and_saveexec_b32 s3, vcc_lo
	s_cbranch_execz .LBB65_7
; %bb.6:
	s_waitcnt lgkmcnt(0)
	v_add_f32_e32 v0, v7, v8
	v_mov_b32_e32 v7, 0
	global_store_dword v7, v0, s[0:1]
.LBB65_7:
	s_or_b32 exec_lo, exec_lo, s3
	ds_bpermute_b32 v0, v1, v4
	s_waitcnt lgkmcnt(0)
	v_add_f32_e32 v0, v4, v0
	ds_bpermute_b32 v1, v2, v0
	s_waitcnt lgkmcnt(0)
	v_add_f32_e32 v0, v0, v1
	;; [unrolled: 3-line block ×4, first 2 shown]
	ds_bpermute_b32 v1, v6, v0
	s_and_b32 exec_lo, exec_lo, vcc_lo
	s_cbranch_execz .LBB65_9
; %bb.8:
	s_mov_b32 s3, 0
	s_waitcnt lgkmcnt(0)
	v_add_f32_e32 v0, v0, v1
	s_lshl_b64 s[2:3], s[2:3], 2
	v_mov_b32_e32 v1, 0
	s_add_u32 s0, s0, s2
	s_addc_u32 s1, s1, s3
	global_store_dword v1, v0, s[0:1]
.LBB65_9:
	s_endpgm
	.section	.rodata,"a",@progbits
	.p2align	6, 0x0
	.amdhsa_kernel _ZL13mul_mat_vec_qIL9ggml_type8ELi2ELb0ELb0EEvPKvS2_PKi31ggml_cuda_mm_fusion_args_devicePfj15HIP_vector_typeIjLj3EEjjjS8_jjjS8_jjjj
		.amdhsa_group_segment_fixed_size 0
		.amdhsa_private_segment_fixed_size 0
		.amdhsa_kernarg_size 144
		.amdhsa_user_sgpr_count 6
		.amdhsa_user_sgpr_private_segment_buffer 1
		.amdhsa_user_sgpr_dispatch_ptr 0
		.amdhsa_user_sgpr_queue_ptr 0
		.amdhsa_user_sgpr_kernarg_segment_ptr 1
		.amdhsa_user_sgpr_dispatch_id 0
		.amdhsa_user_sgpr_flat_scratch_init 0
		.amdhsa_user_sgpr_private_segment_size 0
		.amdhsa_wavefront_size32 1
		.amdhsa_uses_dynamic_stack 0
		.amdhsa_system_sgpr_private_segment_wavefront_offset 0
		.amdhsa_system_sgpr_workgroup_id_x 1
		.amdhsa_system_sgpr_workgroup_id_y 1
		.amdhsa_system_sgpr_workgroup_id_z 1
		.amdhsa_system_sgpr_workgroup_info 0
		.amdhsa_system_vgpr_workitem_id 1
		.amdhsa_next_free_vgpr 21
		.amdhsa_next_free_sgpr 26
		.amdhsa_reserve_vcc 1
		.amdhsa_reserve_flat_scratch 0
		.amdhsa_float_round_mode_32 0
		.amdhsa_float_round_mode_16_64 0
		.amdhsa_float_denorm_mode_32 3
		.amdhsa_float_denorm_mode_16_64 3
		.amdhsa_dx10_clamp 1
		.amdhsa_ieee_mode 1
		.amdhsa_fp16_overflow 0
		.amdhsa_workgroup_processor_mode 1
		.amdhsa_memory_ordered 1
		.amdhsa_forward_progress 1
		.amdhsa_shared_vgpr_count 0
		.amdhsa_exception_fp_ieee_invalid_op 0
		.amdhsa_exception_fp_denorm_src 0
		.amdhsa_exception_fp_ieee_div_zero 0
		.amdhsa_exception_fp_ieee_overflow 0
		.amdhsa_exception_fp_ieee_underflow 0
		.amdhsa_exception_fp_ieee_inexact 0
		.amdhsa_exception_int_div_zero 0
	.end_amdhsa_kernel
	.section	.text._ZL13mul_mat_vec_qIL9ggml_type8ELi2ELb0ELb0EEvPKvS2_PKi31ggml_cuda_mm_fusion_args_devicePfj15HIP_vector_typeIjLj3EEjjjS8_jjjS8_jjjj,"axG",@progbits,_ZL13mul_mat_vec_qIL9ggml_type8ELi2ELb0ELb0EEvPKvS2_PKi31ggml_cuda_mm_fusion_args_devicePfj15HIP_vector_typeIjLj3EEjjjS8_jjjS8_jjjj,comdat
.Lfunc_end65:
	.size	_ZL13mul_mat_vec_qIL9ggml_type8ELi2ELb0ELb0EEvPKvS2_PKi31ggml_cuda_mm_fusion_args_devicePfj15HIP_vector_typeIjLj3EEjjjS8_jjjS8_jjjj, .Lfunc_end65-_ZL13mul_mat_vec_qIL9ggml_type8ELi2ELb0ELb0EEvPKvS2_PKi31ggml_cuda_mm_fusion_args_devicePfj15HIP_vector_typeIjLj3EEjjjS8_jjjS8_jjjj
                                        ; -- End function
	.set _ZL13mul_mat_vec_qIL9ggml_type8ELi2ELb0ELb0EEvPKvS2_PKi31ggml_cuda_mm_fusion_args_devicePfj15HIP_vector_typeIjLj3EEjjjS8_jjjS8_jjjj.num_vgpr, 21
	.set _ZL13mul_mat_vec_qIL9ggml_type8ELi2ELb0ELb0EEvPKvS2_PKi31ggml_cuda_mm_fusion_args_devicePfj15HIP_vector_typeIjLj3EEjjjS8_jjjS8_jjjj.num_agpr, 0
	.set _ZL13mul_mat_vec_qIL9ggml_type8ELi2ELb0ELb0EEvPKvS2_PKi31ggml_cuda_mm_fusion_args_devicePfj15HIP_vector_typeIjLj3EEjjjS8_jjjS8_jjjj.numbered_sgpr, 26
	.set _ZL13mul_mat_vec_qIL9ggml_type8ELi2ELb0ELb0EEvPKvS2_PKi31ggml_cuda_mm_fusion_args_devicePfj15HIP_vector_typeIjLj3EEjjjS8_jjjS8_jjjj.num_named_barrier, 0
	.set _ZL13mul_mat_vec_qIL9ggml_type8ELi2ELb0ELb0EEvPKvS2_PKi31ggml_cuda_mm_fusion_args_devicePfj15HIP_vector_typeIjLj3EEjjjS8_jjjS8_jjjj.private_seg_size, 0
	.set _ZL13mul_mat_vec_qIL9ggml_type8ELi2ELb0ELb0EEvPKvS2_PKi31ggml_cuda_mm_fusion_args_devicePfj15HIP_vector_typeIjLj3EEjjjS8_jjjS8_jjjj.uses_vcc, 1
	.set _ZL13mul_mat_vec_qIL9ggml_type8ELi2ELb0ELb0EEvPKvS2_PKi31ggml_cuda_mm_fusion_args_devicePfj15HIP_vector_typeIjLj3EEjjjS8_jjjS8_jjjj.uses_flat_scratch, 0
	.set _ZL13mul_mat_vec_qIL9ggml_type8ELi2ELb0ELb0EEvPKvS2_PKi31ggml_cuda_mm_fusion_args_devicePfj15HIP_vector_typeIjLj3EEjjjS8_jjjS8_jjjj.has_dyn_sized_stack, 0
	.set _ZL13mul_mat_vec_qIL9ggml_type8ELi2ELb0ELb0EEvPKvS2_PKi31ggml_cuda_mm_fusion_args_devicePfj15HIP_vector_typeIjLj3EEjjjS8_jjjS8_jjjj.has_recursion, 0
	.set _ZL13mul_mat_vec_qIL9ggml_type8ELi2ELb0ELb0EEvPKvS2_PKi31ggml_cuda_mm_fusion_args_devicePfj15HIP_vector_typeIjLj3EEjjjS8_jjjS8_jjjj.has_indirect_call, 0
	.section	.AMDGPU.csdata,"",@progbits
; Kernel info:
; codeLenInByte = 880
; TotalNumSgprs: 28
; NumVgprs: 21
; ScratchSize: 0
; MemoryBound: 0
; FloatMode: 240
; IeeeMode: 1
; LDSByteSize: 0 bytes/workgroup (compile time only)
; SGPRBlocks: 0
; VGPRBlocks: 2
; NumSGPRsForWavesPerEU: 28
; NumVGPRsForWavesPerEU: 21
; Occupancy: 16
; WaveLimiterHint : 0
; COMPUTE_PGM_RSRC2:SCRATCH_EN: 0
; COMPUTE_PGM_RSRC2:USER_SGPR: 6
; COMPUTE_PGM_RSRC2:TRAP_HANDLER: 0
; COMPUTE_PGM_RSRC2:TGID_X_EN: 1
; COMPUTE_PGM_RSRC2:TGID_Y_EN: 1
; COMPUTE_PGM_RSRC2:TGID_Z_EN: 1
; COMPUTE_PGM_RSRC2:TIDIG_COMP_CNT: 1
	.section	.text._ZL13mul_mat_vec_qIL9ggml_type8ELi3ELb0ELb0EEvPKvS2_PKi31ggml_cuda_mm_fusion_args_devicePfj15HIP_vector_typeIjLj3EEjjjS8_jjjS8_jjjj,"axG",@progbits,_ZL13mul_mat_vec_qIL9ggml_type8ELi3ELb0ELb0EEvPKvS2_PKi31ggml_cuda_mm_fusion_args_devicePfj15HIP_vector_typeIjLj3EEjjjS8_jjjS8_jjjj,comdat
	.globl	_ZL13mul_mat_vec_qIL9ggml_type8ELi3ELb0ELb0EEvPKvS2_PKi31ggml_cuda_mm_fusion_args_devicePfj15HIP_vector_typeIjLj3EEjjjS8_jjjS8_jjjj ; -- Begin function _ZL13mul_mat_vec_qIL9ggml_type8ELi3ELb0ELb0EEvPKvS2_PKi31ggml_cuda_mm_fusion_args_devicePfj15HIP_vector_typeIjLj3EEjjjS8_jjjS8_jjjj
	.p2align	8
	.type	_ZL13mul_mat_vec_qIL9ggml_type8ELi3ELb0ELb0EEvPKvS2_PKi31ggml_cuda_mm_fusion_args_devicePfj15HIP_vector_typeIjLj3EEjjjS8_jjjS8_jjjj,@function
_ZL13mul_mat_vec_qIL9ggml_type8ELi3ELb0ELb0EEvPKvS2_PKi31ggml_cuda_mm_fusion_args_devicePfj15HIP_vector_typeIjLj3EEjjjS8_jjjS8_jjjj: ; @_ZL13mul_mat_vec_qIL9ggml_type8ELi3ELb0ELb0EEvPKvS2_PKi31ggml_cuda_mm_fusion_args_devicePfj15HIP_vector_typeIjLj3EEjjjS8_jjjS8_jjjj
; %bb.0:
	s_clause 0x5
	s_load_dword s9, s[4:5], 0x40
	s_load_dwordx4 s[0:3], s[4:5], 0x50
	s_load_dword s24, s[4:5], 0x60
	s_load_dwordx4 s[12:15], s[4:5], 0x68
	;; [unrolled: 2-line block ×3, first 2 shown]
	v_lshl_or_b32 v2, v1, 5, v0
	v_mov_b32_e32 v4, 0
	v_mov_b32_e32 v5, 0
	;; [unrolled: 1-line block ×3, first 2 shown]
	v_lshrrev_b32_e32 v6, 2, v2
	s_waitcnt lgkmcnt(0)
	s_lshr_b32 s19, s9, 5
	s_mov_b32 s9, exec_lo
	v_cmpx_gt_u32_e64 s19, v6
	s_cbranch_execz .LBB66_4
; %bb.1:
	s_load_dwordx4 s[20:23], s[4:5], 0x0
	v_lshlrev_b32_e32 v3, 1, v0
	s_mul_i32 s10, s17, s8
	s_mul_i32 s11, s13, s7
	s_mul_hi_u32 s13, s15, s8
	v_and_b32_e32 v5, 3, v0
	s_mul_hi_u32 s15, s10, 36
	v_and_b32_e32 v7, 6, v3
	s_mul_i32 s10, s10, 36
	v_lshrrev_b32_e32 v2, 2, v2
	s_mul_hi_u32 s17, s11, 36
	s_mul_i32 s11, s11, 36
	s_mul_hi_u32 s3, s3, s7
	v_lshlrev_b32_e32 v8, 3, v5
	v_lshlrev_b32_e32 v5, 1, v7
	s_mul_i32 s0, s0, s6
	v_mov_b32_e32 v4, 0
	v_lshlrev_b32_e32 v10, 2, v7
	v_mov_b32_e32 v7, 0
	v_lshlrev_b32_e32 v9, 1, v5
	s_waitcnt lgkmcnt(0)
	s_add_u32 s10, s22, s10
	s_addc_u32 s15, s23, s15
	s_add_u32 s10, s10, s11
	s_addc_u32 s11, s15, s17
	s_add_i32 s3, s7, s3
	s_add_i32 s13, s8, s13
	s_lshr_b32 s3, s3, s24
	v_mad_u64_u32 v[2:3], null, v2, 36, s[10:11]
	s_lshr_b32 s13, s13, s25
	s_mul_i32 s3, s3, s12
	v_mov_b32_e32 v5, 0
	s_mul_i32 s12, s13, s16
	s_add_i32 s3, s3, s0
	s_add_i32 s0, s12, s3
	s_lshl_b32 s12, s1, 1
	s_mov_b32 s3, 0
.LBB66_2:                               ; =>This Inner Loop Header: Depth=1
	v_add_nc_u32_e32 v13, s0, v6
	v_add_nc_u32_e32 v15, s1, v6
	;; [unrolled: 1-line block ×3, first 2 shown]
	v_add_co_u32 v11, vcc_lo, v2, v8
	v_mad_i64_i32 v[13:14], null, v13, 34, s[20:21]
	v_mad_u64_u32 v[15:16], null, v15, 36, s[10:11]
	v_mad_u64_u32 v[17:18], null, v17, 36, s[10:11]
	v_add_co_ci_u32_e64 v12, null, 0, v3, vcc_lo
	v_add_co_u32 v19, vcc_lo, v13, v9
	v_add_co_ci_u32_e64 v20, null, 0, v14, vcc_lo
	v_add_co_u32 v21, vcc_lo, v15, v10
	;; [unrolled: 2-line block ×3, first 2 shown]
	s_clause 0x1
	global_load_dword v25, v[2:3], off
	global_load_dwordx2 v[11:12], v[11:12], off offset:4
	v_add_co_ci_u32_e64 v24, null, 0, v18, vcc_lo
	s_clause 0x1
	global_load_dwordx2 v[19:20], v[19:20], off offset:2
	global_load_ushort v26, v[13:14], off
	s_clause 0x3
	global_load_dwordx2 v[13:14], v[21:22], off offset:4
	global_load_dwordx2 v[21:22], v[23:24], off offset:4
	global_load_dword v17, v[17:18], off
	global_load_dword v15, v[15:16], off
	v_mov_b32_e32 v16, 0
	v_mov_b32_e32 v18, 0
	;; [unrolled: 1-line block ×3, first 2 shown]
	v_add_nc_u32_e32 v6, 8, v6
	v_add_co_u32 v2, vcc_lo, 0x120, v2
	v_add_co_ci_u32_e64 v3, null, 0, v3, vcc_lo
	v_cmp_le_u32_e32 vcc_lo, s19, v6
	s_or_b32 s3, vcc_lo, s3
	s_waitcnt vmcnt(7)
	v_cvt_f32_f16_e32 v24, v25
	s_waitcnt vmcnt(5)
	v_dot4c_i32_i8 v16, v19, v11
	s_waitcnt vmcnt(3)
	v_dot4c_i32_i8 v18, v19, v13
	;; [unrolled: 2-line block ×3, first 2 shown]
	v_cvt_f32_f16_e32 v25, v26
	s_waitcnt vmcnt(0)
	v_cvt_f32_f16_e32 v11, v15
	v_cvt_f32_f16_e32 v13, v17
	v_dot4c_i32_i8 v16, v20, v12
	v_dot4c_i32_i8 v18, v20, v14
	;; [unrolled: 1-line block ×3, first 2 shown]
	v_mul_f32_e32 v12, v25, v24
	v_mul_f32_e32 v11, v25, v11
	;; [unrolled: 1-line block ×3, first 2 shown]
	v_cvt_f32_i32_e32 v14, v16
	v_cvt_f32_i32_e32 v15, v18
	v_cvt_f32_i32_e32 v16, v23
	v_fmac_f32_e32 v7, v12, v14
	v_fmac_f32_e32 v5, v11, v15
	;; [unrolled: 1-line block ×3, first 2 shown]
	s_andn2_b32 exec_lo, exec_lo, s3
	s_cbranch_execnz .LBB66_2
; %bb.3:
	s_or_b32 exec_lo, exec_lo, s3
.LBB66_4:
	s_or_b32 exec_lo, exec_lo, s9
	s_mov_b32 s1, 0
	; wave barrier
	buffer_gl0_inv
	s_mov_b32 s0, exec_lo
	v_cmpx_eq_u32_e32 0, v1
	s_cbranch_execz .LBB66_11
; %bb.5:
	v_mbcnt_lo_u32_b32 v8, -1, 0
	s_load_dwordx2 s[4:5], s[4:5], 0x38
	s_mul_i32 s0, s14, s7
	s_mul_i32 s3, s18, s8
	s_add_i32 s0, s0, s6
	v_xor_b32_e32 v1, 16, v8
	v_xor_b32_e32 v2, 8, v8
	s_add_i32 s0, s0, s3
	s_lshl_b64 s[0:1], s[0:1], 2
	v_cmp_gt_i32_e32 vcc_lo, 32, v1
	v_cndmask_b32_e32 v1, v8, v1, vcc_lo
	v_cmp_gt_i32_e32 vcc_lo, 32, v2
	v_lshlrev_b32_e32 v1, 2, v1
	v_cndmask_b32_e32 v2, v8, v2, vcc_lo
	s_waitcnt lgkmcnt(0)
	s_add_u32 s0, s4, s0
	s_addc_u32 s1, s5, s1
	ds_bpermute_b32 v3, v1, v7
	v_lshlrev_b32_e32 v2, 2, v2
	s_waitcnt lgkmcnt(0)
	v_add_f32_e32 v6, v7, v3
	v_xor_b32_e32 v3, 4, v8
	ds_bpermute_b32 v7, v2, v6
	v_cmp_gt_i32_e32 vcc_lo, 32, v3
	v_cndmask_b32_e32 v3, v8, v3, vcc_lo
	v_lshlrev_b32_e32 v3, 2, v3
	s_waitcnt lgkmcnt(0)
	v_add_f32_e32 v7, v6, v7
	v_xor_b32_e32 v6, 2, v8
	ds_bpermute_b32 v9, v3, v7
	v_cmp_gt_i32_e32 vcc_lo, 32, v6
	v_cndmask_b32_e32 v6, v8, v6, vcc_lo
	;; [unrolled: 7-line block ×3, first 2 shown]
	v_cmp_eq_u32_e32 vcc_lo, 0, v0
	v_lshlrev_b32_e32 v7, 2, v7
	s_waitcnt lgkmcnt(0)
	v_add_f32_e32 v8, v9, v10
	ds_bpermute_b32 v9, v7, v8
	s_and_saveexec_b32 s3, vcc_lo
	s_cbranch_execz .LBB66_7
; %bb.6:
	s_waitcnt lgkmcnt(0)
	v_add_f32_e32 v0, v8, v9
	v_mov_b32_e32 v8, 0
	global_store_dword v8, v0, s[0:1]
.LBB66_7:
	s_or_b32 exec_lo, exec_lo, s3
	ds_bpermute_b32 v0, v1, v5
	s_waitcnt lgkmcnt(0)
	v_add_f32_e32 v0, v5, v0
	ds_bpermute_b32 v5, v2, v0
	s_waitcnt lgkmcnt(0)
	v_add_f32_e32 v0, v0, v5
	;; [unrolled: 3-line block ×4, first 2 shown]
	ds_bpermute_b32 v5, v7, v0
	s_and_saveexec_b32 s4, vcc_lo
	s_cbranch_execz .LBB66_9
; %bb.8:
	s_mov_b32 s3, 0
	s_waitcnt lgkmcnt(0)
	v_add_f32_e32 v0, v0, v5
	s_lshl_b64 s[6:7], s[2:3], 2
	v_mov_b32_e32 v5, 0
	s_add_u32 s6, s0, s6
	s_addc_u32 s7, s1, s7
	global_store_dword v5, v0, s[6:7]
.LBB66_9:
	s_or_b32 exec_lo, exec_lo, s4
	ds_bpermute_b32 v0, v1, v4
	s_waitcnt lgkmcnt(0)
	v_add_f32_e32 v0, v4, v0
	ds_bpermute_b32 v1, v2, v0
	s_waitcnt lgkmcnt(0)
	v_add_f32_e32 v0, v0, v1
	;; [unrolled: 3-line block ×4, first 2 shown]
	ds_bpermute_b32 v1, v7, v0
	s_and_b32 exec_lo, exec_lo, vcc_lo
	s_cbranch_execz .LBB66_11
; %bb.10:
	s_lshl_b32 s2, s2, 1
	s_mov_b32 s3, 0
	s_waitcnt lgkmcnt(0)
	v_add_f32_e32 v0, v0, v1
	s_lshl_b64 s[2:3], s[2:3], 2
	v_mov_b32_e32 v1, 0
	s_add_u32 s0, s0, s2
	s_addc_u32 s1, s1, s3
	global_store_dword v1, v0, s[0:1]
.LBB66_11:
	s_endpgm
	.section	.rodata,"a",@progbits
	.p2align	6, 0x0
	.amdhsa_kernel _ZL13mul_mat_vec_qIL9ggml_type8ELi3ELb0ELb0EEvPKvS2_PKi31ggml_cuda_mm_fusion_args_devicePfj15HIP_vector_typeIjLj3EEjjjS8_jjjS8_jjjj
		.amdhsa_group_segment_fixed_size 0
		.amdhsa_private_segment_fixed_size 0
		.amdhsa_kernarg_size 144
		.amdhsa_user_sgpr_count 6
		.amdhsa_user_sgpr_private_segment_buffer 1
		.amdhsa_user_sgpr_dispatch_ptr 0
		.amdhsa_user_sgpr_queue_ptr 0
		.amdhsa_user_sgpr_kernarg_segment_ptr 1
		.amdhsa_user_sgpr_dispatch_id 0
		.amdhsa_user_sgpr_flat_scratch_init 0
		.amdhsa_user_sgpr_private_segment_size 0
		.amdhsa_wavefront_size32 1
		.amdhsa_uses_dynamic_stack 0
		.amdhsa_system_sgpr_private_segment_wavefront_offset 0
		.amdhsa_system_sgpr_workgroup_id_x 1
		.amdhsa_system_sgpr_workgroup_id_y 1
		.amdhsa_system_sgpr_workgroup_id_z 1
		.amdhsa_system_sgpr_workgroup_info 0
		.amdhsa_system_vgpr_workitem_id 1
		.amdhsa_next_free_vgpr 27
		.amdhsa_next_free_sgpr 26
		.amdhsa_reserve_vcc 1
		.amdhsa_reserve_flat_scratch 0
		.amdhsa_float_round_mode_32 0
		.amdhsa_float_round_mode_16_64 0
		.amdhsa_float_denorm_mode_32 3
		.amdhsa_float_denorm_mode_16_64 3
		.amdhsa_dx10_clamp 1
		.amdhsa_ieee_mode 1
		.amdhsa_fp16_overflow 0
		.amdhsa_workgroup_processor_mode 1
		.amdhsa_memory_ordered 1
		.amdhsa_forward_progress 1
		.amdhsa_shared_vgpr_count 0
		.amdhsa_exception_fp_ieee_invalid_op 0
		.amdhsa_exception_fp_denorm_src 0
		.amdhsa_exception_fp_ieee_div_zero 0
		.amdhsa_exception_fp_ieee_overflow 0
		.amdhsa_exception_fp_ieee_underflow 0
		.amdhsa_exception_fp_ieee_inexact 0
		.amdhsa_exception_int_div_zero 0
	.end_amdhsa_kernel
	.section	.text._ZL13mul_mat_vec_qIL9ggml_type8ELi3ELb0ELb0EEvPKvS2_PKi31ggml_cuda_mm_fusion_args_devicePfj15HIP_vector_typeIjLj3EEjjjS8_jjjS8_jjjj,"axG",@progbits,_ZL13mul_mat_vec_qIL9ggml_type8ELi3ELb0ELb0EEvPKvS2_PKi31ggml_cuda_mm_fusion_args_devicePfj15HIP_vector_typeIjLj3EEjjjS8_jjjS8_jjjj,comdat
.Lfunc_end66:
	.size	_ZL13mul_mat_vec_qIL9ggml_type8ELi3ELb0ELb0EEvPKvS2_PKi31ggml_cuda_mm_fusion_args_devicePfj15HIP_vector_typeIjLj3EEjjjS8_jjjS8_jjjj, .Lfunc_end66-_ZL13mul_mat_vec_qIL9ggml_type8ELi3ELb0ELb0EEvPKvS2_PKi31ggml_cuda_mm_fusion_args_devicePfj15HIP_vector_typeIjLj3EEjjjS8_jjjS8_jjjj
                                        ; -- End function
	.set _ZL13mul_mat_vec_qIL9ggml_type8ELi3ELb0ELb0EEvPKvS2_PKi31ggml_cuda_mm_fusion_args_devicePfj15HIP_vector_typeIjLj3EEjjjS8_jjjS8_jjjj.num_vgpr, 27
	.set _ZL13mul_mat_vec_qIL9ggml_type8ELi3ELb0ELb0EEvPKvS2_PKi31ggml_cuda_mm_fusion_args_devicePfj15HIP_vector_typeIjLj3EEjjjS8_jjjS8_jjjj.num_agpr, 0
	.set _ZL13mul_mat_vec_qIL9ggml_type8ELi3ELb0ELb0EEvPKvS2_PKi31ggml_cuda_mm_fusion_args_devicePfj15HIP_vector_typeIjLj3EEjjjS8_jjjS8_jjjj.numbered_sgpr, 26
	.set _ZL13mul_mat_vec_qIL9ggml_type8ELi3ELb0ELb0EEvPKvS2_PKi31ggml_cuda_mm_fusion_args_devicePfj15HIP_vector_typeIjLj3EEjjjS8_jjjS8_jjjj.num_named_barrier, 0
	.set _ZL13mul_mat_vec_qIL9ggml_type8ELi3ELb0ELb0EEvPKvS2_PKi31ggml_cuda_mm_fusion_args_devicePfj15HIP_vector_typeIjLj3EEjjjS8_jjjS8_jjjj.private_seg_size, 0
	.set _ZL13mul_mat_vec_qIL9ggml_type8ELi3ELb0ELb0EEvPKvS2_PKi31ggml_cuda_mm_fusion_args_devicePfj15HIP_vector_typeIjLj3EEjjjS8_jjjS8_jjjj.uses_vcc, 1
	.set _ZL13mul_mat_vec_qIL9ggml_type8ELi3ELb0ELb0EEvPKvS2_PKi31ggml_cuda_mm_fusion_args_devicePfj15HIP_vector_typeIjLj3EEjjjS8_jjjS8_jjjj.uses_flat_scratch, 0
	.set _ZL13mul_mat_vec_qIL9ggml_type8ELi3ELb0ELb0EEvPKvS2_PKi31ggml_cuda_mm_fusion_args_devicePfj15HIP_vector_typeIjLj3EEjjjS8_jjjS8_jjjj.has_dyn_sized_stack, 0
	.set _ZL13mul_mat_vec_qIL9ggml_type8ELi3ELb0ELb0EEvPKvS2_PKi31ggml_cuda_mm_fusion_args_devicePfj15HIP_vector_typeIjLj3EEjjjS8_jjjS8_jjjj.has_recursion, 0
	.set _ZL13mul_mat_vec_qIL9ggml_type8ELi3ELb0ELb0EEvPKvS2_PKi31ggml_cuda_mm_fusion_args_devicePfj15HIP_vector_typeIjLj3EEjjjS8_jjjS8_jjjj.has_indirect_call, 0
	.section	.AMDGPU.csdata,"",@progbits
; Kernel info:
; codeLenInByte = 1092
; TotalNumSgprs: 28
; NumVgprs: 27
; ScratchSize: 0
; MemoryBound: 0
; FloatMode: 240
; IeeeMode: 1
; LDSByteSize: 0 bytes/workgroup (compile time only)
; SGPRBlocks: 0
; VGPRBlocks: 3
; NumSGPRsForWavesPerEU: 28
; NumVGPRsForWavesPerEU: 27
; Occupancy: 16
; WaveLimiterHint : 0
; COMPUTE_PGM_RSRC2:SCRATCH_EN: 0
; COMPUTE_PGM_RSRC2:USER_SGPR: 6
; COMPUTE_PGM_RSRC2:TRAP_HANDLER: 0
; COMPUTE_PGM_RSRC2:TGID_X_EN: 1
; COMPUTE_PGM_RSRC2:TGID_Y_EN: 1
; COMPUTE_PGM_RSRC2:TGID_Z_EN: 1
; COMPUTE_PGM_RSRC2:TIDIG_COMP_CNT: 1
	.section	.text._ZL13mul_mat_vec_qIL9ggml_type8ELi4ELb0ELb0EEvPKvS2_PKi31ggml_cuda_mm_fusion_args_devicePfj15HIP_vector_typeIjLj3EEjjjS8_jjjS8_jjjj,"axG",@progbits,_ZL13mul_mat_vec_qIL9ggml_type8ELi4ELb0ELb0EEvPKvS2_PKi31ggml_cuda_mm_fusion_args_devicePfj15HIP_vector_typeIjLj3EEjjjS8_jjjS8_jjjj,comdat
	.globl	_ZL13mul_mat_vec_qIL9ggml_type8ELi4ELb0ELb0EEvPKvS2_PKi31ggml_cuda_mm_fusion_args_devicePfj15HIP_vector_typeIjLj3EEjjjS8_jjjS8_jjjj ; -- Begin function _ZL13mul_mat_vec_qIL9ggml_type8ELi4ELb0ELb0EEvPKvS2_PKi31ggml_cuda_mm_fusion_args_devicePfj15HIP_vector_typeIjLj3EEjjjS8_jjjS8_jjjj
	.p2align	8
	.type	_ZL13mul_mat_vec_qIL9ggml_type8ELi4ELb0ELb0EEvPKvS2_PKi31ggml_cuda_mm_fusion_args_devicePfj15HIP_vector_typeIjLj3EEjjjS8_jjjS8_jjjj,@function
_ZL13mul_mat_vec_qIL9ggml_type8ELi4ELb0ELb0EEvPKvS2_PKi31ggml_cuda_mm_fusion_args_devicePfj15HIP_vector_typeIjLj3EEjjjS8_jjjS8_jjjj: ; @_ZL13mul_mat_vec_qIL9ggml_type8ELi4ELb0ELb0EEvPKvS2_PKi31ggml_cuda_mm_fusion_args_devicePfj15HIP_vector_typeIjLj3EEjjjS8_jjjS8_jjjj
; %bb.0:
	s_clause 0x5
	s_load_dword s9, s[4:5], 0x40
	s_load_dwordx4 s[0:3], s[4:5], 0x50
	s_load_dword s24, s[4:5], 0x60
	s_load_dwordx4 s[12:15], s[4:5], 0x68
	;; [unrolled: 2-line block ×3, first 2 shown]
	v_lshl_or_b32 v2, v1, 5, v0
	v_mov_b32_e32 v4, 0
	v_mov_b32_e32 v5, 0
	;; [unrolled: 1-line block ×4, first 2 shown]
	v_lshrrev_b32_e32 v7, 2, v2
	s_waitcnt lgkmcnt(0)
	s_lshr_b32 s19, s9, 5
	s_mov_b32 s9, exec_lo
	v_cmpx_gt_u32_e64 s19, v7
	s_cbranch_execz .LBB67_4
; %bb.1:
	s_load_dwordx4 s[20:23], s[4:5], 0x0
	v_lshlrev_b32_e32 v3, 1, v0
	s_mul_i32 s10, s17, s8
	s_mul_i32 s11, s13, s7
	s_mul_hi_u32 s13, s15, s8
	s_mul_hi_u32 s15, s10, 36
	v_and_b32_e32 v5, 6, v3
	s_mul_i32 s10, s10, 36
	v_and_b32_e32 v3, 3, v0
	v_lshrrev_b32_e32 v2, 2, v2
	s_mul_hi_u32 s17, s11, 36
	s_mul_i32 s11, s11, 36
	s_mul_hi_u32 s3, s3, s7
	v_lshlrev_b32_e32 v6, 1, v5
	v_lshlrev_b32_e32 v9, 3, v3
	s_mul_i32 s0, s0, s6
	v_mov_b32_e32 v4, 0
	v_lshlrev_b32_e32 v11, 2, v5
	v_lshlrev_b32_e32 v10, 1, v6
	v_mov_b32_e32 v5, 0
	s_waitcnt lgkmcnt(0)
	s_add_u32 s10, s22, s10
	s_addc_u32 s15, s23, s15
	s_add_u32 s10, s10, s11
	s_addc_u32 s11, s15, s17
	s_add_i32 s3, s7, s3
	s_add_i32 s13, s8, s13
	s_lshr_b32 s3, s3, s24
	v_mad_u64_u32 v[2:3], null, v2, 36, s[10:11]
	s_lshr_b32 s13, s13, s25
	s_mul_i32 s3, s3, s12
	v_mov_b32_e32 v6, 0
	v_mov_b32_e32 v8, 0
	s_mul_i32 s12, s13, s16
	s_add_i32 s3, s3, s0
	s_mul_i32 s13, s1, 3
	s_add_i32 s0, s12, s3
	s_lshl_b32 s3, s1, 1
	s_mov_b32 s12, 0
.LBB67_2:                               ; =>This Inner Loop Header: Depth=1
	v_add_nc_u32_e32 v14, s0, v7
	v_add_nc_u32_e32 v16, s1, v7
	;; [unrolled: 1-line block ×4, first 2 shown]
	v_add_co_u32 v12, vcc_lo, v2, v9
	v_mad_i64_i32 v[14:15], null, v14, 34, s[20:21]
	v_mad_u64_u32 v[16:17], null, v16, 36, s[10:11]
	v_mad_u64_u32 v[18:19], null, v18, 36, s[10:11]
	;; [unrolled: 1-line block ×3, first 2 shown]
	v_add_co_ci_u32_e64 v13, null, 0, v3, vcc_lo
	v_add_co_u32 v22, vcc_lo, v14, v10
	v_add_co_ci_u32_e64 v23, null, 0, v15, vcc_lo
	v_add_co_u32 v24, vcc_lo, v16, v11
	;; [unrolled: 2-line block ×4, first 2 shown]
	s_clause 0x1
	global_load_dword v30, v[2:3], off
	global_load_dwordx2 v[12:13], v[12:13], off offset:4
	v_add_co_ci_u32_e64 v29, null, 0, v21, vcc_lo
	s_clause 0x1
	global_load_dwordx2 v[22:23], v[22:23], off offset:2
	global_load_ushort v31, v[14:15], off
	s_clause 0x5
	global_load_dword v32, v[18:19], off
	global_load_dword v33, v[16:17], off
	global_load_dwordx2 v[14:15], v[24:25], off offset:4
	global_load_dwordx2 v[16:17], v[26:27], off offset:4
	;; [unrolled: 1-line block ×3, first 2 shown]
	global_load_dword v20, v[20:21], off
	v_mov_b32_e32 v21, 0
	v_mov_b32_e32 v24, 0
	;; [unrolled: 1-line block ×4, first 2 shown]
	v_add_nc_u32_e32 v7, 8, v7
	v_add_co_u32 v2, vcc_lo, 0x120, v2
	v_add_co_ci_u32_e64 v3, null, 0, v3, vcc_lo
	v_cmp_le_u32_e32 vcc_lo, s19, v7
	s_or_b32 s12, vcc_lo, s12
	s_waitcnt vmcnt(6)
	v_cvt_f32_f16_e32 v28, v31
	v_cvt_f32_f16_e32 v27, v30
	v_dot4c_i32_i8 v21, v22, v12
	s_waitcnt vmcnt(3)
	v_dot4c_i32_i8 v24, v22, v14
	s_waitcnt vmcnt(2)
	;; [unrolled: 2-line block ×3, first 2 shown]
	v_dot4c_i32_i8 v26, v22, v18
	v_cvt_f32_f16_e32 v12, v33
	v_cvt_f32_f16_e32 v14, v32
	s_waitcnt vmcnt(0)
	v_cvt_f32_f16_e32 v16, v20
	v_dot4c_i32_i8 v21, v23, v13
	v_dot4c_i32_i8 v24, v23, v15
	v_dot4c_i32_i8 v25, v23, v17
	v_dot4c_i32_i8 v26, v23, v19
	v_mul_f32_e32 v13, v28, v27
	v_mul_f32_e32 v12, v28, v12
	;; [unrolled: 1-line block ×4, first 2 shown]
	v_cvt_f32_i32_e32 v16, v21
	v_cvt_f32_i32_e32 v17, v24
	;; [unrolled: 1-line block ×4, first 2 shown]
	v_fmac_f32_e32 v8, v13, v16
	v_fmac_f32_e32 v6, v12, v17
	;; [unrolled: 1-line block ×4, first 2 shown]
	s_andn2_b32 exec_lo, exec_lo, s12
	s_cbranch_execnz .LBB67_2
; %bb.3:
	s_or_b32 exec_lo, exec_lo, s12
.LBB67_4:
	s_or_b32 exec_lo, exec_lo, s9
	s_mov_b32 s1, 0
	; wave barrier
	buffer_gl0_inv
	s_mov_b32 s0, exec_lo
	v_cmpx_eq_u32_e32 0, v1
	s_cbranch_execz .LBB67_13
; %bb.5:
	v_mbcnt_lo_u32_b32 v9, -1, 0
	s_load_dwordx2 s[4:5], s[4:5], 0x38
	s_mul_i32 s0, s14, s7
	s_mul_i32 s3, s18, s8
	s_add_i32 s0, s0, s6
	v_xor_b32_e32 v1, 16, v9
	v_xor_b32_e32 v2, 8, v9
	s_add_i32 s0, s0, s3
	s_lshl_b64 s[0:1], s[0:1], 2
	v_cmp_gt_i32_e32 vcc_lo, 32, v1
	v_cndmask_b32_e32 v1, v9, v1, vcc_lo
	v_cmp_gt_i32_e32 vcc_lo, 32, v2
	v_lshlrev_b32_e32 v1, 2, v1
	v_cndmask_b32_e32 v2, v9, v2, vcc_lo
	s_waitcnt lgkmcnt(0)
	s_add_u32 s0, s4, s0
	s_addc_u32 s1, s5, s1
	ds_bpermute_b32 v3, v1, v8
	v_lshlrev_b32_e32 v2, 2, v2
	s_waitcnt lgkmcnt(0)
	v_add_f32_e32 v7, v8, v3
	v_xor_b32_e32 v3, 4, v9
	ds_bpermute_b32 v8, v2, v7
	v_cmp_gt_i32_e32 vcc_lo, 32, v3
	v_cndmask_b32_e32 v3, v9, v3, vcc_lo
	v_lshlrev_b32_e32 v3, 2, v3
	s_waitcnt lgkmcnt(0)
	v_add_f32_e32 v8, v7, v8
	v_xor_b32_e32 v7, 2, v9
	ds_bpermute_b32 v10, v3, v8
	v_cmp_gt_i32_e32 vcc_lo, 32, v7
	v_cndmask_b32_e32 v7, v9, v7, vcc_lo
	;; [unrolled: 7-line block ×3, first 2 shown]
	v_cmp_eq_u32_e32 vcc_lo, 0, v0
	v_lshlrev_b32_e32 v8, 2, v8
	s_waitcnt lgkmcnt(0)
	v_add_f32_e32 v9, v10, v11
	ds_bpermute_b32 v10, v8, v9
	s_and_saveexec_b32 s3, vcc_lo
	s_cbranch_execz .LBB67_7
; %bb.6:
	s_waitcnt lgkmcnt(0)
	v_add_f32_e32 v0, v9, v10
	v_mov_b32_e32 v9, 0
	global_store_dword v9, v0, s[0:1]
.LBB67_7:
	s_or_b32 exec_lo, exec_lo, s3
	ds_bpermute_b32 v0, v1, v6
	s_waitcnt lgkmcnt(0)
	v_add_f32_e32 v0, v6, v0
	ds_bpermute_b32 v6, v2, v0
	s_waitcnt lgkmcnt(0)
	v_add_f32_e32 v0, v0, v6
	;; [unrolled: 3-line block ×4, first 2 shown]
	ds_bpermute_b32 v6, v8, v0
	s_and_saveexec_b32 s4, vcc_lo
	s_cbranch_execz .LBB67_9
; %bb.8:
	s_mov_b32 s3, 0
	s_waitcnt lgkmcnt(0)
	v_add_f32_e32 v0, v0, v6
	s_lshl_b64 s[6:7], s[2:3], 2
	v_mov_b32_e32 v6, 0
	s_add_u32 s6, s0, s6
	s_addc_u32 s7, s1, s7
	global_store_dword v6, v0, s[6:7]
.LBB67_9:
	s_or_b32 exec_lo, exec_lo, s4
	ds_bpermute_b32 v0, v1, v5
	s_waitcnt lgkmcnt(0)
	v_add_f32_e32 v0, v5, v0
	ds_bpermute_b32 v5, v2, v0
	s_waitcnt lgkmcnt(0)
	v_add_f32_e32 v0, v0, v5
	;; [unrolled: 3-line block ×4, first 2 shown]
	ds_bpermute_b32 v5, v8, v0
	s_and_saveexec_b32 s3, vcc_lo
	s_cbranch_execz .LBB67_11
; %bb.10:
	s_lshl_b32 s4, s2, 1
	s_mov_b32 s5, 0
	s_waitcnt lgkmcnt(0)
	v_add_f32_e32 v0, v0, v5
	s_lshl_b64 s[4:5], s[4:5], 2
	v_mov_b32_e32 v5, 0
	s_add_u32 s4, s0, s4
	s_addc_u32 s5, s1, s5
	global_store_dword v5, v0, s[4:5]
.LBB67_11:
	s_or_b32 exec_lo, exec_lo, s3
	ds_bpermute_b32 v0, v1, v4
	s_waitcnt lgkmcnt(0)
	v_add_f32_e32 v0, v4, v0
	ds_bpermute_b32 v1, v2, v0
	s_waitcnt lgkmcnt(0)
	v_add_f32_e32 v0, v0, v1
	ds_bpermute_b32 v1, v3, v0
	s_waitcnt lgkmcnt(0)
	v_add_f32_e32 v0, v0, v1
	ds_bpermute_b32 v1, v7, v0
	s_waitcnt lgkmcnt(0)
	v_add_f32_e32 v0, v0, v1
	ds_bpermute_b32 v1, v8, v0
	s_and_b32 exec_lo, exec_lo, vcc_lo
	s_cbranch_execz .LBB67_13
; %bb.12:
	s_mul_i32 s2, s2, 3
	s_mov_b32 s3, 0
	s_waitcnt lgkmcnt(0)
	v_add_f32_e32 v0, v0, v1
	s_lshl_b64 s[2:3], s[2:3], 2
	v_mov_b32_e32 v1, 0
	s_add_u32 s0, s0, s2
	s_addc_u32 s1, s1, s3
	global_store_dword v1, v0, s[0:1]
.LBB67_13:
	s_endpgm
	.section	.rodata,"a",@progbits
	.p2align	6, 0x0
	.amdhsa_kernel _ZL13mul_mat_vec_qIL9ggml_type8ELi4ELb0ELb0EEvPKvS2_PKi31ggml_cuda_mm_fusion_args_devicePfj15HIP_vector_typeIjLj3EEjjjS8_jjjS8_jjjj
		.amdhsa_group_segment_fixed_size 0
		.amdhsa_private_segment_fixed_size 0
		.amdhsa_kernarg_size 144
		.amdhsa_user_sgpr_count 6
		.amdhsa_user_sgpr_private_segment_buffer 1
		.amdhsa_user_sgpr_dispatch_ptr 0
		.amdhsa_user_sgpr_queue_ptr 0
		.amdhsa_user_sgpr_kernarg_segment_ptr 1
		.amdhsa_user_sgpr_dispatch_id 0
		.amdhsa_user_sgpr_flat_scratch_init 0
		.amdhsa_user_sgpr_private_segment_size 0
		.amdhsa_wavefront_size32 1
		.amdhsa_uses_dynamic_stack 0
		.amdhsa_system_sgpr_private_segment_wavefront_offset 0
		.amdhsa_system_sgpr_workgroup_id_x 1
		.amdhsa_system_sgpr_workgroup_id_y 1
		.amdhsa_system_sgpr_workgroup_id_z 1
		.amdhsa_system_sgpr_workgroup_info 0
		.amdhsa_system_vgpr_workitem_id 1
		.amdhsa_next_free_vgpr 34
		.amdhsa_next_free_sgpr 26
		.amdhsa_reserve_vcc 1
		.amdhsa_reserve_flat_scratch 0
		.amdhsa_float_round_mode_32 0
		.amdhsa_float_round_mode_16_64 0
		.amdhsa_float_denorm_mode_32 3
		.amdhsa_float_denorm_mode_16_64 3
		.amdhsa_dx10_clamp 1
		.amdhsa_ieee_mode 1
		.amdhsa_fp16_overflow 0
		.amdhsa_workgroup_processor_mode 1
		.amdhsa_memory_ordered 1
		.amdhsa_forward_progress 1
		.amdhsa_shared_vgpr_count 0
		.amdhsa_exception_fp_ieee_invalid_op 0
		.amdhsa_exception_fp_denorm_src 0
		.amdhsa_exception_fp_ieee_div_zero 0
		.amdhsa_exception_fp_ieee_overflow 0
		.amdhsa_exception_fp_ieee_underflow 0
		.amdhsa_exception_fp_ieee_inexact 0
		.amdhsa_exception_int_div_zero 0
	.end_amdhsa_kernel
	.section	.text._ZL13mul_mat_vec_qIL9ggml_type8ELi4ELb0ELb0EEvPKvS2_PKi31ggml_cuda_mm_fusion_args_devicePfj15HIP_vector_typeIjLj3EEjjjS8_jjjS8_jjjj,"axG",@progbits,_ZL13mul_mat_vec_qIL9ggml_type8ELi4ELb0ELb0EEvPKvS2_PKi31ggml_cuda_mm_fusion_args_devicePfj15HIP_vector_typeIjLj3EEjjjS8_jjjS8_jjjj,comdat
.Lfunc_end67:
	.size	_ZL13mul_mat_vec_qIL9ggml_type8ELi4ELb0ELb0EEvPKvS2_PKi31ggml_cuda_mm_fusion_args_devicePfj15HIP_vector_typeIjLj3EEjjjS8_jjjS8_jjjj, .Lfunc_end67-_ZL13mul_mat_vec_qIL9ggml_type8ELi4ELb0ELb0EEvPKvS2_PKi31ggml_cuda_mm_fusion_args_devicePfj15HIP_vector_typeIjLj3EEjjjS8_jjjS8_jjjj
                                        ; -- End function
	.set _ZL13mul_mat_vec_qIL9ggml_type8ELi4ELb0ELb0EEvPKvS2_PKi31ggml_cuda_mm_fusion_args_devicePfj15HIP_vector_typeIjLj3EEjjjS8_jjjS8_jjjj.num_vgpr, 34
	.set _ZL13mul_mat_vec_qIL9ggml_type8ELi4ELb0ELb0EEvPKvS2_PKi31ggml_cuda_mm_fusion_args_devicePfj15HIP_vector_typeIjLj3EEjjjS8_jjjS8_jjjj.num_agpr, 0
	.set _ZL13mul_mat_vec_qIL9ggml_type8ELi4ELb0ELb0EEvPKvS2_PKi31ggml_cuda_mm_fusion_args_devicePfj15HIP_vector_typeIjLj3EEjjjS8_jjjS8_jjjj.numbered_sgpr, 26
	.set _ZL13mul_mat_vec_qIL9ggml_type8ELi4ELb0ELb0EEvPKvS2_PKi31ggml_cuda_mm_fusion_args_devicePfj15HIP_vector_typeIjLj3EEjjjS8_jjjS8_jjjj.num_named_barrier, 0
	.set _ZL13mul_mat_vec_qIL9ggml_type8ELi4ELb0ELb0EEvPKvS2_PKi31ggml_cuda_mm_fusion_args_devicePfj15HIP_vector_typeIjLj3EEjjjS8_jjjS8_jjjj.private_seg_size, 0
	.set _ZL13mul_mat_vec_qIL9ggml_type8ELi4ELb0ELb0EEvPKvS2_PKi31ggml_cuda_mm_fusion_args_devicePfj15HIP_vector_typeIjLj3EEjjjS8_jjjS8_jjjj.uses_vcc, 1
	.set _ZL13mul_mat_vec_qIL9ggml_type8ELi4ELb0ELb0EEvPKvS2_PKi31ggml_cuda_mm_fusion_args_devicePfj15HIP_vector_typeIjLj3EEjjjS8_jjjS8_jjjj.uses_flat_scratch, 0
	.set _ZL13mul_mat_vec_qIL9ggml_type8ELi4ELb0ELb0EEvPKvS2_PKi31ggml_cuda_mm_fusion_args_devicePfj15HIP_vector_typeIjLj3EEjjjS8_jjjS8_jjjj.has_dyn_sized_stack, 0
	.set _ZL13mul_mat_vec_qIL9ggml_type8ELi4ELb0ELb0EEvPKvS2_PKi31ggml_cuda_mm_fusion_args_devicePfj15HIP_vector_typeIjLj3EEjjjS8_jjjS8_jjjj.has_recursion, 0
	.set _ZL13mul_mat_vec_qIL9ggml_type8ELi4ELb0ELb0EEvPKvS2_PKi31ggml_cuda_mm_fusion_args_devicePfj15HIP_vector_typeIjLj3EEjjjS8_jjjS8_jjjj.has_indirect_call, 0
	.section	.AMDGPU.csdata,"",@progbits
; Kernel info:
; codeLenInByte = 1300
; TotalNumSgprs: 28
; NumVgprs: 34
; ScratchSize: 0
; MemoryBound: 0
; FloatMode: 240
; IeeeMode: 1
; LDSByteSize: 0 bytes/workgroup (compile time only)
; SGPRBlocks: 0
; VGPRBlocks: 4
; NumSGPRsForWavesPerEU: 28
; NumVGPRsForWavesPerEU: 34
; Occupancy: 16
; WaveLimiterHint : 0
; COMPUTE_PGM_RSRC2:SCRATCH_EN: 0
; COMPUTE_PGM_RSRC2:USER_SGPR: 6
; COMPUTE_PGM_RSRC2:TRAP_HANDLER: 0
; COMPUTE_PGM_RSRC2:TGID_X_EN: 1
; COMPUTE_PGM_RSRC2:TGID_Y_EN: 1
; COMPUTE_PGM_RSRC2:TGID_Z_EN: 1
; COMPUTE_PGM_RSRC2:TIDIG_COMP_CNT: 1
	.section	.text._ZL13mul_mat_vec_qIL9ggml_type8ELi5ELb0ELb0EEvPKvS2_PKi31ggml_cuda_mm_fusion_args_devicePfj15HIP_vector_typeIjLj3EEjjjS8_jjjS8_jjjj,"axG",@progbits,_ZL13mul_mat_vec_qIL9ggml_type8ELi5ELb0ELb0EEvPKvS2_PKi31ggml_cuda_mm_fusion_args_devicePfj15HIP_vector_typeIjLj3EEjjjS8_jjjS8_jjjj,comdat
	.globl	_ZL13mul_mat_vec_qIL9ggml_type8ELi5ELb0ELb0EEvPKvS2_PKi31ggml_cuda_mm_fusion_args_devicePfj15HIP_vector_typeIjLj3EEjjjS8_jjjS8_jjjj ; -- Begin function _ZL13mul_mat_vec_qIL9ggml_type8ELi5ELb0ELb0EEvPKvS2_PKi31ggml_cuda_mm_fusion_args_devicePfj15HIP_vector_typeIjLj3EEjjjS8_jjjS8_jjjj
	.p2align	8
	.type	_ZL13mul_mat_vec_qIL9ggml_type8ELi5ELb0ELb0EEvPKvS2_PKi31ggml_cuda_mm_fusion_args_devicePfj15HIP_vector_typeIjLj3EEjjjS8_jjjS8_jjjj,@function
_ZL13mul_mat_vec_qIL9ggml_type8ELi5ELb0ELb0EEvPKvS2_PKi31ggml_cuda_mm_fusion_args_devicePfj15HIP_vector_typeIjLj3EEjjjS8_jjjS8_jjjj: ; @_ZL13mul_mat_vec_qIL9ggml_type8ELi5ELb0ELb0EEvPKvS2_PKi31ggml_cuda_mm_fusion_args_devicePfj15HIP_vector_typeIjLj3EEjjjS8_jjjS8_jjjj
; %bb.0:
	s_clause 0x5
	s_load_dword s9, s[4:5], 0x40
	s_load_dwordx4 s[0:3], s[4:5], 0x50
	s_load_dword s24, s[4:5], 0x60
	s_load_dwordx4 s[12:15], s[4:5], 0x68
	;; [unrolled: 2-line block ×3, first 2 shown]
	v_lshl_or_b32 v2, v1, 5, v0
	v_mov_b32_e32 v4, 0
	v_mov_b32_e32 v5, 0
	;; [unrolled: 1-line block ×4, first 2 shown]
	v_lshrrev_b32_e32 v8, 2, v2
	v_mov_b32_e32 v9, 0
	s_waitcnt lgkmcnt(0)
	s_lshr_b32 s19, s9, 5
	s_mov_b32 s9, exec_lo
	v_cmpx_gt_u32_e64 s19, v8
	s_cbranch_execz .LBB68_4
; %bb.1:
	s_load_dwordx4 s[20:23], s[4:5], 0x0
	v_lshlrev_b32_e32 v3, 1, v0
	s_mul_i32 s10, s17, s8
	s_mul_i32 s11, s13, s7
	;; [unrolled: 1-line block ×3, first 2 shown]
	s_mul_hi_u32 s0, s3, s7
	s_mul_hi_u32 s3, s15, s8
	v_and_b32_e32 v5, 3, v0
	s_mul_hi_u32 s15, s10, 36
	v_and_b32_e32 v6, 6, v3
	s_mul_i32 s10, s10, 36
	v_lshrrev_b32_e32 v2, 2, v2
	s_mul_hi_u32 s17, s11, 36
	s_mul_i32 s11, s11, 36
	v_lshlrev_b32_e32 v10, 3, v5
	v_lshlrev_b32_e32 v5, 1, v6
	v_mov_b32_e32 v4, 0
	v_lshlrev_b32_e32 v12, 2, v6
	v_mov_b32_e32 v6, 0
	v_mov_b32_e32 v7, 0
	s_waitcnt lgkmcnt(0)
	s_add_u32 s10, s22, s10
	s_addc_u32 s15, s23, s15
	s_add_u32 s10, s10, s11
	s_addc_u32 s11, s15, s17
	s_add_i32 s15, s7, s0
	s_add_i32 s3, s8, s3
	s_lshr_b32 s15, s15, s24
	v_mad_u64_u32 v[2:3], null, v2, 36, s[10:11]
	s_lshr_b32 s3, s3, s25
	s_mul_i32 s12, s15, s12
	v_lshlrev_b32_e32 v11, 1, v5
	v_mov_b32_e32 v5, 0
	v_mov_b32_e32 v9, 0
	s_mul_i32 s3, s3, s16
	s_add_i32 s12, s12, s13
	s_lshl_b32 s0, s1, 1
	s_add_i32 s3, s3, s12
	s_mul_i32 s12, s1, 3
	s_lshl_b32 s15, s1, 2
	s_mov_b32 s13, 0
.LBB68_2:                               ; =>This Inner Loop Header: Depth=1
	v_add_nc_u32_e32 v15, s3, v8
	v_add_nc_u32_e32 v17, s1, v8
	;; [unrolled: 1-line block ×5, first 2 shown]
	v_mad_i64_i32 v[15:16], null, v15, 34, s[20:21]
	v_mad_u64_u32 v[17:18], null, v17, 36, s[10:11]
	v_mad_u64_u32 v[19:20], null, v19, 36, s[10:11]
	v_add_co_u32 v13, vcc_lo, v2, v10
	v_mad_u64_u32 v[21:22], null, v21, 36, s[10:11]
	v_add_co_ci_u32_e64 v14, null, 0, v3, vcc_lo
	v_mad_u64_u32 v[23:24], null, v23, 36, s[10:11]
	v_add_co_u32 v25, vcc_lo, v15, v11
	v_add_co_ci_u32_e64 v26, null, 0, v16, vcc_lo
	v_add_co_u32 v27, vcc_lo, v17, v12
	v_add_co_ci_u32_e64 v28, null, 0, v18, vcc_lo
	;; [unrolled: 2-line block ×3, first 2 shown]
	v_add_co_u32 v31, vcc_lo, v21, v12
	s_clause 0x1
	global_load_dword v35, v[2:3], off
	global_load_dwordx2 v[13:14], v[13:14], off offset:4
	v_add_co_ci_u32_e64 v32, null, 0, v22, vcc_lo
	v_add_co_u32 v33, vcc_lo, v23, v12
	v_add_co_ci_u32_e64 v34, null, 0, v24, vcc_lo
	s_clause 0x1
	global_load_dwordx2 v[25:26], v[25:26], off offset:2
	global_load_ushort v36, v[15:16], off
	s_clause 0x7
	global_load_dwordx2 v[15:16], v[27:28], off offset:4
	global_load_dwordx2 v[27:28], v[29:30], off offset:4
	global_load_dword v29, v[19:20], off
	global_load_dword v30, v[17:18], off
	global_load_dwordx2 v[17:18], v[31:32], off offset:4
	global_load_dwordx2 v[19:20], v[33:34], off offset:4
	global_load_dword v23, v[23:24], off
	global_load_dword v21, v[21:22], off
	v_mov_b32_e32 v22, 0
	v_mov_b32_e32 v24, 0
	;; [unrolled: 1-line block ×5, first 2 shown]
	v_add_nc_u32_e32 v8, 8, v8
	v_add_co_u32 v2, vcc_lo, 0x120, v2
	v_add_co_ci_u32_e64 v3, null, 0, v3, vcc_lo
	v_cmp_le_u32_e32 vcc_lo, s19, v8
	s_or_b32 s13, vcc_lo, s13
	s_waitcnt vmcnt(11)
	v_cvt_f32_f16_e32 v34, v35
	s_waitcnt vmcnt(9)
	v_dot4c_i32_i8 v22, v25, v13
	s_waitcnt vmcnt(7)
	v_dot4c_i32_i8 v24, v25, v15
	s_waitcnt vmcnt(6)
	v_dot4c_i32_i8 v31, v25, v27
	v_cvt_f32_f16_e32 v35, v36
	s_waitcnt vmcnt(3)
	v_dot4c_i32_i8 v32, v25, v17
	s_waitcnt vmcnt(2)
	v_dot4c_i32_i8 v33, v25, v19
	v_cvt_f32_f16_e32 v13, v30
	v_cvt_f32_f16_e32 v15, v29
	s_waitcnt vmcnt(0)
	v_cvt_f32_f16_e32 v21, v21
	v_cvt_f32_f16_e32 v17, v23
	v_dot4c_i32_i8 v22, v26, v14
	v_dot4c_i32_i8 v24, v26, v16
	v_dot4c_i32_i8 v31, v26, v28
	v_dot4c_i32_i8 v32, v26, v18
	v_dot4c_i32_i8 v33, v26, v20
	v_mul_f32_e32 v14, v35, v34
	v_mul_f32_e32 v13, v35, v13
	;; [unrolled: 1-line block ×5, first 2 shown]
	v_cvt_f32_i32_e32 v18, v22
	v_cvt_f32_i32_e32 v19, v24
	;; [unrolled: 1-line block ×5, first 2 shown]
	v_fmac_f32_e32 v9, v14, v18
	v_fmac_f32_e32 v7, v13, v19
	;; [unrolled: 1-line block ×5, first 2 shown]
	s_andn2_b32 exec_lo, exec_lo, s13
	s_cbranch_execnz .LBB68_2
; %bb.3:
	s_or_b32 exec_lo, exec_lo, s13
.LBB68_4:
	s_or_b32 exec_lo, exec_lo, s9
	s_mov_b32 s1, 0
	; wave barrier
	buffer_gl0_inv
	s_mov_b32 s0, exec_lo
	v_cmpx_eq_u32_e32 0, v1
	s_cbranch_execz .LBB68_15
; %bb.5:
	v_mbcnt_lo_u32_b32 v10, -1, 0
	s_load_dwordx2 s[4:5], s[4:5], 0x38
	s_mul_i32 s0, s14, s7
	s_mul_i32 s3, s18, s8
	s_add_i32 s0, s0, s6
	v_xor_b32_e32 v1, 16, v10
	v_xor_b32_e32 v2, 8, v10
	s_add_i32 s0, s0, s3
	s_lshl_b64 s[0:1], s[0:1], 2
	v_cmp_gt_i32_e32 vcc_lo, 32, v1
	v_cndmask_b32_e32 v1, v10, v1, vcc_lo
	v_cmp_gt_i32_e32 vcc_lo, 32, v2
	v_lshlrev_b32_e32 v1, 2, v1
	v_cndmask_b32_e32 v2, v10, v2, vcc_lo
	s_waitcnt lgkmcnt(0)
	s_add_u32 s0, s4, s0
	s_addc_u32 s1, s5, s1
	ds_bpermute_b32 v3, v1, v9
	v_lshlrev_b32_e32 v2, 2, v2
	s_waitcnt lgkmcnt(0)
	v_add_f32_e32 v8, v9, v3
	v_xor_b32_e32 v3, 4, v10
	ds_bpermute_b32 v9, v2, v8
	v_cmp_gt_i32_e32 vcc_lo, 32, v3
	v_cndmask_b32_e32 v3, v10, v3, vcc_lo
	v_lshlrev_b32_e32 v3, 2, v3
	s_waitcnt lgkmcnt(0)
	v_add_f32_e32 v9, v8, v9
	v_xor_b32_e32 v8, 2, v10
	ds_bpermute_b32 v11, v3, v9
	v_cmp_gt_i32_e32 vcc_lo, 32, v8
	v_cndmask_b32_e32 v8, v10, v8, vcc_lo
	;; [unrolled: 7-line block ×3, first 2 shown]
	v_cmp_eq_u32_e32 vcc_lo, 0, v0
	v_lshlrev_b32_e32 v9, 2, v9
	s_waitcnt lgkmcnt(0)
	v_add_f32_e32 v10, v11, v12
	ds_bpermute_b32 v11, v9, v10
	s_and_saveexec_b32 s3, vcc_lo
	s_cbranch_execz .LBB68_7
; %bb.6:
	s_waitcnt lgkmcnt(0)
	v_add_f32_e32 v0, v10, v11
	v_mov_b32_e32 v10, 0
	global_store_dword v10, v0, s[0:1]
.LBB68_7:
	s_or_b32 exec_lo, exec_lo, s3
	ds_bpermute_b32 v0, v1, v7
	s_waitcnt lgkmcnt(0)
	v_add_f32_e32 v0, v7, v0
	ds_bpermute_b32 v7, v2, v0
	s_waitcnt lgkmcnt(0)
	v_add_f32_e32 v0, v0, v7
	;; [unrolled: 3-line block ×4, first 2 shown]
	ds_bpermute_b32 v7, v9, v0
	s_and_saveexec_b32 s4, vcc_lo
	s_cbranch_execz .LBB68_9
; %bb.8:
	s_mov_b32 s3, 0
	s_waitcnt lgkmcnt(0)
	v_add_f32_e32 v0, v0, v7
	s_lshl_b64 s[6:7], s[2:3], 2
	v_mov_b32_e32 v7, 0
	s_add_u32 s6, s0, s6
	s_addc_u32 s7, s1, s7
	global_store_dword v7, v0, s[6:7]
.LBB68_9:
	s_or_b32 exec_lo, exec_lo, s4
	ds_bpermute_b32 v0, v1, v6
	s_waitcnt lgkmcnt(0)
	v_add_f32_e32 v0, v6, v0
	ds_bpermute_b32 v6, v2, v0
	s_waitcnt lgkmcnt(0)
	v_add_f32_e32 v0, v0, v6
	ds_bpermute_b32 v6, v3, v0
	s_waitcnt lgkmcnt(0)
	v_add_f32_e32 v0, v0, v6
	ds_bpermute_b32 v6, v8, v0
	s_waitcnt lgkmcnt(0)
	v_add_f32_e32 v0, v0, v6
	ds_bpermute_b32 v6, v9, v0
	s_and_saveexec_b32 s3, vcc_lo
	s_cbranch_execz .LBB68_11
; %bb.10:
	s_lshl_b32 s4, s2, 1
	s_mov_b32 s5, 0
	s_waitcnt lgkmcnt(0)
	v_add_f32_e32 v0, v0, v6
	s_lshl_b64 s[4:5], s[4:5], 2
	v_mov_b32_e32 v6, 0
	s_add_u32 s4, s0, s4
	s_addc_u32 s5, s1, s5
	global_store_dword v6, v0, s[4:5]
.LBB68_11:
	s_or_b32 exec_lo, exec_lo, s3
	ds_bpermute_b32 v0, v1, v5
	s_waitcnt lgkmcnt(0)
	v_add_f32_e32 v0, v5, v0
	ds_bpermute_b32 v5, v2, v0
	s_waitcnt lgkmcnt(0)
	v_add_f32_e32 v0, v0, v5
	;; [unrolled: 3-line block ×4, first 2 shown]
	ds_bpermute_b32 v5, v9, v0
	s_and_saveexec_b32 s3, vcc_lo
	s_cbranch_execz .LBB68_13
; %bb.12:
	s_mul_i32 s4, s2, 3
	s_mov_b32 s5, 0
	s_waitcnt lgkmcnt(0)
	v_add_f32_e32 v0, v0, v5
	s_lshl_b64 s[4:5], s[4:5], 2
	v_mov_b32_e32 v5, 0
	s_add_u32 s4, s0, s4
	s_addc_u32 s5, s1, s5
	global_store_dword v5, v0, s[4:5]
.LBB68_13:
	s_or_b32 exec_lo, exec_lo, s3
	ds_bpermute_b32 v0, v1, v4
	s_waitcnt lgkmcnt(0)
	v_add_f32_e32 v0, v4, v0
	ds_bpermute_b32 v1, v2, v0
	s_waitcnt lgkmcnt(0)
	v_add_f32_e32 v0, v0, v1
	;; [unrolled: 3-line block ×4, first 2 shown]
	ds_bpermute_b32 v1, v9, v0
	s_and_b32 exec_lo, exec_lo, vcc_lo
	s_cbranch_execz .LBB68_15
; %bb.14:
	s_lshl_b32 s2, s2, 2
	s_mov_b32 s3, 0
	s_waitcnt lgkmcnt(0)
	v_add_f32_e32 v0, v0, v1
	s_lshl_b64 s[2:3], s[2:3], 2
	v_mov_b32_e32 v1, 0
	s_add_u32 s0, s0, s2
	s_addc_u32 s1, s1, s3
	global_store_dword v1, v0, s[0:1]
.LBB68_15:
	s_endpgm
	.section	.rodata,"a",@progbits
	.p2align	6, 0x0
	.amdhsa_kernel _ZL13mul_mat_vec_qIL9ggml_type8ELi5ELb0ELb0EEvPKvS2_PKi31ggml_cuda_mm_fusion_args_devicePfj15HIP_vector_typeIjLj3EEjjjS8_jjjS8_jjjj
		.amdhsa_group_segment_fixed_size 0
		.amdhsa_private_segment_fixed_size 0
		.amdhsa_kernarg_size 144
		.amdhsa_user_sgpr_count 6
		.amdhsa_user_sgpr_private_segment_buffer 1
		.amdhsa_user_sgpr_dispatch_ptr 0
		.amdhsa_user_sgpr_queue_ptr 0
		.amdhsa_user_sgpr_kernarg_segment_ptr 1
		.amdhsa_user_sgpr_dispatch_id 0
		.amdhsa_user_sgpr_flat_scratch_init 0
		.amdhsa_user_sgpr_private_segment_size 0
		.amdhsa_wavefront_size32 1
		.amdhsa_uses_dynamic_stack 0
		.amdhsa_system_sgpr_private_segment_wavefront_offset 0
		.amdhsa_system_sgpr_workgroup_id_x 1
		.amdhsa_system_sgpr_workgroup_id_y 1
		.amdhsa_system_sgpr_workgroup_id_z 1
		.amdhsa_system_sgpr_workgroup_info 0
		.amdhsa_system_vgpr_workitem_id 1
		.amdhsa_next_free_vgpr 37
		.amdhsa_next_free_sgpr 26
		.amdhsa_reserve_vcc 1
		.amdhsa_reserve_flat_scratch 0
		.amdhsa_float_round_mode_32 0
		.amdhsa_float_round_mode_16_64 0
		.amdhsa_float_denorm_mode_32 3
		.amdhsa_float_denorm_mode_16_64 3
		.amdhsa_dx10_clamp 1
		.amdhsa_ieee_mode 1
		.amdhsa_fp16_overflow 0
		.amdhsa_workgroup_processor_mode 1
		.amdhsa_memory_ordered 1
		.amdhsa_forward_progress 1
		.amdhsa_shared_vgpr_count 0
		.amdhsa_exception_fp_ieee_invalid_op 0
		.amdhsa_exception_fp_denorm_src 0
		.amdhsa_exception_fp_ieee_div_zero 0
		.amdhsa_exception_fp_ieee_overflow 0
		.amdhsa_exception_fp_ieee_underflow 0
		.amdhsa_exception_fp_ieee_inexact 0
		.amdhsa_exception_int_div_zero 0
	.end_amdhsa_kernel
	.section	.text._ZL13mul_mat_vec_qIL9ggml_type8ELi5ELb0ELb0EEvPKvS2_PKi31ggml_cuda_mm_fusion_args_devicePfj15HIP_vector_typeIjLj3EEjjjS8_jjjS8_jjjj,"axG",@progbits,_ZL13mul_mat_vec_qIL9ggml_type8ELi5ELb0ELb0EEvPKvS2_PKi31ggml_cuda_mm_fusion_args_devicePfj15HIP_vector_typeIjLj3EEjjjS8_jjjS8_jjjj,comdat
.Lfunc_end68:
	.size	_ZL13mul_mat_vec_qIL9ggml_type8ELi5ELb0ELb0EEvPKvS2_PKi31ggml_cuda_mm_fusion_args_devicePfj15HIP_vector_typeIjLj3EEjjjS8_jjjS8_jjjj, .Lfunc_end68-_ZL13mul_mat_vec_qIL9ggml_type8ELi5ELb0ELb0EEvPKvS2_PKi31ggml_cuda_mm_fusion_args_devicePfj15HIP_vector_typeIjLj3EEjjjS8_jjjS8_jjjj
                                        ; -- End function
	.set _ZL13mul_mat_vec_qIL9ggml_type8ELi5ELb0ELb0EEvPKvS2_PKi31ggml_cuda_mm_fusion_args_devicePfj15HIP_vector_typeIjLj3EEjjjS8_jjjS8_jjjj.num_vgpr, 37
	.set _ZL13mul_mat_vec_qIL9ggml_type8ELi5ELb0ELb0EEvPKvS2_PKi31ggml_cuda_mm_fusion_args_devicePfj15HIP_vector_typeIjLj3EEjjjS8_jjjS8_jjjj.num_agpr, 0
	.set _ZL13mul_mat_vec_qIL9ggml_type8ELi5ELb0ELb0EEvPKvS2_PKi31ggml_cuda_mm_fusion_args_devicePfj15HIP_vector_typeIjLj3EEjjjS8_jjjS8_jjjj.numbered_sgpr, 26
	.set _ZL13mul_mat_vec_qIL9ggml_type8ELi5ELb0ELb0EEvPKvS2_PKi31ggml_cuda_mm_fusion_args_devicePfj15HIP_vector_typeIjLj3EEjjjS8_jjjS8_jjjj.num_named_barrier, 0
	.set _ZL13mul_mat_vec_qIL9ggml_type8ELi5ELb0ELb0EEvPKvS2_PKi31ggml_cuda_mm_fusion_args_devicePfj15HIP_vector_typeIjLj3EEjjjS8_jjjS8_jjjj.private_seg_size, 0
	.set _ZL13mul_mat_vec_qIL9ggml_type8ELi5ELb0ELb0EEvPKvS2_PKi31ggml_cuda_mm_fusion_args_devicePfj15HIP_vector_typeIjLj3EEjjjS8_jjjS8_jjjj.uses_vcc, 1
	.set _ZL13mul_mat_vec_qIL9ggml_type8ELi5ELb0ELb0EEvPKvS2_PKi31ggml_cuda_mm_fusion_args_devicePfj15HIP_vector_typeIjLj3EEjjjS8_jjjS8_jjjj.uses_flat_scratch, 0
	.set _ZL13mul_mat_vec_qIL9ggml_type8ELi5ELb0ELb0EEvPKvS2_PKi31ggml_cuda_mm_fusion_args_devicePfj15HIP_vector_typeIjLj3EEjjjS8_jjjS8_jjjj.has_dyn_sized_stack, 0
	.set _ZL13mul_mat_vec_qIL9ggml_type8ELi5ELb0ELb0EEvPKvS2_PKi31ggml_cuda_mm_fusion_args_devicePfj15HIP_vector_typeIjLj3EEjjjS8_jjjS8_jjjj.has_recursion, 0
	.set _ZL13mul_mat_vec_qIL9ggml_type8ELi5ELb0ELb0EEvPKvS2_PKi31ggml_cuda_mm_fusion_args_devicePfj15HIP_vector_typeIjLj3EEjjjS8_jjjS8_jjjj.has_indirect_call, 0
	.section	.AMDGPU.csdata,"",@progbits
; Kernel info:
; codeLenInByte = 1516
; TotalNumSgprs: 28
; NumVgprs: 37
; ScratchSize: 0
; MemoryBound: 0
; FloatMode: 240
; IeeeMode: 1
; LDSByteSize: 0 bytes/workgroup (compile time only)
; SGPRBlocks: 0
; VGPRBlocks: 4
; NumSGPRsForWavesPerEU: 28
; NumVGPRsForWavesPerEU: 37
; Occupancy: 16
; WaveLimiterHint : 0
; COMPUTE_PGM_RSRC2:SCRATCH_EN: 0
; COMPUTE_PGM_RSRC2:USER_SGPR: 6
; COMPUTE_PGM_RSRC2:TRAP_HANDLER: 0
; COMPUTE_PGM_RSRC2:TGID_X_EN: 1
; COMPUTE_PGM_RSRC2:TGID_Y_EN: 1
; COMPUTE_PGM_RSRC2:TGID_Z_EN: 1
; COMPUTE_PGM_RSRC2:TIDIG_COMP_CNT: 1
	.section	.text._ZL13mul_mat_vec_qIL9ggml_type8ELi6ELb0ELb0EEvPKvS2_PKi31ggml_cuda_mm_fusion_args_devicePfj15HIP_vector_typeIjLj3EEjjjS8_jjjS8_jjjj,"axG",@progbits,_ZL13mul_mat_vec_qIL9ggml_type8ELi6ELb0ELb0EEvPKvS2_PKi31ggml_cuda_mm_fusion_args_devicePfj15HIP_vector_typeIjLj3EEjjjS8_jjjS8_jjjj,comdat
	.globl	_ZL13mul_mat_vec_qIL9ggml_type8ELi6ELb0ELb0EEvPKvS2_PKi31ggml_cuda_mm_fusion_args_devicePfj15HIP_vector_typeIjLj3EEjjjS8_jjjS8_jjjj ; -- Begin function _ZL13mul_mat_vec_qIL9ggml_type8ELi6ELb0ELb0EEvPKvS2_PKi31ggml_cuda_mm_fusion_args_devicePfj15HIP_vector_typeIjLj3EEjjjS8_jjjS8_jjjj
	.p2align	8
	.type	_ZL13mul_mat_vec_qIL9ggml_type8ELi6ELb0ELb0EEvPKvS2_PKi31ggml_cuda_mm_fusion_args_devicePfj15HIP_vector_typeIjLj3EEjjjS8_jjjS8_jjjj,@function
_ZL13mul_mat_vec_qIL9ggml_type8ELi6ELb0ELb0EEvPKvS2_PKi31ggml_cuda_mm_fusion_args_devicePfj15HIP_vector_typeIjLj3EEjjjS8_jjjS8_jjjj: ; @_ZL13mul_mat_vec_qIL9ggml_type8ELi6ELb0ELb0EEvPKvS2_PKi31ggml_cuda_mm_fusion_args_devicePfj15HIP_vector_typeIjLj3EEjjjS8_jjjS8_jjjj
; %bb.0:
	s_clause 0x5
	s_load_dword s9, s[4:5], 0x40
	s_load_dwordx4 s[0:3], s[4:5], 0x50
	s_load_dword s24, s[4:5], 0x60
	s_load_dwordx4 s[12:15], s[4:5], 0x68
	;; [unrolled: 2-line block ×3, first 2 shown]
	v_lshl_or_b32 v2, v1, 5, v0
	v_mov_b32_e32 v4, 0
	v_mov_b32_e32 v5, 0
	;; [unrolled: 1-line block ×4, first 2 shown]
	v_lshrrev_b32_e32 v9, 2, v2
	v_mov_b32_e32 v8, 0
	v_mov_b32_e32 v10, 0
	s_waitcnt lgkmcnt(0)
	s_lshr_b32 s19, s9, 5
	s_mov_b32 s9, exec_lo
	v_cmpx_gt_u32_e64 s19, v9
	s_cbranch_execz .LBB69_4
; %bb.1:
	s_load_dwordx4 s[20:23], s[4:5], 0x0
	v_lshlrev_b32_e32 v3, 1, v0
	s_mul_i32 s10, s17, s8
	s_mul_i32 s11, s13, s7
	;; [unrolled: 1-line block ×3, first 2 shown]
	s_mul_hi_u32 s0, s3, s7
	s_mul_hi_u32 s3, s15, s8
	v_and_b32_e32 v5, 3, v0
	s_mul_hi_u32 s15, s10, 36
	v_and_b32_e32 v6, 6, v3
	s_mul_i32 s10, s10, 36
	v_lshrrev_b32_e32 v2, 2, v2
	s_mul_hi_u32 s17, s11, 36
	s_mul_i32 s11, s11, 36
	v_lshlrev_b32_e32 v11, 3, v5
	v_lshlrev_b32_e32 v5, 1, v6
	v_mov_b32_e32 v4, 0
	v_lshlrev_b32_e32 v13, 2, v6
	v_mov_b32_e32 v8, 0
	v_mov_b32_e32 v10, 0
	s_waitcnt lgkmcnt(0)
	s_add_u32 s10, s22, s10
	s_addc_u32 s15, s23, s15
	s_add_u32 s10, s10, s11
	s_addc_u32 s11, s15, s17
	s_add_i32 s15, s7, s0
	s_add_i32 s3, s8, s3
	s_lshr_b32 s15, s15, s24
	v_mad_u64_u32 v[2:3], null, v2, 36, s[10:11]
	s_lshr_b32 s3, s3, s25
	s_mul_i32 s12, s15, s12
	v_lshlrev_b32_e32 v12, 1, v5
	v_mov_b32_e32 v5, 0
	v_mov_b32_e32 v6, 0
	;; [unrolled: 1-line block ×3, first 2 shown]
	s_mul_i32 s3, s3, s16
	s_add_i32 s12, s12, s13
	s_lshl_b32 s0, s1, 1
	s_add_i32 s3, s3, s12
	s_mul_i32 s12, s1, 3
	s_lshl_b32 s13, s1, 2
	s_mul_i32 s16, s1, 5
	s_mov_b32 s15, 0
.LBB69_2:                               ; =>This Inner Loop Header: Depth=1
	v_add_nc_u32_e32 v16, s3, v9
	v_add_nc_u32_e32 v18, s1, v9
	;; [unrolled: 1-line block ×5, first 2 shown]
	v_mad_i64_i32 v[16:17], null, v16, 34, s[20:21]
	v_mad_u64_u32 v[18:19], null, v18, 36, s[10:11]
	v_mad_u64_u32 v[20:21], null, v20, 36, s[10:11]
	v_add_nc_u32_e32 v26, s16, v9
	v_add_co_u32 v14, vcc_lo, v2, v11
	v_mad_u64_u32 v[22:23], null, v22, 36, s[10:11]
	v_add_co_ci_u32_e64 v15, null, 0, v3, vcc_lo
	v_mad_u64_u32 v[24:25], null, v24, 36, s[10:11]
	v_add_co_u32 v28, vcc_lo, v16, v12
	v_mad_u64_u32 v[26:27], null, v26, 36, s[10:11]
	v_add_co_ci_u32_e64 v29, null, 0, v17, vcc_lo
	v_add_co_u32 v30, vcc_lo, v18, v13
	v_add_co_ci_u32_e64 v31, null, 0, v19, vcc_lo
	v_add_co_u32 v32, vcc_lo, v20, v13
	;; [unrolled: 2-line block ×5, first 2 shown]
	s_clause 0x1
	global_load_dword v40, v[2:3], off
	global_load_dwordx2 v[14:15], v[14:15], off offset:4
	v_add_co_ci_u32_e64 v39, null, 0, v27, vcc_lo
	s_clause 0x1
	global_load_dwordx2 v[28:29], v[28:29], off offset:2
	global_load_ushort v41, v[16:17], off
	s_clause 0x9
	global_load_dword v42, v[20:21], off
	global_load_dword v43, v[18:19], off
	global_load_dwordx2 v[16:17], v[30:31], off offset:4
	global_load_dwordx2 v[18:19], v[32:33], off offset:4
	global_load_dword v30, v[24:25], off
	global_load_dword v31, v[22:23], off
	global_load_dwordx2 v[20:21], v[34:35], off offset:4
	global_load_dwordx2 v[22:23], v[36:37], off offset:4
	;; [unrolled: 1-line block ×3, first 2 shown]
	global_load_dword v26, v[26:27], off
	v_mov_b32_e32 v27, 0
	v_mov_b32_e32 v32, 0
	;; [unrolled: 1-line block ×6, first 2 shown]
	v_add_nc_u32_e32 v9, 8, v9
	v_add_co_u32 v2, vcc_lo, 0x120, v2
	v_add_co_ci_u32_e64 v3, null, 0, v3, vcc_lo
	v_cmp_le_u32_e32 vcc_lo, s19, v9
	s_or_b32 s15, vcc_lo, s15
	s_waitcnt vmcnt(10)
	v_cvt_f32_f16_e32 v38, v41
	s_waitcnt vmcnt(7)
	v_dot4c_i32_i8 v32, v28, v16
	s_waitcnt vmcnt(6)
	v_dot4c_i32_i8 v33, v28, v18
	v_cvt_f32_f16_e32 v16, v42
	v_cvt_f32_f16_e32 v37, v40
	v_dot4c_i32_i8 v27, v28, v14
	s_waitcnt vmcnt(3)
	v_dot4c_i32_i8 v34, v28, v20
	s_waitcnt vmcnt(2)
	;; [unrolled: 2-line block ×3, first 2 shown]
	v_dot4c_i32_i8 v36, v28, v24
	v_cvt_f32_f16_e32 v14, v43
	v_cvt_f32_f16_e32 v18, v31
	;; [unrolled: 1-line block ×3, first 2 shown]
	s_waitcnt vmcnt(0)
	v_cvt_f32_f16_e32 v22, v26
	v_dot4c_i32_i8 v27, v29, v15
	v_dot4c_i32_i8 v32, v29, v17
	v_dot4c_i32_i8 v33, v29, v19
	v_dot4c_i32_i8 v34, v29, v21
	v_dot4c_i32_i8 v35, v29, v23
	v_dot4c_i32_i8 v36, v29, v25
	v_mul_f32_e32 v15, v38, v37
	v_mul_f32_e32 v14, v38, v14
	v_mul_f32_e32 v16, v38, v16
	v_mul_f32_e32 v17, v38, v18
	v_mul_f32_e32 v18, v38, v20
	v_mul_f32_e32 v19, v38, v22
	v_cvt_f32_i32_e32 v20, v27
	v_cvt_f32_i32_e32 v21, v32
	;; [unrolled: 1-line block ×6, first 2 shown]
	v_fmac_f32_e32 v10, v15, v20
	v_fmac_f32_e32 v8, v14, v21
	;; [unrolled: 1-line block ×6, first 2 shown]
	s_andn2_b32 exec_lo, exec_lo, s15
	s_cbranch_execnz .LBB69_2
; %bb.3:
	s_or_b32 exec_lo, exec_lo, s15
.LBB69_4:
	s_or_b32 exec_lo, exec_lo, s9
	s_mov_b32 s1, 0
	; wave barrier
	buffer_gl0_inv
	s_mov_b32 s0, exec_lo
	v_cmpx_eq_u32_e32 0, v1
	s_cbranch_execz .LBB69_17
; %bb.5:
	v_mbcnt_lo_u32_b32 v11, -1, 0
	s_load_dwordx2 s[4:5], s[4:5], 0x38
	s_mul_i32 s0, s14, s7
	s_mul_i32 s3, s18, s8
	s_add_i32 s0, s0, s6
	v_xor_b32_e32 v1, 16, v11
	v_xor_b32_e32 v2, 8, v11
	s_add_i32 s0, s0, s3
	s_lshl_b64 s[0:1], s[0:1], 2
	v_cmp_gt_i32_e32 vcc_lo, 32, v1
	v_cndmask_b32_e32 v1, v11, v1, vcc_lo
	v_cmp_gt_i32_e32 vcc_lo, 32, v2
	v_lshlrev_b32_e32 v1, 2, v1
	v_cndmask_b32_e32 v2, v11, v2, vcc_lo
	s_waitcnt lgkmcnt(0)
	s_add_u32 s0, s4, s0
	s_addc_u32 s1, s5, s1
	ds_bpermute_b32 v3, v1, v10
	v_lshlrev_b32_e32 v2, 2, v2
	s_waitcnt lgkmcnt(0)
	v_add_f32_e32 v9, v10, v3
	v_xor_b32_e32 v3, 4, v11
	ds_bpermute_b32 v10, v2, v9
	v_cmp_gt_i32_e32 vcc_lo, 32, v3
	v_cndmask_b32_e32 v3, v11, v3, vcc_lo
	v_lshlrev_b32_e32 v3, 2, v3
	s_waitcnt lgkmcnt(0)
	v_add_f32_e32 v10, v9, v10
	v_xor_b32_e32 v9, 2, v11
	ds_bpermute_b32 v12, v3, v10
	v_cmp_gt_i32_e32 vcc_lo, 32, v9
	v_cndmask_b32_e32 v9, v11, v9, vcc_lo
	;; [unrolled: 7-line block ×3, first 2 shown]
	v_cmp_eq_u32_e32 vcc_lo, 0, v0
	v_lshlrev_b32_e32 v10, 2, v10
	s_waitcnt lgkmcnt(0)
	v_add_f32_e32 v11, v12, v13
	ds_bpermute_b32 v12, v10, v11
	s_and_saveexec_b32 s3, vcc_lo
	s_cbranch_execz .LBB69_7
; %bb.6:
	s_waitcnt lgkmcnt(0)
	v_add_f32_e32 v0, v11, v12
	v_mov_b32_e32 v11, 0
	global_store_dword v11, v0, s[0:1]
.LBB69_7:
	s_or_b32 exec_lo, exec_lo, s3
	ds_bpermute_b32 v0, v1, v8
	s_waitcnt lgkmcnt(0)
	v_add_f32_e32 v0, v8, v0
	ds_bpermute_b32 v8, v2, v0
	s_waitcnt lgkmcnt(0)
	v_add_f32_e32 v0, v0, v8
	;; [unrolled: 3-line block ×4, first 2 shown]
	ds_bpermute_b32 v8, v10, v0
	s_and_saveexec_b32 s4, vcc_lo
	s_cbranch_execz .LBB69_9
; %bb.8:
	s_mov_b32 s3, 0
	s_waitcnt lgkmcnt(0)
	v_add_f32_e32 v0, v0, v8
	s_lshl_b64 s[6:7], s[2:3], 2
	v_mov_b32_e32 v8, 0
	s_add_u32 s6, s0, s6
	s_addc_u32 s7, s1, s7
	global_store_dword v8, v0, s[6:7]
.LBB69_9:
	s_or_b32 exec_lo, exec_lo, s4
	ds_bpermute_b32 v0, v1, v7
	s_waitcnt lgkmcnt(0)
	v_add_f32_e32 v0, v7, v0
	ds_bpermute_b32 v7, v2, v0
	s_waitcnt lgkmcnt(0)
	v_add_f32_e32 v0, v0, v7
	;; [unrolled: 3-line block ×4, first 2 shown]
	ds_bpermute_b32 v7, v10, v0
	s_and_saveexec_b32 s3, vcc_lo
	s_cbranch_execz .LBB69_11
; %bb.10:
	s_lshl_b32 s4, s2, 1
	s_mov_b32 s5, 0
	s_waitcnt lgkmcnt(0)
	v_add_f32_e32 v0, v0, v7
	s_lshl_b64 s[4:5], s[4:5], 2
	v_mov_b32_e32 v7, 0
	s_add_u32 s4, s0, s4
	s_addc_u32 s5, s1, s5
	global_store_dword v7, v0, s[4:5]
.LBB69_11:
	s_or_b32 exec_lo, exec_lo, s3
	ds_bpermute_b32 v0, v1, v6
	s_waitcnt lgkmcnt(0)
	v_add_f32_e32 v0, v6, v0
	ds_bpermute_b32 v6, v2, v0
	s_waitcnt lgkmcnt(0)
	v_add_f32_e32 v0, v0, v6
	;; [unrolled: 3-line block ×4, first 2 shown]
	ds_bpermute_b32 v6, v10, v0
	s_and_saveexec_b32 s3, vcc_lo
	s_cbranch_execz .LBB69_13
; %bb.12:
	s_mul_i32 s4, s2, 3
	s_mov_b32 s5, 0
	s_waitcnt lgkmcnt(0)
	v_add_f32_e32 v0, v0, v6
	s_lshl_b64 s[4:5], s[4:5], 2
	v_mov_b32_e32 v6, 0
	s_add_u32 s4, s0, s4
	s_addc_u32 s5, s1, s5
	global_store_dword v6, v0, s[4:5]
.LBB69_13:
	s_or_b32 exec_lo, exec_lo, s3
	ds_bpermute_b32 v0, v1, v5
	s_waitcnt lgkmcnt(0)
	v_add_f32_e32 v0, v5, v0
	ds_bpermute_b32 v5, v2, v0
	s_waitcnt lgkmcnt(0)
	v_add_f32_e32 v0, v0, v5
	ds_bpermute_b32 v5, v3, v0
	s_waitcnt lgkmcnt(0)
	v_add_f32_e32 v0, v0, v5
	ds_bpermute_b32 v5, v9, v0
	s_waitcnt lgkmcnt(0)
	v_add_f32_e32 v0, v0, v5
	ds_bpermute_b32 v5, v10, v0
	s_and_saveexec_b32 s3, vcc_lo
	s_cbranch_execz .LBB69_15
; %bb.14:
	s_lshl_b32 s4, s2, 2
	s_mov_b32 s5, 0
	s_waitcnt lgkmcnt(0)
	v_add_f32_e32 v0, v0, v5
	s_lshl_b64 s[4:5], s[4:5], 2
	v_mov_b32_e32 v5, 0
	s_add_u32 s4, s0, s4
	s_addc_u32 s5, s1, s5
	global_store_dword v5, v0, s[4:5]
.LBB69_15:
	s_or_b32 exec_lo, exec_lo, s3
	ds_bpermute_b32 v0, v1, v4
	s_waitcnt lgkmcnt(0)
	v_add_f32_e32 v0, v4, v0
	ds_bpermute_b32 v1, v2, v0
	s_waitcnt lgkmcnt(0)
	v_add_f32_e32 v0, v0, v1
	;; [unrolled: 3-line block ×4, first 2 shown]
	ds_bpermute_b32 v1, v10, v0
	s_and_b32 exec_lo, exec_lo, vcc_lo
	s_cbranch_execz .LBB69_17
; %bb.16:
	s_mul_i32 s2, s2, 5
	s_mov_b32 s3, 0
	s_waitcnt lgkmcnt(0)
	v_add_f32_e32 v0, v0, v1
	s_lshl_b64 s[2:3], s[2:3], 2
	v_mov_b32_e32 v1, 0
	s_add_u32 s0, s0, s2
	s_addc_u32 s1, s1, s3
	global_store_dword v1, v0, s[0:1]
.LBB69_17:
	s_endpgm
	.section	.rodata,"a",@progbits
	.p2align	6, 0x0
	.amdhsa_kernel _ZL13mul_mat_vec_qIL9ggml_type8ELi6ELb0ELb0EEvPKvS2_PKi31ggml_cuda_mm_fusion_args_devicePfj15HIP_vector_typeIjLj3EEjjjS8_jjjS8_jjjj
		.amdhsa_group_segment_fixed_size 0
		.amdhsa_private_segment_fixed_size 0
		.amdhsa_kernarg_size 144
		.amdhsa_user_sgpr_count 6
		.amdhsa_user_sgpr_private_segment_buffer 1
		.amdhsa_user_sgpr_dispatch_ptr 0
		.amdhsa_user_sgpr_queue_ptr 0
		.amdhsa_user_sgpr_kernarg_segment_ptr 1
		.amdhsa_user_sgpr_dispatch_id 0
		.amdhsa_user_sgpr_flat_scratch_init 0
		.amdhsa_user_sgpr_private_segment_size 0
		.amdhsa_wavefront_size32 1
		.amdhsa_uses_dynamic_stack 0
		.amdhsa_system_sgpr_private_segment_wavefront_offset 0
		.amdhsa_system_sgpr_workgroup_id_x 1
		.amdhsa_system_sgpr_workgroup_id_y 1
		.amdhsa_system_sgpr_workgroup_id_z 1
		.amdhsa_system_sgpr_workgroup_info 0
		.amdhsa_system_vgpr_workitem_id 1
		.amdhsa_next_free_vgpr 44
		.amdhsa_next_free_sgpr 26
		.amdhsa_reserve_vcc 1
		.amdhsa_reserve_flat_scratch 0
		.amdhsa_float_round_mode_32 0
		.amdhsa_float_round_mode_16_64 0
		.amdhsa_float_denorm_mode_32 3
		.amdhsa_float_denorm_mode_16_64 3
		.amdhsa_dx10_clamp 1
		.amdhsa_ieee_mode 1
		.amdhsa_fp16_overflow 0
		.amdhsa_workgroup_processor_mode 1
		.amdhsa_memory_ordered 1
		.amdhsa_forward_progress 1
		.amdhsa_shared_vgpr_count 0
		.amdhsa_exception_fp_ieee_invalid_op 0
		.amdhsa_exception_fp_denorm_src 0
		.amdhsa_exception_fp_ieee_div_zero 0
		.amdhsa_exception_fp_ieee_overflow 0
		.amdhsa_exception_fp_ieee_underflow 0
		.amdhsa_exception_fp_ieee_inexact 0
		.amdhsa_exception_int_div_zero 0
	.end_amdhsa_kernel
	.section	.text._ZL13mul_mat_vec_qIL9ggml_type8ELi6ELb0ELb0EEvPKvS2_PKi31ggml_cuda_mm_fusion_args_devicePfj15HIP_vector_typeIjLj3EEjjjS8_jjjS8_jjjj,"axG",@progbits,_ZL13mul_mat_vec_qIL9ggml_type8ELi6ELb0ELb0EEvPKvS2_PKi31ggml_cuda_mm_fusion_args_devicePfj15HIP_vector_typeIjLj3EEjjjS8_jjjS8_jjjj,comdat
.Lfunc_end69:
	.size	_ZL13mul_mat_vec_qIL9ggml_type8ELi6ELb0ELb0EEvPKvS2_PKi31ggml_cuda_mm_fusion_args_devicePfj15HIP_vector_typeIjLj3EEjjjS8_jjjS8_jjjj, .Lfunc_end69-_ZL13mul_mat_vec_qIL9ggml_type8ELi6ELb0ELb0EEvPKvS2_PKi31ggml_cuda_mm_fusion_args_devicePfj15HIP_vector_typeIjLj3EEjjjS8_jjjS8_jjjj
                                        ; -- End function
	.set _ZL13mul_mat_vec_qIL9ggml_type8ELi6ELb0ELb0EEvPKvS2_PKi31ggml_cuda_mm_fusion_args_devicePfj15HIP_vector_typeIjLj3EEjjjS8_jjjS8_jjjj.num_vgpr, 44
	.set _ZL13mul_mat_vec_qIL9ggml_type8ELi6ELb0ELb0EEvPKvS2_PKi31ggml_cuda_mm_fusion_args_devicePfj15HIP_vector_typeIjLj3EEjjjS8_jjjS8_jjjj.num_agpr, 0
	.set _ZL13mul_mat_vec_qIL9ggml_type8ELi6ELb0ELb0EEvPKvS2_PKi31ggml_cuda_mm_fusion_args_devicePfj15HIP_vector_typeIjLj3EEjjjS8_jjjS8_jjjj.numbered_sgpr, 26
	.set _ZL13mul_mat_vec_qIL9ggml_type8ELi6ELb0ELb0EEvPKvS2_PKi31ggml_cuda_mm_fusion_args_devicePfj15HIP_vector_typeIjLj3EEjjjS8_jjjS8_jjjj.num_named_barrier, 0
	.set _ZL13mul_mat_vec_qIL9ggml_type8ELi6ELb0ELb0EEvPKvS2_PKi31ggml_cuda_mm_fusion_args_devicePfj15HIP_vector_typeIjLj3EEjjjS8_jjjS8_jjjj.private_seg_size, 0
	.set _ZL13mul_mat_vec_qIL9ggml_type8ELi6ELb0ELb0EEvPKvS2_PKi31ggml_cuda_mm_fusion_args_devicePfj15HIP_vector_typeIjLj3EEjjjS8_jjjS8_jjjj.uses_vcc, 1
	.set _ZL13mul_mat_vec_qIL9ggml_type8ELi6ELb0ELb0EEvPKvS2_PKi31ggml_cuda_mm_fusion_args_devicePfj15HIP_vector_typeIjLj3EEjjjS8_jjjS8_jjjj.uses_flat_scratch, 0
	.set _ZL13mul_mat_vec_qIL9ggml_type8ELi6ELb0ELb0EEvPKvS2_PKi31ggml_cuda_mm_fusion_args_devicePfj15HIP_vector_typeIjLj3EEjjjS8_jjjS8_jjjj.has_dyn_sized_stack, 0
	.set _ZL13mul_mat_vec_qIL9ggml_type8ELi6ELb0ELb0EEvPKvS2_PKi31ggml_cuda_mm_fusion_args_devicePfj15HIP_vector_typeIjLj3EEjjjS8_jjjS8_jjjj.has_recursion, 0
	.set _ZL13mul_mat_vec_qIL9ggml_type8ELi6ELb0ELb0EEvPKvS2_PKi31ggml_cuda_mm_fusion_args_devicePfj15HIP_vector_typeIjLj3EEjjjS8_jjjS8_jjjj.has_indirect_call, 0
	.section	.AMDGPU.csdata,"",@progbits
; Kernel info:
; codeLenInByte = 1724
; TotalNumSgprs: 28
; NumVgprs: 44
; ScratchSize: 0
; MemoryBound: 0
; FloatMode: 240
; IeeeMode: 1
; LDSByteSize: 0 bytes/workgroup (compile time only)
; SGPRBlocks: 0
; VGPRBlocks: 5
; NumSGPRsForWavesPerEU: 28
; NumVGPRsForWavesPerEU: 44
; Occupancy: 16
; WaveLimiterHint : 0
; COMPUTE_PGM_RSRC2:SCRATCH_EN: 0
; COMPUTE_PGM_RSRC2:USER_SGPR: 6
; COMPUTE_PGM_RSRC2:TRAP_HANDLER: 0
; COMPUTE_PGM_RSRC2:TGID_X_EN: 1
; COMPUTE_PGM_RSRC2:TGID_Y_EN: 1
; COMPUTE_PGM_RSRC2:TGID_Z_EN: 1
; COMPUTE_PGM_RSRC2:TIDIG_COMP_CNT: 1
	.section	.text._ZL13mul_mat_vec_qIL9ggml_type8ELi7ELb0ELb0EEvPKvS2_PKi31ggml_cuda_mm_fusion_args_devicePfj15HIP_vector_typeIjLj3EEjjjS8_jjjS8_jjjj,"axG",@progbits,_ZL13mul_mat_vec_qIL9ggml_type8ELi7ELb0ELb0EEvPKvS2_PKi31ggml_cuda_mm_fusion_args_devicePfj15HIP_vector_typeIjLj3EEjjjS8_jjjS8_jjjj,comdat
	.globl	_ZL13mul_mat_vec_qIL9ggml_type8ELi7ELb0ELb0EEvPKvS2_PKi31ggml_cuda_mm_fusion_args_devicePfj15HIP_vector_typeIjLj3EEjjjS8_jjjS8_jjjj ; -- Begin function _ZL13mul_mat_vec_qIL9ggml_type8ELi7ELb0ELb0EEvPKvS2_PKi31ggml_cuda_mm_fusion_args_devicePfj15HIP_vector_typeIjLj3EEjjjS8_jjjS8_jjjj
	.p2align	8
	.type	_ZL13mul_mat_vec_qIL9ggml_type8ELi7ELb0ELb0EEvPKvS2_PKi31ggml_cuda_mm_fusion_args_devicePfj15HIP_vector_typeIjLj3EEjjjS8_jjjS8_jjjj,@function
_ZL13mul_mat_vec_qIL9ggml_type8ELi7ELb0ELb0EEvPKvS2_PKi31ggml_cuda_mm_fusion_args_devicePfj15HIP_vector_typeIjLj3EEjjjS8_jjjS8_jjjj: ; @_ZL13mul_mat_vec_qIL9ggml_type8ELi7ELb0ELb0EEvPKvS2_PKi31ggml_cuda_mm_fusion_args_devicePfj15HIP_vector_typeIjLj3EEjjjS8_jjjS8_jjjj
; %bb.0:
	s_clause 0x5
	s_load_dword s9, s[4:5], 0x40
	s_load_dwordx4 s[0:3], s[4:5], 0x50
	s_load_dword s24, s[4:5], 0x60
	s_load_dwordx4 s[12:15], s[4:5], 0x68
	;; [unrolled: 2-line block ×3, first 2 shown]
	v_lshl_or_b32 v2, v1, 5, v0
	v_mov_b32_e32 v4, 0
	v_mov_b32_e32 v5, 0
	;; [unrolled: 1-line block ×4, first 2 shown]
	v_lshrrev_b32_e32 v10, 2, v2
	v_mov_b32_e32 v8, 0
	v_mov_b32_e32 v9, 0
	;; [unrolled: 1-line block ×3, first 2 shown]
	s_waitcnt lgkmcnt(0)
	s_lshr_b32 s19, s9, 5
	s_mov_b32 s9, exec_lo
	v_cmpx_gt_u32_e64 s19, v10
	s_cbranch_execz .LBB70_4
; %bb.1:
	s_load_dwordx4 s[20:23], s[4:5], 0x0
	v_lshlrev_b32_e32 v3, 1, v0
	s_mul_i32 s10, s17, s8
	s_mul_i32 s11, s13, s7
	s_mul_i32 s13, s0, s6
	s_mul_hi_u32 s0, s3, s7
	s_mul_hi_u32 s3, s15, s8
	v_and_b32_e32 v5, 3, v0
	s_mul_hi_u32 s15, s10, 36
	v_and_b32_e32 v6, 6, v3
	s_mul_i32 s10, s10, 36
	v_lshrrev_b32_e32 v2, 2, v2
	s_mul_hi_u32 s17, s11, 36
	s_mul_i32 s11, s11, 36
	v_lshlrev_b32_e32 v12, 3, v5
	v_lshlrev_b32_e32 v5, 1, v6
	v_mov_b32_e32 v4, 0
	v_lshlrev_b32_e32 v14, 2, v6
	v_mov_b32_e32 v6, 0
	v_mov_b32_e32 v8, 0
	s_waitcnt lgkmcnt(0)
	s_add_u32 s10, s22, s10
	s_addc_u32 s15, s23, s15
	s_add_u32 s10, s10, s11
	s_addc_u32 s11, s15, s17
	s_add_i32 s15, s7, s0
	s_add_i32 s3, s8, s3
	s_lshr_b32 s15, s15, s24
	v_mad_u64_u32 v[2:3], null, v2, 36, s[10:11]
	s_lshr_b32 s3, s3, s25
	s_mul_i32 s12, s15, s12
	v_lshlrev_b32_e32 v13, 1, v5
	v_mov_b32_e32 v5, 0
	v_mov_b32_e32 v9, 0
	v_mov_b32_e32 v11, 0
	v_mov_b32_e32 v7, 0
	s_mul_i32 s3, s3, s16
	s_add_i32 s12, s12, s13
	s_lshl_b32 s0, s1, 1
	s_add_i32 s3, s3, s12
	s_mul_i32 s12, s1, 3
	s_lshl_b32 s13, s1, 2
	s_mul_i32 s15, s1, 5
	s_mul_i32 s17, s1, 6
	s_mov_b32 s16, 0
.LBB70_2:                               ; =>This Inner Loop Header: Depth=1
	v_add_nc_u32_e32 v17, s3, v10
	v_add_nc_u32_e32 v19, s1, v10
	;; [unrolled: 1-line block ×5, first 2 shown]
	v_mad_i64_i32 v[17:18], null, v17, 34, s[20:21]
	v_mad_u64_u32 v[19:20], null, v19, 36, s[10:11]
	v_mad_u64_u32 v[21:22], null, v21, 36, s[10:11]
	v_add_nc_u32_e32 v27, s15, v10
	v_add_co_u32 v15, vcc_lo, v2, v12
	v_mad_u64_u32 v[23:24], null, v23, 36, s[10:11]
	v_add_nc_u32_e32 v29, s17, v10
	v_add_co_ci_u32_e64 v16, null, 0, v3, vcc_lo
	v_mad_u64_u32 v[25:26], null, v25, 36, s[10:11]
	v_add_co_u32 v31, vcc_lo, v17, v13
	v_mad_u64_u32 v[27:28], null, v27, 36, s[10:11]
	v_add_co_ci_u32_e64 v32, null, 0, v18, vcc_lo
	v_add_co_u32 v33, vcc_lo, v19, v14
	v_mad_u64_u32 v[29:30], null, v29, 36, s[10:11]
	v_add_co_ci_u32_e64 v34, null, 0, v20, vcc_lo
	v_add_co_u32 v35, vcc_lo, v21, v14
	v_add_co_ci_u32_e64 v36, null, 0, v22, vcc_lo
	v_add_co_u32 v37, vcc_lo, v23, v14
	;; [unrolled: 2-line block ×4, first 2 shown]
	s_clause 0x1
	global_load_dword v45, v[2:3], off
	global_load_dwordx2 v[15:16], v[15:16], off offset:4
	v_add_co_ci_u32_e64 v42, null, 0, v28, vcc_lo
	v_add_co_u32 v43, vcc_lo, v29, v14
	v_add_co_ci_u32_e64 v44, null, 0, v30, vcc_lo
	s_clause 0x1
	global_load_dwordx2 v[31:32], v[31:32], off offset:2
	global_load_ushort v46, v[17:18], off
	s_clause 0xb
	global_load_dwordx2 v[17:18], v[33:34], off offset:4
	global_load_dwordx2 v[33:34], v[35:36], off offset:4
	global_load_dword v35, v[21:22], off
	global_load_dword v36, v[19:20], off
	global_load_dwordx2 v[19:20], v[37:38], off offset:4
	global_load_dwordx2 v[21:22], v[39:40], off offset:4
	global_load_dword v37, v[25:26], off
	global_load_dword v38, v[23:24], off
	;; [unrolled: 4-line block ×3, first 2 shown]
	v_mov_b32_e32 v28, 0
	v_mov_b32_e32 v30, 0
	;; [unrolled: 1-line block ×7, first 2 shown]
	v_add_nc_u32_e32 v10, 8, v10
	v_add_co_u32 v2, vcc_lo, 0x120, v2
	v_add_co_ci_u32_e64 v3, null, 0, v3, vcc_lo
	v_cmp_le_u32_e32 vcc_lo, s19, v10
	s_or_b32 s16, vcc_lo, s16
	s_waitcnt vmcnt(11)
	v_dot4c_i32_i8 v30, v31, v17
	s_waitcnt vmcnt(10)
	v_dot4c_i32_i8 v39, v31, v33
	s_waitcnt vmcnt(9)
	v_cvt_f32_f16_e32 v17, v35
	v_cvt_f32_f16_e32 v44, v45
	v_dot4c_i32_i8 v28, v31, v15
	s_waitcnt vmcnt(7)
	v_dot4c_i32_i8 v40, v31, v19
	s_waitcnt vmcnt(6)
	v_dot4c_i32_i8 v41, v31, v21
	v_cvt_f32_f16_e32 v45, v46
	s_waitcnt vmcnt(3)
	v_dot4c_i32_i8 v42, v31, v23
	s_waitcnt vmcnt(2)
	v_dot4c_i32_i8 v43, v31, v25
	v_cvt_f32_f16_e32 v15, v36
	v_cvt_f32_f16_e32 v33, v38
	;; [unrolled: 1-line block ×3, first 2 shown]
	s_waitcnt vmcnt(0)
	v_cvt_f32_f16_e32 v21, v27
	v_cvt_f32_f16_e32 v23, v29
	v_dot4c_i32_i8 v28, v32, v16
	v_dot4c_i32_i8 v30, v32, v18
	;; [unrolled: 1-line block ×7, first 2 shown]
	v_mul_f32_e32 v16, v45, v44
	v_mul_f32_e32 v15, v45, v15
	;; [unrolled: 1-line block ×7, first 2 shown]
	v_cvt_f32_i32_e32 v22, v28
	v_cvt_f32_i32_e32 v23, v30
	;; [unrolled: 1-line block ×7, first 2 shown]
	v_fmac_f32_e32 v11, v16, v22
	v_fmac_f32_e32 v9, v15, v23
	;; [unrolled: 1-line block ×7, first 2 shown]
	s_andn2_b32 exec_lo, exec_lo, s16
	s_cbranch_execnz .LBB70_2
; %bb.3:
	s_or_b32 exec_lo, exec_lo, s16
.LBB70_4:
	s_or_b32 exec_lo, exec_lo, s9
	s_mov_b32 s1, 0
	; wave barrier
	buffer_gl0_inv
	s_mov_b32 s0, exec_lo
	v_cmpx_eq_u32_e32 0, v1
	s_cbranch_execz .LBB70_19
; %bb.5:
	v_mbcnt_lo_u32_b32 v12, -1, 0
	s_load_dwordx2 s[4:5], s[4:5], 0x38
	s_mul_i32 s0, s14, s7
	s_mul_i32 s3, s18, s8
	s_add_i32 s0, s0, s6
	v_xor_b32_e32 v1, 16, v12
	v_xor_b32_e32 v2, 8, v12
	s_add_i32 s0, s0, s3
	s_lshl_b64 s[0:1], s[0:1], 2
	v_cmp_gt_i32_e32 vcc_lo, 32, v1
	v_cndmask_b32_e32 v1, v12, v1, vcc_lo
	v_cmp_gt_i32_e32 vcc_lo, 32, v2
	v_lshlrev_b32_e32 v1, 2, v1
	v_cndmask_b32_e32 v2, v12, v2, vcc_lo
	s_waitcnt lgkmcnt(0)
	s_add_u32 s0, s4, s0
	s_addc_u32 s1, s5, s1
	ds_bpermute_b32 v3, v1, v11
	v_lshlrev_b32_e32 v2, 2, v2
	s_waitcnt lgkmcnt(0)
	v_add_f32_e32 v10, v11, v3
	v_xor_b32_e32 v3, 4, v12
	ds_bpermute_b32 v11, v2, v10
	v_cmp_gt_i32_e32 vcc_lo, 32, v3
	v_cndmask_b32_e32 v3, v12, v3, vcc_lo
	v_lshlrev_b32_e32 v3, 2, v3
	s_waitcnt lgkmcnt(0)
	v_add_f32_e32 v11, v10, v11
	v_xor_b32_e32 v10, 2, v12
	ds_bpermute_b32 v13, v3, v11
	v_cmp_gt_i32_e32 vcc_lo, 32, v10
	v_cndmask_b32_e32 v10, v12, v10, vcc_lo
	;; [unrolled: 7-line block ×3, first 2 shown]
	v_cmp_eq_u32_e32 vcc_lo, 0, v0
	v_lshlrev_b32_e32 v11, 2, v11
	s_waitcnt lgkmcnt(0)
	v_add_f32_e32 v12, v13, v14
	ds_bpermute_b32 v13, v11, v12
	s_and_saveexec_b32 s3, vcc_lo
	s_cbranch_execz .LBB70_7
; %bb.6:
	s_waitcnt lgkmcnt(0)
	v_add_f32_e32 v0, v12, v13
	v_mov_b32_e32 v12, 0
	global_store_dword v12, v0, s[0:1]
.LBB70_7:
	s_or_b32 exec_lo, exec_lo, s3
	ds_bpermute_b32 v0, v1, v9
	s_waitcnt lgkmcnt(0)
	v_add_f32_e32 v0, v9, v0
	ds_bpermute_b32 v9, v2, v0
	s_waitcnt lgkmcnt(0)
	v_add_f32_e32 v0, v0, v9
	;; [unrolled: 3-line block ×4, first 2 shown]
	ds_bpermute_b32 v9, v11, v0
	s_and_saveexec_b32 s4, vcc_lo
	s_cbranch_execz .LBB70_9
; %bb.8:
	s_mov_b32 s3, 0
	s_waitcnt lgkmcnt(0)
	v_add_f32_e32 v0, v0, v9
	s_lshl_b64 s[6:7], s[2:3], 2
	v_mov_b32_e32 v9, 0
	s_add_u32 s6, s0, s6
	s_addc_u32 s7, s1, s7
	global_store_dword v9, v0, s[6:7]
.LBB70_9:
	s_or_b32 exec_lo, exec_lo, s4
	ds_bpermute_b32 v0, v1, v8
	s_waitcnt lgkmcnt(0)
	v_add_f32_e32 v0, v8, v0
	ds_bpermute_b32 v8, v2, v0
	s_waitcnt lgkmcnt(0)
	v_add_f32_e32 v0, v0, v8
	;; [unrolled: 3-line block ×4, first 2 shown]
	ds_bpermute_b32 v8, v11, v0
	s_and_saveexec_b32 s3, vcc_lo
	s_cbranch_execz .LBB70_11
; %bb.10:
	s_lshl_b32 s4, s2, 1
	s_mov_b32 s5, 0
	s_waitcnt lgkmcnt(0)
	v_add_f32_e32 v0, v0, v8
	s_lshl_b64 s[4:5], s[4:5], 2
	v_mov_b32_e32 v8, 0
	s_add_u32 s4, s0, s4
	s_addc_u32 s5, s1, s5
	global_store_dword v8, v0, s[4:5]
.LBB70_11:
	s_or_b32 exec_lo, exec_lo, s3
	ds_bpermute_b32 v0, v1, v7
	s_waitcnt lgkmcnt(0)
	v_add_f32_e32 v0, v7, v0
	ds_bpermute_b32 v7, v2, v0
	s_waitcnt lgkmcnt(0)
	v_add_f32_e32 v0, v0, v7
	;; [unrolled: 3-line block ×4, first 2 shown]
	ds_bpermute_b32 v7, v11, v0
	s_and_saveexec_b32 s3, vcc_lo
	s_cbranch_execz .LBB70_13
; %bb.12:
	s_mul_i32 s4, s2, 3
	s_mov_b32 s5, 0
	s_waitcnt lgkmcnt(0)
	v_add_f32_e32 v0, v0, v7
	s_lshl_b64 s[4:5], s[4:5], 2
	v_mov_b32_e32 v7, 0
	s_add_u32 s4, s0, s4
	s_addc_u32 s5, s1, s5
	global_store_dword v7, v0, s[4:5]
.LBB70_13:
	s_or_b32 exec_lo, exec_lo, s3
	ds_bpermute_b32 v0, v1, v6
	s_waitcnt lgkmcnt(0)
	v_add_f32_e32 v0, v6, v0
	ds_bpermute_b32 v6, v2, v0
	s_waitcnt lgkmcnt(0)
	v_add_f32_e32 v0, v0, v6
	ds_bpermute_b32 v6, v3, v0
	s_waitcnt lgkmcnt(0)
	v_add_f32_e32 v0, v0, v6
	ds_bpermute_b32 v6, v10, v0
	s_waitcnt lgkmcnt(0)
	v_add_f32_e32 v0, v0, v6
	ds_bpermute_b32 v6, v11, v0
	s_and_saveexec_b32 s3, vcc_lo
	s_cbranch_execz .LBB70_15
; %bb.14:
	s_lshl_b32 s4, s2, 2
	s_mov_b32 s5, 0
	s_waitcnt lgkmcnt(0)
	v_add_f32_e32 v0, v0, v6
	s_lshl_b64 s[4:5], s[4:5], 2
	v_mov_b32_e32 v6, 0
	s_add_u32 s4, s0, s4
	s_addc_u32 s5, s1, s5
	global_store_dword v6, v0, s[4:5]
.LBB70_15:
	s_or_b32 exec_lo, exec_lo, s3
	ds_bpermute_b32 v0, v1, v5
	s_waitcnt lgkmcnt(0)
	v_add_f32_e32 v0, v5, v0
	ds_bpermute_b32 v5, v2, v0
	s_waitcnt lgkmcnt(0)
	v_add_f32_e32 v0, v0, v5
	;; [unrolled: 3-line block ×4, first 2 shown]
	ds_bpermute_b32 v5, v11, v0
	s_and_saveexec_b32 s3, vcc_lo
	s_cbranch_execz .LBB70_17
; %bb.16:
	s_mul_i32 s4, s2, 5
	s_mov_b32 s5, 0
	s_waitcnt lgkmcnt(0)
	v_add_f32_e32 v0, v0, v5
	s_lshl_b64 s[4:5], s[4:5], 2
	v_mov_b32_e32 v5, 0
	s_add_u32 s4, s0, s4
	s_addc_u32 s5, s1, s5
	global_store_dword v5, v0, s[4:5]
.LBB70_17:
	s_or_b32 exec_lo, exec_lo, s3
	ds_bpermute_b32 v0, v1, v4
	s_waitcnt lgkmcnt(0)
	v_add_f32_e32 v0, v4, v0
	ds_bpermute_b32 v1, v2, v0
	s_waitcnt lgkmcnt(0)
	v_add_f32_e32 v0, v0, v1
	;; [unrolled: 3-line block ×4, first 2 shown]
	ds_bpermute_b32 v1, v11, v0
	s_and_b32 exec_lo, exec_lo, vcc_lo
	s_cbranch_execz .LBB70_19
; %bb.18:
	s_mul_i32 s2, s2, 6
	s_mov_b32 s3, 0
	s_waitcnt lgkmcnt(0)
	v_add_f32_e32 v0, v0, v1
	s_lshl_b64 s[2:3], s[2:3], 2
	v_mov_b32_e32 v1, 0
	s_add_u32 s0, s0, s2
	s_addc_u32 s1, s1, s3
	global_store_dword v1, v0, s[0:1]
.LBB70_19:
	s_endpgm
	.section	.rodata,"a",@progbits
	.p2align	6, 0x0
	.amdhsa_kernel _ZL13mul_mat_vec_qIL9ggml_type8ELi7ELb0ELb0EEvPKvS2_PKi31ggml_cuda_mm_fusion_args_devicePfj15HIP_vector_typeIjLj3EEjjjS8_jjjS8_jjjj
		.amdhsa_group_segment_fixed_size 0
		.amdhsa_private_segment_fixed_size 0
		.amdhsa_kernarg_size 144
		.amdhsa_user_sgpr_count 6
		.amdhsa_user_sgpr_private_segment_buffer 1
		.amdhsa_user_sgpr_dispatch_ptr 0
		.amdhsa_user_sgpr_queue_ptr 0
		.amdhsa_user_sgpr_kernarg_segment_ptr 1
		.amdhsa_user_sgpr_dispatch_id 0
		.amdhsa_user_sgpr_flat_scratch_init 0
		.amdhsa_user_sgpr_private_segment_size 0
		.amdhsa_wavefront_size32 1
		.amdhsa_uses_dynamic_stack 0
		.amdhsa_system_sgpr_private_segment_wavefront_offset 0
		.amdhsa_system_sgpr_workgroup_id_x 1
		.amdhsa_system_sgpr_workgroup_id_y 1
		.amdhsa_system_sgpr_workgroup_id_z 1
		.amdhsa_system_sgpr_workgroup_info 0
		.amdhsa_system_vgpr_workitem_id 1
		.amdhsa_next_free_vgpr 47
		.amdhsa_next_free_sgpr 26
		.amdhsa_reserve_vcc 1
		.amdhsa_reserve_flat_scratch 0
		.amdhsa_float_round_mode_32 0
		.amdhsa_float_round_mode_16_64 0
		.amdhsa_float_denorm_mode_32 3
		.amdhsa_float_denorm_mode_16_64 3
		.amdhsa_dx10_clamp 1
		.amdhsa_ieee_mode 1
		.amdhsa_fp16_overflow 0
		.amdhsa_workgroup_processor_mode 1
		.amdhsa_memory_ordered 1
		.amdhsa_forward_progress 1
		.amdhsa_shared_vgpr_count 0
		.amdhsa_exception_fp_ieee_invalid_op 0
		.amdhsa_exception_fp_denorm_src 0
		.amdhsa_exception_fp_ieee_div_zero 0
		.amdhsa_exception_fp_ieee_overflow 0
		.amdhsa_exception_fp_ieee_underflow 0
		.amdhsa_exception_fp_ieee_inexact 0
		.amdhsa_exception_int_div_zero 0
	.end_amdhsa_kernel
	.section	.text._ZL13mul_mat_vec_qIL9ggml_type8ELi7ELb0ELb0EEvPKvS2_PKi31ggml_cuda_mm_fusion_args_devicePfj15HIP_vector_typeIjLj3EEjjjS8_jjjS8_jjjj,"axG",@progbits,_ZL13mul_mat_vec_qIL9ggml_type8ELi7ELb0ELb0EEvPKvS2_PKi31ggml_cuda_mm_fusion_args_devicePfj15HIP_vector_typeIjLj3EEjjjS8_jjjS8_jjjj,comdat
.Lfunc_end70:
	.size	_ZL13mul_mat_vec_qIL9ggml_type8ELi7ELb0ELb0EEvPKvS2_PKi31ggml_cuda_mm_fusion_args_devicePfj15HIP_vector_typeIjLj3EEjjjS8_jjjS8_jjjj, .Lfunc_end70-_ZL13mul_mat_vec_qIL9ggml_type8ELi7ELb0ELb0EEvPKvS2_PKi31ggml_cuda_mm_fusion_args_devicePfj15HIP_vector_typeIjLj3EEjjjS8_jjjS8_jjjj
                                        ; -- End function
	.set _ZL13mul_mat_vec_qIL9ggml_type8ELi7ELb0ELb0EEvPKvS2_PKi31ggml_cuda_mm_fusion_args_devicePfj15HIP_vector_typeIjLj3EEjjjS8_jjjS8_jjjj.num_vgpr, 47
	.set _ZL13mul_mat_vec_qIL9ggml_type8ELi7ELb0ELb0EEvPKvS2_PKi31ggml_cuda_mm_fusion_args_devicePfj15HIP_vector_typeIjLj3EEjjjS8_jjjS8_jjjj.num_agpr, 0
	.set _ZL13mul_mat_vec_qIL9ggml_type8ELi7ELb0ELb0EEvPKvS2_PKi31ggml_cuda_mm_fusion_args_devicePfj15HIP_vector_typeIjLj3EEjjjS8_jjjS8_jjjj.numbered_sgpr, 26
	.set _ZL13mul_mat_vec_qIL9ggml_type8ELi7ELb0ELb0EEvPKvS2_PKi31ggml_cuda_mm_fusion_args_devicePfj15HIP_vector_typeIjLj3EEjjjS8_jjjS8_jjjj.num_named_barrier, 0
	.set _ZL13mul_mat_vec_qIL9ggml_type8ELi7ELb0ELb0EEvPKvS2_PKi31ggml_cuda_mm_fusion_args_devicePfj15HIP_vector_typeIjLj3EEjjjS8_jjjS8_jjjj.private_seg_size, 0
	.set _ZL13mul_mat_vec_qIL9ggml_type8ELi7ELb0ELb0EEvPKvS2_PKi31ggml_cuda_mm_fusion_args_devicePfj15HIP_vector_typeIjLj3EEjjjS8_jjjS8_jjjj.uses_vcc, 1
	.set _ZL13mul_mat_vec_qIL9ggml_type8ELi7ELb0ELb0EEvPKvS2_PKi31ggml_cuda_mm_fusion_args_devicePfj15HIP_vector_typeIjLj3EEjjjS8_jjjS8_jjjj.uses_flat_scratch, 0
	.set _ZL13mul_mat_vec_qIL9ggml_type8ELi7ELb0ELb0EEvPKvS2_PKi31ggml_cuda_mm_fusion_args_devicePfj15HIP_vector_typeIjLj3EEjjjS8_jjjS8_jjjj.has_dyn_sized_stack, 0
	.set _ZL13mul_mat_vec_qIL9ggml_type8ELi7ELb0ELb0EEvPKvS2_PKi31ggml_cuda_mm_fusion_args_devicePfj15HIP_vector_typeIjLj3EEjjjS8_jjjS8_jjjj.has_recursion, 0
	.set _ZL13mul_mat_vec_qIL9ggml_type8ELi7ELb0ELb0EEvPKvS2_PKi31ggml_cuda_mm_fusion_args_devicePfj15HIP_vector_typeIjLj3EEjjjS8_jjjS8_jjjj.has_indirect_call, 0
	.section	.AMDGPU.csdata,"",@progbits
; Kernel info:
; codeLenInByte = 1936
; TotalNumSgprs: 28
; NumVgprs: 47
; ScratchSize: 0
; MemoryBound: 0
; FloatMode: 240
; IeeeMode: 1
; LDSByteSize: 0 bytes/workgroup (compile time only)
; SGPRBlocks: 0
; VGPRBlocks: 5
; NumSGPRsForWavesPerEU: 28
; NumVGPRsForWavesPerEU: 47
; Occupancy: 16
; WaveLimiterHint : 0
; COMPUTE_PGM_RSRC2:SCRATCH_EN: 0
; COMPUTE_PGM_RSRC2:USER_SGPR: 6
; COMPUTE_PGM_RSRC2:TRAP_HANDLER: 0
; COMPUTE_PGM_RSRC2:TGID_X_EN: 1
; COMPUTE_PGM_RSRC2:TGID_Y_EN: 1
; COMPUTE_PGM_RSRC2:TGID_Z_EN: 1
; COMPUTE_PGM_RSRC2:TIDIG_COMP_CNT: 1
	.section	.text._ZL13mul_mat_vec_qIL9ggml_type8ELi8ELb0ELb0EEvPKvS2_PKi31ggml_cuda_mm_fusion_args_devicePfj15HIP_vector_typeIjLj3EEjjjS8_jjjS8_jjjj,"axG",@progbits,_ZL13mul_mat_vec_qIL9ggml_type8ELi8ELb0ELb0EEvPKvS2_PKi31ggml_cuda_mm_fusion_args_devicePfj15HIP_vector_typeIjLj3EEjjjS8_jjjS8_jjjj,comdat
	.globl	_ZL13mul_mat_vec_qIL9ggml_type8ELi8ELb0ELb0EEvPKvS2_PKi31ggml_cuda_mm_fusion_args_devicePfj15HIP_vector_typeIjLj3EEjjjS8_jjjS8_jjjj ; -- Begin function _ZL13mul_mat_vec_qIL9ggml_type8ELi8ELb0ELb0EEvPKvS2_PKi31ggml_cuda_mm_fusion_args_devicePfj15HIP_vector_typeIjLj3EEjjjS8_jjjS8_jjjj
	.p2align	8
	.type	_ZL13mul_mat_vec_qIL9ggml_type8ELi8ELb0ELb0EEvPKvS2_PKi31ggml_cuda_mm_fusion_args_devicePfj15HIP_vector_typeIjLj3EEjjjS8_jjjS8_jjjj,@function
_ZL13mul_mat_vec_qIL9ggml_type8ELi8ELb0ELb0EEvPKvS2_PKi31ggml_cuda_mm_fusion_args_devicePfj15HIP_vector_typeIjLj3EEjjjS8_jjjS8_jjjj: ; @_ZL13mul_mat_vec_qIL9ggml_type8ELi8ELb0ELb0EEvPKvS2_PKi31ggml_cuda_mm_fusion_args_devicePfj15HIP_vector_typeIjLj3EEjjjS8_jjjS8_jjjj
; %bb.0:
	s_clause 0x5
	s_load_dword s9, s[4:5], 0x40
	s_load_dwordx4 s[0:3], s[4:5], 0x50
	s_load_dword s24, s[4:5], 0x60
	s_load_dwordx4 s[12:15], s[4:5], 0x68
	;; [unrolled: 2-line block ×3, first 2 shown]
	v_lshl_or_b32 v2, v1, 5, v0
	v_mov_b32_e32 v4, 0
	v_mov_b32_e32 v5, 0
	;; [unrolled: 1-line block ×4, first 2 shown]
	v_lshrrev_b32_e32 v11, 2, v2
	v_mov_b32_e32 v8, 0
	v_mov_b32_e32 v9, 0
	;; [unrolled: 1-line block ×4, first 2 shown]
	s_waitcnt lgkmcnt(0)
	s_lshr_b32 s19, s9, 5
	s_mov_b32 s9, exec_lo
	v_cmpx_gt_u32_e64 s19, v11
	s_cbranch_execz .LBB71_4
; %bb.1:
	s_load_dwordx4 s[20:23], s[4:5], 0x0
	v_lshlrev_b32_e32 v3, 1, v0
	s_mul_i32 s10, s17, s8
	s_mul_i32 s11, s13, s7
	;; [unrolled: 1-line block ×3, first 2 shown]
	s_mul_hi_u32 s0, s3, s7
	s_mul_hi_u32 s3, s15, s8
	v_and_b32_e32 v5, 3, v0
	s_mul_hi_u32 s15, s10, 36
	v_and_b32_e32 v6, 6, v3
	s_mul_i32 s10, s10, 36
	v_lshrrev_b32_e32 v2, 2, v2
	s_mul_hi_u32 s17, s11, 36
	s_mul_i32 s11, s11, 36
	v_lshlrev_b32_e32 v13, 3, v5
	v_lshlrev_b32_e32 v5, 1, v6
	v_mov_b32_e32 v4, 0
	v_lshlrev_b32_e32 v15, 2, v6
	v_mov_b32_e32 v6, 0
	v_mov_b32_e32 v7, 0
	s_waitcnt lgkmcnt(0)
	s_add_u32 s10, s22, s10
	s_addc_u32 s15, s23, s15
	s_add_u32 s10, s10, s11
	s_addc_u32 s11, s15, s17
	s_add_i32 s15, s7, s0
	s_add_i32 s3, s8, s3
	s_lshr_b32 s15, s15, s24
	v_mad_u64_u32 v[2:3], null, v2, 36, s[10:11]
	s_lshr_b32 s3, s3, s25
	s_mul_i32 s12, s15, s12
	v_lshlrev_b32_e32 v14, 1, v5
	v_mov_b32_e32 v5, 0
	v_mov_b32_e32 v8, 0
	;; [unrolled: 1-line block ×5, first 2 shown]
	s_mul_i32 s3, s3, s16
	s_add_i32 s12, s12, s13
	s_lshl_b32 s0, s1, 1
	s_add_i32 s3, s3, s12
	s_mul_i32 s12, s1, 3
	s_lshl_b32 s13, s1, 2
	s_mul_i32 s15, s1, 5
	s_mul_i32 s16, s1, 6
	;; [unrolled: 1-line block ×3, first 2 shown]
	s_mov_b32 s17, 0
.LBB71_2:                               ; =>This Inner Loop Header: Depth=1
	v_add_nc_u32_e32 v18, s3, v11
	v_add_nc_u32_e32 v20, s1, v11
	;; [unrolled: 1-line block ×5, first 2 shown]
	v_mad_i64_i32 v[18:19], null, v18, 34, s[20:21]
	v_mad_u64_u32 v[20:21], null, v20, 36, s[10:11]
	v_mad_u64_u32 v[22:23], null, v22, 36, s[10:11]
	v_add_nc_u32_e32 v28, s15, v11
	v_add_co_u32 v16, vcc_lo, v2, v13
	v_mad_u64_u32 v[24:25], null, v24, 36, s[10:11]
	v_add_nc_u32_e32 v30, s16, v11
	v_add_co_ci_u32_e64 v17, null, 0, v3, vcc_lo
	v_mad_u64_u32 v[26:27], null, v26, 36, s[10:11]
	v_add_co_u32 v34, vcc_lo, v18, v14
	v_add_nc_u32_e32 v32, s22, v11
	v_mad_u64_u32 v[28:29], null, v28, 36, s[10:11]
	v_add_co_ci_u32_e64 v35, null, 0, v19, vcc_lo
	v_add_co_u32 v36, vcc_lo, v20, v15
	v_mad_u64_u32 v[30:31], null, v30, 36, s[10:11]
	v_add_co_ci_u32_e64 v37, null, 0, v21, vcc_lo
	v_add_co_u32 v38, vcc_lo, v22, v15
	;; [unrolled: 3-line block ×3, first 2 shown]
	v_add_co_ci_u32_e64 v41, null, 0, v25, vcc_lo
	v_add_co_u32 v42, vcc_lo, v26, v15
	v_add_co_ci_u32_e64 v43, null, 0, v27, vcc_lo
	v_add_co_u32 v44, vcc_lo, v28, v15
	;; [unrolled: 2-line block ×4, first 2 shown]
	s_clause 0x1
	global_load_dword v50, v[2:3], off
	global_load_dwordx2 v[16:17], v[16:17], off offset:4
	v_add_co_ci_u32_e64 v49, null, 0, v33, vcc_lo
	s_clause 0x1
	global_load_dwordx2 v[34:35], v[34:35], off offset:2
	global_load_ushort v51, v[18:19], off
	s_clause 0xd
	global_load_dword v52, v[22:23], off
	global_load_dword v53, v[20:21], off
	global_load_dwordx2 v[18:19], v[36:37], off offset:4
	global_load_dwordx2 v[20:21], v[38:39], off offset:4
	global_load_dword v36, v[26:27], off
	global_load_dword v37, v[24:25], off
	global_load_dwordx2 v[22:23], v[40:41], off offset:4
	global_load_dwordx2 v[24:25], v[42:43], off offset:4
	;; [unrolled: 4-line block ×3, first 2 shown]
	global_load_dwordx2 v[30:31], v[48:49], off offset:4
	global_load_dword v32, v[32:33], off
	v_mov_b32_e32 v33, 0
	v_mov_b32_e32 v40, 0
	;; [unrolled: 1-line block ×8, first 2 shown]
	v_add_nc_u32_e32 v11, 8, v11
	v_add_co_u32 v2, vcc_lo, 0x120, v2
	v_add_co_ci_u32_e64 v3, null, 0, v3, vcc_lo
	v_cmp_le_u32_e32 vcc_lo, s19, v11
	s_or_b32 s17, vcc_lo, s17
	s_waitcnt vmcnt(14)
	v_cvt_f32_f16_e32 v48, v51
	s_waitcnt vmcnt(11)
	v_dot4c_i32_i8 v40, v34, v18
	s_waitcnt vmcnt(10)
	v_dot4c_i32_i8 v41, v34, v20
	v_cvt_f32_f16_e32 v18, v52
	s_waitcnt vmcnt(8)
	v_cvt_f32_f16_e32 v20, v37
	s_waitcnt vmcnt(7)
	v_dot4c_i32_i8 v42, v34, v22
	s_waitcnt vmcnt(6)
	v_dot4c_i32_i8 v43, v34, v24
	v_cvt_f32_f16_e32 v22, v36
	v_cvt_f32_f16_e32 v47, v50
	v_dot4c_i32_i8 v33, v34, v16
	s_waitcnt vmcnt(3)
	v_dot4c_i32_i8 v44, v34, v26
	s_waitcnt vmcnt(2)
	;; [unrolled: 2-line block ×3, first 2 shown]
	v_dot4c_i32_i8 v46, v34, v30
	v_cvt_f32_f16_e32 v16, v53
	v_cvt_f32_f16_e32 v24, v39
	;; [unrolled: 1-line block ×3, first 2 shown]
	s_waitcnt vmcnt(0)
	v_cvt_f32_f16_e32 v28, v32
	v_dot4c_i32_i8 v33, v35, v17
	v_dot4c_i32_i8 v40, v35, v19
	;; [unrolled: 1-line block ×8, first 2 shown]
	v_mul_f32_e32 v17, v48, v47
	v_mul_f32_e32 v16, v48, v16
	;; [unrolled: 1-line block ×8, first 2 shown]
	v_cvt_f32_i32_e32 v24, v33
	v_cvt_f32_i32_e32 v25, v40
	;; [unrolled: 1-line block ×8, first 2 shown]
	v_fmac_f32_e32 v12, v17, v24
	v_fmac_f32_e32 v10, v16, v25
	v_fmac_f32_e32 v9, v18, v26
	v_fmac_f32_e32 v8, v19, v27
	v_fmac_f32_e32 v7, v20, v28
	v_fmac_f32_e32 v6, v21, v29
	v_fmac_f32_e32 v5, v22, v30
	v_fmac_f32_e32 v4, v23, v31
	s_andn2_b32 exec_lo, exec_lo, s17
	s_cbranch_execnz .LBB71_2
; %bb.3:
	s_or_b32 exec_lo, exec_lo, s17
.LBB71_4:
	s_or_b32 exec_lo, exec_lo, s9
	s_mov_b32 s1, 0
	; wave barrier
	buffer_gl0_inv
	s_mov_b32 s0, exec_lo
	v_cmpx_eq_u32_e32 0, v1
	s_cbranch_execz .LBB71_21
; %bb.5:
	v_mbcnt_lo_u32_b32 v13, -1, 0
	s_load_dwordx2 s[4:5], s[4:5], 0x38
	s_mul_i32 s0, s14, s7
	s_mul_i32 s3, s18, s8
	s_add_i32 s0, s0, s6
	v_xor_b32_e32 v1, 16, v13
	v_xor_b32_e32 v2, 8, v13
	s_add_i32 s0, s0, s3
	s_lshl_b64 s[0:1], s[0:1], 2
	v_cmp_gt_i32_e32 vcc_lo, 32, v1
	v_cndmask_b32_e32 v1, v13, v1, vcc_lo
	v_cmp_gt_i32_e32 vcc_lo, 32, v2
	v_lshlrev_b32_e32 v1, 2, v1
	v_cndmask_b32_e32 v2, v13, v2, vcc_lo
	s_waitcnt lgkmcnt(0)
	s_add_u32 s0, s4, s0
	s_addc_u32 s1, s5, s1
	ds_bpermute_b32 v3, v1, v12
	v_lshlrev_b32_e32 v2, 2, v2
	s_waitcnt lgkmcnt(0)
	v_add_f32_e32 v11, v12, v3
	v_xor_b32_e32 v3, 4, v13
	ds_bpermute_b32 v12, v2, v11
	v_cmp_gt_i32_e32 vcc_lo, 32, v3
	v_cndmask_b32_e32 v3, v13, v3, vcc_lo
	v_lshlrev_b32_e32 v3, 2, v3
	s_waitcnt lgkmcnt(0)
	v_add_f32_e32 v12, v11, v12
	v_xor_b32_e32 v11, 2, v13
	ds_bpermute_b32 v14, v3, v12
	v_cmp_gt_i32_e32 vcc_lo, 32, v11
	v_cndmask_b32_e32 v11, v13, v11, vcc_lo
	;; [unrolled: 7-line block ×3, first 2 shown]
	v_cmp_eq_u32_e32 vcc_lo, 0, v0
	v_lshlrev_b32_e32 v12, 2, v12
	s_waitcnt lgkmcnt(0)
	v_add_f32_e32 v13, v14, v15
	ds_bpermute_b32 v14, v12, v13
	s_and_saveexec_b32 s3, vcc_lo
	s_cbranch_execz .LBB71_7
; %bb.6:
	s_waitcnt lgkmcnt(0)
	v_add_f32_e32 v0, v13, v14
	v_mov_b32_e32 v13, 0
	global_store_dword v13, v0, s[0:1]
.LBB71_7:
	s_or_b32 exec_lo, exec_lo, s3
	ds_bpermute_b32 v0, v1, v10
	s_waitcnt lgkmcnt(0)
	v_add_f32_e32 v0, v10, v0
	ds_bpermute_b32 v10, v2, v0
	s_waitcnt lgkmcnt(0)
	v_add_f32_e32 v0, v0, v10
	;; [unrolled: 3-line block ×4, first 2 shown]
	ds_bpermute_b32 v10, v12, v0
	s_and_saveexec_b32 s4, vcc_lo
	s_cbranch_execz .LBB71_9
; %bb.8:
	s_mov_b32 s3, 0
	s_waitcnt lgkmcnt(0)
	v_add_f32_e32 v0, v0, v10
	s_lshl_b64 s[6:7], s[2:3], 2
	v_mov_b32_e32 v10, 0
	s_add_u32 s6, s0, s6
	s_addc_u32 s7, s1, s7
	global_store_dword v10, v0, s[6:7]
.LBB71_9:
	s_or_b32 exec_lo, exec_lo, s4
	ds_bpermute_b32 v0, v1, v9
	s_waitcnt lgkmcnt(0)
	v_add_f32_e32 v0, v9, v0
	ds_bpermute_b32 v9, v2, v0
	s_waitcnt lgkmcnt(0)
	v_add_f32_e32 v0, v0, v9
	;; [unrolled: 3-line block ×4, first 2 shown]
	ds_bpermute_b32 v9, v12, v0
	s_and_saveexec_b32 s3, vcc_lo
	s_cbranch_execz .LBB71_11
; %bb.10:
	s_lshl_b32 s4, s2, 1
	s_mov_b32 s5, 0
	s_waitcnt lgkmcnt(0)
	v_add_f32_e32 v0, v0, v9
	s_lshl_b64 s[4:5], s[4:5], 2
	v_mov_b32_e32 v9, 0
	s_add_u32 s4, s0, s4
	s_addc_u32 s5, s1, s5
	global_store_dword v9, v0, s[4:5]
.LBB71_11:
	s_or_b32 exec_lo, exec_lo, s3
	ds_bpermute_b32 v0, v1, v8
	s_waitcnt lgkmcnt(0)
	v_add_f32_e32 v0, v8, v0
	ds_bpermute_b32 v8, v2, v0
	s_waitcnt lgkmcnt(0)
	v_add_f32_e32 v0, v0, v8
	;; [unrolled: 3-line block ×4, first 2 shown]
	ds_bpermute_b32 v8, v12, v0
	s_and_saveexec_b32 s3, vcc_lo
	s_cbranch_execz .LBB71_13
; %bb.12:
	s_mul_i32 s4, s2, 3
	s_mov_b32 s5, 0
	s_waitcnt lgkmcnt(0)
	v_add_f32_e32 v0, v0, v8
	s_lshl_b64 s[4:5], s[4:5], 2
	v_mov_b32_e32 v8, 0
	s_add_u32 s4, s0, s4
	s_addc_u32 s5, s1, s5
	global_store_dword v8, v0, s[4:5]
.LBB71_13:
	s_or_b32 exec_lo, exec_lo, s3
	ds_bpermute_b32 v0, v1, v7
	s_waitcnt lgkmcnt(0)
	v_add_f32_e32 v0, v7, v0
	ds_bpermute_b32 v7, v2, v0
	s_waitcnt lgkmcnt(0)
	v_add_f32_e32 v0, v0, v7
	;; [unrolled: 3-line block ×4, first 2 shown]
	ds_bpermute_b32 v7, v12, v0
	s_and_saveexec_b32 s3, vcc_lo
	s_cbranch_execz .LBB71_15
; %bb.14:
	s_lshl_b32 s4, s2, 2
	s_mov_b32 s5, 0
	s_waitcnt lgkmcnt(0)
	v_add_f32_e32 v0, v0, v7
	s_lshl_b64 s[4:5], s[4:5], 2
	v_mov_b32_e32 v7, 0
	s_add_u32 s4, s0, s4
	s_addc_u32 s5, s1, s5
	global_store_dword v7, v0, s[4:5]
.LBB71_15:
	s_or_b32 exec_lo, exec_lo, s3
	ds_bpermute_b32 v0, v1, v6
	s_waitcnt lgkmcnt(0)
	v_add_f32_e32 v0, v6, v0
	ds_bpermute_b32 v6, v2, v0
	s_waitcnt lgkmcnt(0)
	v_add_f32_e32 v0, v0, v6
	;; [unrolled: 3-line block ×4, first 2 shown]
	ds_bpermute_b32 v6, v12, v0
	s_and_saveexec_b32 s3, vcc_lo
	s_cbranch_execz .LBB71_17
; %bb.16:
	s_mul_i32 s4, s2, 5
	s_mov_b32 s5, 0
	s_waitcnt lgkmcnt(0)
	v_add_f32_e32 v0, v0, v6
	s_lshl_b64 s[4:5], s[4:5], 2
	v_mov_b32_e32 v6, 0
	s_add_u32 s4, s0, s4
	s_addc_u32 s5, s1, s5
	global_store_dword v6, v0, s[4:5]
.LBB71_17:
	s_or_b32 exec_lo, exec_lo, s3
	ds_bpermute_b32 v0, v1, v5
	s_waitcnt lgkmcnt(0)
	v_add_f32_e32 v0, v5, v0
	ds_bpermute_b32 v5, v2, v0
	s_waitcnt lgkmcnt(0)
	v_add_f32_e32 v0, v0, v5
	;; [unrolled: 3-line block ×4, first 2 shown]
	ds_bpermute_b32 v5, v12, v0
	s_and_saveexec_b32 s3, vcc_lo
	s_cbranch_execz .LBB71_19
; %bb.18:
	s_mul_i32 s4, s2, 6
	s_mov_b32 s5, 0
	s_waitcnt lgkmcnt(0)
	v_add_f32_e32 v0, v0, v5
	s_lshl_b64 s[4:5], s[4:5], 2
	v_mov_b32_e32 v5, 0
	s_add_u32 s4, s0, s4
	s_addc_u32 s5, s1, s5
	global_store_dword v5, v0, s[4:5]
.LBB71_19:
	s_or_b32 exec_lo, exec_lo, s3
	ds_bpermute_b32 v0, v1, v4
	s_waitcnt lgkmcnt(0)
	v_add_f32_e32 v0, v4, v0
	ds_bpermute_b32 v1, v2, v0
	s_waitcnt lgkmcnt(0)
	v_add_f32_e32 v0, v0, v1
	;; [unrolled: 3-line block ×4, first 2 shown]
	ds_bpermute_b32 v1, v12, v0
	s_and_b32 exec_lo, exec_lo, vcc_lo
	s_cbranch_execz .LBB71_21
; %bb.20:
	s_mul_i32 s2, s2, 7
	s_mov_b32 s3, 0
	s_waitcnt lgkmcnt(0)
	v_add_f32_e32 v0, v0, v1
	s_lshl_b64 s[2:3], s[2:3], 2
	v_mov_b32_e32 v1, 0
	s_add_u32 s0, s0, s2
	s_addc_u32 s1, s1, s3
	global_store_dword v1, v0, s[0:1]
.LBB71_21:
	s_endpgm
	.section	.rodata,"a",@progbits
	.p2align	6, 0x0
	.amdhsa_kernel _ZL13mul_mat_vec_qIL9ggml_type8ELi8ELb0ELb0EEvPKvS2_PKi31ggml_cuda_mm_fusion_args_devicePfj15HIP_vector_typeIjLj3EEjjjS8_jjjS8_jjjj
		.amdhsa_group_segment_fixed_size 0
		.amdhsa_private_segment_fixed_size 0
		.amdhsa_kernarg_size 144
		.amdhsa_user_sgpr_count 6
		.amdhsa_user_sgpr_private_segment_buffer 1
		.amdhsa_user_sgpr_dispatch_ptr 0
		.amdhsa_user_sgpr_queue_ptr 0
		.amdhsa_user_sgpr_kernarg_segment_ptr 1
		.amdhsa_user_sgpr_dispatch_id 0
		.amdhsa_user_sgpr_flat_scratch_init 0
		.amdhsa_user_sgpr_private_segment_size 0
		.amdhsa_wavefront_size32 1
		.amdhsa_uses_dynamic_stack 0
		.amdhsa_system_sgpr_private_segment_wavefront_offset 0
		.amdhsa_system_sgpr_workgroup_id_x 1
		.amdhsa_system_sgpr_workgroup_id_y 1
		.amdhsa_system_sgpr_workgroup_id_z 1
		.amdhsa_system_sgpr_workgroup_info 0
		.amdhsa_system_vgpr_workitem_id 1
		.amdhsa_next_free_vgpr 54
		.amdhsa_next_free_sgpr 26
		.amdhsa_reserve_vcc 1
		.amdhsa_reserve_flat_scratch 0
		.amdhsa_float_round_mode_32 0
		.amdhsa_float_round_mode_16_64 0
		.amdhsa_float_denorm_mode_32 3
		.amdhsa_float_denorm_mode_16_64 3
		.amdhsa_dx10_clamp 1
		.amdhsa_ieee_mode 1
		.amdhsa_fp16_overflow 0
		.amdhsa_workgroup_processor_mode 1
		.amdhsa_memory_ordered 1
		.amdhsa_forward_progress 1
		.amdhsa_shared_vgpr_count 0
		.amdhsa_exception_fp_ieee_invalid_op 0
		.amdhsa_exception_fp_denorm_src 0
		.amdhsa_exception_fp_ieee_div_zero 0
		.amdhsa_exception_fp_ieee_overflow 0
		.amdhsa_exception_fp_ieee_underflow 0
		.amdhsa_exception_fp_ieee_inexact 0
		.amdhsa_exception_int_div_zero 0
	.end_amdhsa_kernel
	.section	.text._ZL13mul_mat_vec_qIL9ggml_type8ELi8ELb0ELb0EEvPKvS2_PKi31ggml_cuda_mm_fusion_args_devicePfj15HIP_vector_typeIjLj3EEjjjS8_jjjS8_jjjj,"axG",@progbits,_ZL13mul_mat_vec_qIL9ggml_type8ELi8ELb0ELb0EEvPKvS2_PKi31ggml_cuda_mm_fusion_args_devicePfj15HIP_vector_typeIjLj3EEjjjS8_jjjS8_jjjj,comdat
.Lfunc_end71:
	.size	_ZL13mul_mat_vec_qIL9ggml_type8ELi8ELb0ELb0EEvPKvS2_PKi31ggml_cuda_mm_fusion_args_devicePfj15HIP_vector_typeIjLj3EEjjjS8_jjjS8_jjjj, .Lfunc_end71-_ZL13mul_mat_vec_qIL9ggml_type8ELi8ELb0ELb0EEvPKvS2_PKi31ggml_cuda_mm_fusion_args_devicePfj15HIP_vector_typeIjLj3EEjjjS8_jjjS8_jjjj
                                        ; -- End function
	.set _ZL13mul_mat_vec_qIL9ggml_type8ELi8ELb0ELb0EEvPKvS2_PKi31ggml_cuda_mm_fusion_args_devicePfj15HIP_vector_typeIjLj3EEjjjS8_jjjS8_jjjj.num_vgpr, 54
	.set _ZL13mul_mat_vec_qIL9ggml_type8ELi8ELb0ELb0EEvPKvS2_PKi31ggml_cuda_mm_fusion_args_devicePfj15HIP_vector_typeIjLj3EEjjjS8_jjjS8_jjjj.num_agpr, 0
	.set _ZL13mul_mat_vec_qIL9ggml_type8ELi8ELb0ELb0EEvPKvS2_PKi31ggml_cuda_mm_fusion_args_devicePfj15HIP_vector_typeIjLj3EEjjjS8_jjjS8_jjjj.numbered_sgpr, 26
	.set _ZL13mul_mat_vec_qIL9ggml_type8ELi8ELb0ELb0EEvPKvS2_PKi31ggml_cuda_mm_fusion_args_devicePfj15HIP_vector_typeIjLj3EEjjjS8_jjjS8_jjjj.num_named_barrier, 0
	.set _ZL13mul_mat_vec_qIL9ggml_type8ELi8ELb0ELb0EEvPKvS2_PKi31ggml_cuda_mm_fusion_args_devicePfj15HIP_vector_typeIjLj3EEjjjS8_jjjS8_jjjj.private_seg_size, 0
	.set _ZL13mul_mat_vec_qIL9ggml_type8ELi8ELb0ELb0EEvPKvS2_PKi31ggml_cuda_mm_fusion_args_devicePfj15HIP_vector_typeIjLj3EEjjjS8_jjjS8_jjjj.uses_vcc, 1
	.set _ZL13mul_mat_vec_qIL9ggml_type8ELi8ELb0ELb0EEvPKvS2_PKi31ggml_cuda_mm_fusion_args_devicePfj15HIP_vector_typeIjLj3EEjjjS8_jjjS8_jjjj.uses_flat_scratch, 0
	.set _ZL13mul_mat_vec_qIL9ggml_type8ELi8ELb0ELb0EEvPKvS2_PKi31ggml_cuda_mm_fusion_args_devicePfj15HIP_vector_typeIjLj3EEjjjS8_jjjS8_jjjj.has_dyn_sized_stack, 0
	.set _ZL13mul_mat_vec_qIL9ggml_type8ELi8ELb0ELb0EEvPKvS2_PKi31ggml_cuda_mm_fusion_args_devicePfj15HIP_vector_typeIjLj3EEjjjS8_jjjS8_jjjj.has_recursion, 0
	.set _ZL13mul_mat_vec_qIL9ggml_type8ELi8ELb0ELb0EEvPKvS2_PKi31ggml_cuda_mm_fusion_args_devicePfj15HIP_vector_typeIjLj3EEjjjS8_jjjS8_jjjj.has_indirect_call, 0
	.section	.AMDGPU.csdata,"",@progbits
; Kernel info:
; codeLenInByte = 2152
; TotalNumSgprs: 28
; NumVgprs: 54
; ScratchSize: 0
; MemoryBound: 0
; FloatMode: 240
; IeeeMode: 1
; LDSByteSize: 0 bytes/workgroup (compile time only)
; SGPRBlocks: 0
; VGPRBlocks: 6
; NumSGPRsForWavesPerEU: 28
; NumVGPRsForWavesPerEU: 54
; Occupancy: 16
; WaveLimiterHint : 0
; COMPUTE_PGM_RSRC2:SCRATCH_EN: 0
; COMPUTE_PGM_RSRC2:USER_SGPR: 6
; COMPUTE_PGM_RSRC2:TRAP_HANDLER: 0
; COMPUTE_PGM_RSRC2:TGID_X_EN: 1
; COMPUTE_PGM_RSRC2:TGID_Y_EN: 1
; COMPUTE_PGM_RSRC2:TGID_Z_EN: 1
; COMPUTE_PGM_RSRC2:TIDIG_COMP_CNT: 1
	.section	.text._ZL17mul_mat_vec_q_moeIL9ggml_type39ELi2EEvPKvS2_PKiPfj15HIP_vector_typeIjLj3EEjjjjjjjjj,"axG",@progbits,_ZL17mul_mat_vec_q_moeIL9ggml_type39ELi2EEvPKvS2_PKiPfj15HIP_vector_typeIjLj3EEjjjjjjjjj,comdat
	.globl	_ZL17mul_mat_vec_q_moeIL9ggml_type39ELi2EEvPKvS2_PKiPfj15HIP_vector_typeIjLj3EEjjjjjjjjj ; -- Begin function _ZL17mul_mat_vec_q_moeIL9ggml_type39ELi2EEvPKvS2_PKiPfj15HIP_vector_typeIjLj3EEjjjjjjjjj
	.p2align	8
	.type	_ZL17mul_mat_vec_q_moeIL9ggml_type39ELi2EEvPKvS2_PKiPfj15HIP_vector_typeIjLj3EEjjjjjjjjj,@function
_ZL17mul_mat_vec_q_moeIL9ggml_type39ELi2EEvPKvS2_PKiPfj15HIP_vector_typeIjLj3EEjjjjjjjjj: ; @_ZL17mul_mat_vec_q_moeIL9ggml_type39ELi2EEvPKvS2_PKiPfj15HIP_vector_typeIjLj3EEjjjjjjjjj
; %bb.0:
	s_load_dwordx8 s[16:23], s[4:5], 0x30
	s_mov_b32 s0, exec_lo
	s_waitcnt lgkmcnt(0)
	v_cmpx_gt_u32_e64 s23, v1
	s_cbranch_execz .LBB72_7
; %bb.1:
	s_clause 0x2
	s_load_dword s1, s[4:5], 0x20
	s_load_dword s0, s[4:5], 0x50
	s_load_dwordx8 s[8:15], s[4:5], 0x0
	v_lshrrev_b32_e32 v8, 1, v0
	v_mov_b32_e32 v2, 0
	v_mov_b32_e32 v3, 0
	s_mov_b32 s2, s7
	s_waitcnt lgkmcnt(0)
	s_lshr_b32 s3, s1, 5
	s_lshl_b32 s1, s6, 1
	s_mov_b32 s6, exec_lo
	v_cmpx_gt_u32_e64 s3, v8
	s_cbranch_execz .LBB72_5
; %bb.2:
	v_mad_u64_u32 v[2:3], null, s0, v1, s[2:3]
	v_mov_b32_e32 v3, 0
	s_load_dwordx4 s[24:27], s[4:5], 0x24
	v_lshrrev_b32_e32 v11, 1, v0
	v_lshlrev_b32_e32 v6, 3, v0
	s_add_i32 s0, s1, 1
	v_and_b32_e32 v7, 1, v0
	v_lshlrev_b64 v[4:5], 2, v[2:3]
	s_mov_b32 s7, 0xf4f8fafc
	v_and_b32_e32 v9, 8, v6
	v_lshlrev_b32_e32 v10, 3, v7
	v_add_co_u32 v4, vcc_lo, s12, v4
	v_add_co_ci_u32_e64 v5, null, s13, v5, vcc_lo
	global_load_dword v2, v[4:5], off
	v_mul_lo_u32 v4, s18, v1
	s_waitcnt lgkmcnt(0)
	s_mul_hi_u32 s4, s24, s2
	s_add_i32 s4, s2, s4
	s_lshr_b32 s4, s4, s25
	s_mul_i32 s4, s4, s26
	v_mad_u64_u32 v[4:5], null, v4, 36, 0
	s_sub_i32 s4, s2, s4
	s_mul_i32 s4, s4, s21
	s_mul_i32 s5, s4, 36
	s_mul_hi_u32 s4, s4, 36
	v_mad_u64_u32 v[11:12], null, v11, 36, v[4:5]
	s_add_u32 s5, s10, s5
	s_addc_u32 s4, s11, s4
	s_mov_b32 s10, 0x4040404
	s_waitcnt vmcnt(0)
	v_mul_lo_u32 v2, v2, s20
	v_mad_u64_u32 v[4:5], null, s1, s17, v[2:3]
	v_mad_u64_u32 v[5:6], null, s17, s0, v[2:3]
	v_add_co_u32 v6, vcc_lo, s5, v11
	v_add_co_ci_u32_e64 v7, null, s4, v12, vcc_lo
	v_mov_b32_e32 v2, v3
	s_mov_b32 s4, 0
	s_mov_b32 s5, 0xc080604
.LBB72_3:                               ; =>This Inner Loop Header: Depth=1
	v_add_nc_u32_e32 v13, v4, v8
	v_add_nc_u32_e32 v15, v5, v8
	v_add_co_u32 v11, vcc_lo, v6, v10
	v_add_co_ci_u32_e64 v12, null, 0, v7, vcc_lo
	v_mad_i64_i32 v[13:14], null, v13, 17, s[8:9]
	v_mad_i64_i32 v[15:16], null, v15, 17, s[8:9]
	s_clause 0x1
	global_load_dwordx2 v[17:18], v[11:12], off offset:4
	global_load_dwordx2 v[11:12], v[11:12], off offset:20
	v_mov_b32_e32 v23, 0
	v_add_nc_u32_e32 v8, 16, v8
	v_add_co_u32 v19, vcc_lo, v13, v9
	v_add_co_ci_u32_e64 v20, null, 0, v14, vcc_lo
	v_add_co_u32 v21, vcc_lo, v15, v9
	v_add_co_ci_u32_e64 v22, null, 0, v16, vcc_lo
	s_clause 0x3
	global_load_dwordx2 v[19:20], v[19:20], off offset:1
	global_load_dwordx2 v[21:22], v[21:22], off offset:1
	global_load_ubyte v15, v[15:16], off
	global_load_ubyte v13, v[13:14], off
	global_load_dword v14, v[6:7], off
	v_mov_b32_e32 v16, 0
	s_waitcnt vmcnt(4)
	v_ashrrev_i32_e32 v24, 4, v19
	v_and_b32_e32 v25, 0x7070707, v19
	v_lshrrev_b32_e32 v19, 1, v19
	v_ashrrev_i32_e32 v26, 4, v20
	v_and_b32_e32 v27, 0x7070707, v20
	v_lshrrev_b32_e32 v20, 1, v20
	s_waitcnt vmcnt(3)
	v_ashrrev_i32_e32 v29, 4, v21
	v_and_b32_e32 v30, 0x7070707, v21
	v_lshrrev_b32_e32 v21, 1, v21
	s_waitcnt vmcnt(1)
	v_lshlrev_b32_e32 v28, 23, v13
	v_perm_b32 v34, s5, 0x3020100, v25
	v_and_b32_e32 v35, 0x7070707, v24
	v_perm_b32 v25, s7, 0xfdfeff00, v25
	v_and_or_b32 v19, v19, s10, 0x3020100
	v_lshrrev_b32_e32 v24, 1, v24
	v_perm_b32 v36, s5, 0x3020100, v27
	v_perm_b32 v27, s7, 0xfdfeff00, v27
	v_and_or_b32 v20, v20, s10, 0x3020100
	v_cmp_ne_u32_e32 vcc_lo, 0, v13
	v_perm_b32 v13, s5, 0x3020100, v30
	v_and_b32_e32 v38, 0x7070707, v29
	v_perm_b32 v30, s7, 0xfdfeff00, v30
	v_and_or_b32 v21, v21, s10, 0x3020100
	v_lshrrev_b32_e32 v29, 1, v29
	v_ashrrev_i32_e32 v31, 4, v22
	v_and_b32_e32 v32, 0x7070707, v22
	v_lshrrev_b32_e32 v22, 1, v22
	v_lshlrev_b32_e32 v33, 23, v15
	v_cmp_ne_u32_e64 s0, 0, v15
	v_perm_b32 v15, s5, 0x3020100, v35
	v_perm_b32 v35, s7, 0xfdfeff00, v35
	;; [unrolled: 1-line block ×3, first 2 shown]
	v_and_or_b32 v24, v24, s10, 0x3020100
	v_perm_b32 v20, v27, v36, v20
	v_perm_b32 v27, s5, 0x3020100, v38
	v_perm_b32 v36, s7, 0xfdfeff00, v38
	v_perm_b32 v13, v30, v13, v21
	v_and_or_b32 v21, v29, s10, 0x3020100
	v_and_b32_e32 v37, 0x7070707, v26
	v_lshrrev_b32_e32 v26, 1, v26
	v_perm_b32 v39, s5, 0x3020100, v32
	v_and_b32_e32 v40, 0x7070707, v31
	v_perm_b32 v32, s7, 0xfdfeff00, v32
	v_and_or_b32 v22, v22, s10, 0x3020100
	v_lshrrev_b32_e32 v31, 1, v31
	v_perm_b32 v15, v35, v15, v24
	v_dot4c_i32_i8 v16, v19, v17
	v_perm_b32 v19, v36, v27, v21
	v_dot4c_i32_i8 v23, v13, v17
	v_perm_b32 v25, s5, 0x3020100, v37
	v_perm_b32 v34, s7, 0xfdfeff00, v37
	v_and_or_b32 v26, v26, s10, 0x3020100
	v_perm_b32 v29, s5, 0x3020100, v40
	v_perm_b32 v30, s7, 0xfdfeff00, v40
	;; [unrolled: 1-line block ×3, first 2 shown]
	v_and_or_b32 v17, v31, s10, 0x3020100
	v_dot4c_i32_i8 v16, v15, v11
	v_dot4c_i32_i8 v23, v19, v11
	v_mul_f32_e32 v28, 0.5, v28
	v_mul_f32_e32 v33, 0.5, v33
	v_perm_b32 v11, v34, v25, v26
	v_perm_b32 v15, v30, v29, v17
	v_dot4c_i32_i8 v16, v20, v18
	v_dot4c_i32_i8 v23, v13, v18
	s_waitcnt vmcnt(0)
	v_cvt_f32_f16_e32 v14, v14
	v_cndmask_b32_e32 v13, 0x200000, v28, vcc_lo
	v_cndmask_b32_e64 v17, 0x200000, v33, s0
	v_dot4c_i32_i8 v16, v11, v12
	v_dot4c_i32_i8 v23, v15, v12
	v_add_co_u32 v6, vcc_lo, 0x240, v6
	v_mul_f32_e32 v11, v13, v14
	v_mul_f32_e32 v12, v17, v14
	v_cvt_f32_i32_e32 v13, v16
	v_cvt_f32_i32_e32 v14, v23
	v_cmp_le_u32_e64 s0, s3, v8
	v_add_co_ci_u32_e64 v7, null, 0, v7, vcc_lo
	v_fmac_f32_e32 v3, v11, v13
	v_fmac_f32_e32 v2, v12, v14
	s_or_b32 s4, s0, s4
	s_andn2_b32 exec_lo, exec_lo, s4
	s_cbranch_execnz .LBB72_3
; %bb.4:
	s_or_b32 exec_lo, exec_lo, s4
.LBB72_5:
	s_or_b32 exec_lo, exec_lo, s6
	v_mbcnt_lo_u32_b32 v4, -1, 0
	v_xor_b32_e32 v5, 16, v4
	v_xor_b32_e32 v7, 8, v4
	v_cmp_gt_i32_e32 vcc_lo, 32, v5
	v_cndmask_b32_e32 v5, v4, v5, vcc_lo
	v_cmp_gt_i32_e32 vcc_lo, 32, v7
	v_lshlrev_b32_e32 v5, 2, v5
	v_cndmask_b32_e32 v7, v4, v7, vcc_lo
	ds_bpermute_b32 v6, v5, v3
	ds_bpermute_b32 v5, v5, v2
	v_lshlrev_b32_e32 v7, 2, v7
	s_waitcnt lgkmcnt(1)
	v_add_f32_e32 v3, v3, v6
	s_waitcnt lgkmcnt(0)
	v_add_f32_e32 v2, v2, v5
	ds_bpermute_b32 v5, v7, v3
	ds_bpermute_b32 v6, v7, v2
	v_xor_b32_e32 v7, 4, v4
	v_cmp_gt_i32_e32 vcc_lo, 32, v7
	v_cndmask_b32_e32 v7, v4, v7, vcc_lo
	v_lshlrev_b32_e32 v7, 2, v7
	s_waitcnt lgkmcnt(1)
	v_add_f32_e32 v3, v3, v5
	s_waitcnt lgkmcnt(0)
	v_add_f32_e32 v2, v2, v6
	ds_bpermute_b32 v5, v7, v3
	ds_bpermute_b32 v6, v7, v2
	v_xor_b32_e32 v7, 2, v4
	v_cmp_gt_i32_e32 vcc_lo, 32, v7
	v_cndmask_b32_e32 v7, v4, v7, vcc_lo
	;; [unrolled: 10-line block ×3, first 2 shown]
	v_cmp_gt_u32_e32 vcc_lo, 2, v0
	v_lshlrev_b32_e32 v7, 2, v4
	s_waitcnt lgkmcnt(1)
	v_add_f32_e32 v2, v3, v2
	s_waitcnt lgkmcnt(0)
	v_add_f32_e32 v3, v5, v6
	v_add_nc_u32_e32 v6, s1, v0
	ds_bpermute_b32 v4, v7, v2
	ds_bpermute_b32 v5, v7, v3
	v_cmp_gt_u32_e64 s0, s16, v6
	s_and_b32 s0, vcc_lo, s0
	s_and_b32 exec_lo, exec_lo, s0
	s_cbranch_execz .LBB72_7
; %bb.6:
	v_mul_lo_u32 v1, s19, v1
	v_or_b32_e32 v6, s1, v0
	s_mul_i32 s0, s22, s2
	v_mov_b32_e32 v7, 0
	s_waitcnt lgkmcnt(1)
	v_add_f32_e32 v4, v2, v4
	s_waitcnt lgkmcnt(0)
	v_add_f32_e32 v3, v3, v5
	v_cmp_eq_u32_e32 vcc_lo, 1, v0
	v_add3_u32 v6, v6, v1, s0
	v_cndmask_b32_e32 v3, v4, v3, vcc_lo
	v_lshlrev_b64 v[1:2], 2, v[6:7]
	v_add_co_u32 v0, vcc_lo, s14, v1
	v_add_co_ci_u32_e64 v1, null, s15, v2, vcc_lo
	global_store_dword v[0:1], v3, off
.LBB72_7:
	s_endpgm
	.section	.rodata,"a",@progbits
	.p2align	6, 0x0
	.amdhsa_kernel _ZL17mul_mat_vec_q_moeIL9ggml_type39ELi2EEvPKvS2_PKiPfj15HIP_vector_typeIjLj3EEjjjjjjjjj
		.amdhsa_group_segment_fixed_size 0
		.amdhsa_private_segment_fixed_size 0
		.amdhsa_kernarg_size 84
		.amdhsa_user_sgpr_count 6
		.amdhsa_user_sgpr_private_segment_buffer 1
		.amdhsa_user_sgpr_dispatch_ptr 0
		.amdhsa_user_sgpr_queue_ptr 0
		.amdhsa_user_sgpr_kernarg_segment_ptr 1
		.amdhsa_user_sgpr_dispatch_id 0
		.amdhsa_user_sgpr_flat_scratch_init 0
		.amdhsa_user_sgpr_private_segment_size 0
		.amdhsa_wavefront_size32 1
		.amdhsa_uses_dynamic_stack 0
		.amdhsa_system_sgpr_private_segment_wavefront_offset 0
		.amdhsa_system_sgpr_workgroup_id_x 1
		.amdhsa_system_sgpr_workgroup_id_y 1
		.amdhsa_system_sgpr_workgroup_id_z 0
		.amdhsa_system_sgpr_workgroup_info 0
		.amdhsa_system_vgpr_workitem_id 1
		.amdhsa_next_free_vgpr 41
		.amdhsa_next_free_sgpr 28
		.amdhsa_reserve_vcc 1
		.amdhsa_reserve_flat_scratch 0
		.amdhsa_float_round_mode_32 0
		.amdhsa_float_round_mode_16_64 0
		.amdhsa_float_denorm_mode_32 3
		.amdhsa_float_denorm_mode_16_64 3
		.amdhsa_dx10_clamp 1
		.amdhsa_ieee_mode 1
		.amdhsa_fp16_overflow 0
		.amdhsa_workgroup_processor_mode 1
		.amdhsa_memory_ordered 1
		.amdhsa_forward_progress 1
		.amdhsa_shared_vgpr_count 0
		.amdhsa_exception_fp_ieee_invalid_op 0
		.amdhsa_exception_fp_denorm_src 0
		.amdhsa_exception_fp_ieee_div_zero 0
		.amdhsa_exception_fp_ieee_overflow 0
		.amdhsa_exception_fp_ieee_underflow 0
		.amdhsa_exception_fp_ieee_inexact 0
		.amdhsa_exception_int_div_zero 0
	.end_amdhsa_kernel
	.section	.text._ZL17mul_mat_vec_q_moeIL9ggml_type39ELi2EEvPKvS2_PKiPfj15HIP_vector_typeIjLj3EEjjjjjjjjj,"axG",@progbits,_ZL17mul_mat_vec_q_moeIL9ggml_type39ELi2EEvPKvS2_PKiPfj15HIP_vector_typeIjLj3EEjjjjjjjjj,comdat
.Lfunc_end72:
	.size	_ZL17mul_mat_vec_q_moeIL9ggml_type39ELi2EEvPKvS2_PKiPfj15HIP_vector_typeIjLj3EEjjjjjjjjj, .Lfunc_end72-_ZL17mul_mat_vec_q_moeIL9ggml_type39ELi2EEvPKvS2_PKiPfj15HIP_vector_typeIjLj3EEjjjjjjjjj
                                        ; -- End function
	.set _ZL17mul_mat_vec_q_moeIL9ggml_type39ELi2EEvPKvS2_PKiPfj15HIP_vector_typeIjLj3EEjjjjjjjjj.num_vgpr, 41
	.set _ZL17mul_mat_vec_q_moeIL9ggml_type39ELi2EEvPKvS2_PKiPfj15HIP_vector_typeIjLj3EEjjjjjjjjj.num_agpr, 0
	.set _ZL17mul_mat_vec_q_moeIL9ggml_type39ELi2EEvPKvS2_PKiPfj15HIP_vector_typeIjLj3EEjjjjjjjjj.numbered_sgpr, 28
	.set _ZL17mul_mat_vec_q_moeIL9ggml_type39ELi2EEvPKvS2_PKiPfj15HIP_vector_typeIjLj3EEjjjjjjjjj.num_named_barrier, 0
	.set _ZL17mul_mat_vec_q_moeIL9ggml_type39ELi2EEvPKvS2_PKiPfj15HIP_vector_typeIjLj3EEjjjjjjjjj.private_seg_size, 0
	.set _ZL17mul_mat_vec_q_moeIL9ggml_type39ELi2EEvPKvS2_PKiPfj15HIP_vector_typeIjLj3EEjjjjjjjjj.uses_vcc, 1
	.set _ZL17mul_mat_vec_q_moeIL9ggml_type39ELi2EEvPKvS2_PKiPfj15HIP_vector_typeIjLj3EEjjjjjjjjj.uses_flat_scratch, 0
	.set _ZL17mul_mat_vec_q_moeIL9ggml_type39ELi2EEvPKvS2_PKiPfj15HIP_vector_typeIjLj3EEjjjjjjjjj.has_dyn_sized_stack, 0
	.set _ZL17mul_mat_vec_q_moeIL9ggml_type39ELi2EEvPKvS2_PKiPfj15HIP_vector_typeIjLj3EEjjjjjjjjj.has_recursion, 0
	.set _ZL17mul_mat_vec_q_moeIL9ggml_type39ELi2EEvPKvS2_PKiPfj15HIP_vector_typeIjLj3EEjjjjjjjjj.has_indirect_call, 0
	.section	.AMDGPU.csdata,"",@progbits
; Kernel info:
; codeLenInByte = 1452
; TotalNumSgprs: 30
; NumVgprs: 41
; ScratchSize: 0
; MemoryBound: 0
; FloatMode: 240
; IeeeMode: 1
; LDSByteSize: 0 bytes/workgroup (compile time only)
; SGPRBlocks: 0
; VGPRBlocks: 5
; NumSGPRsForWavesPerEU: 30
; NumVGPRsForWavesPerEU: 41
; Occupancy: 16
; WaveLimiterHint : 1
; COMPUTE_PGM_RSRC2:SCRATCH_EN: 0
; COMPUTE_PGM_RSRC2:USER_SGPR: 6
; COMPUTE_PGM_RSRC2:TRAP_HANDLER: 0
; COMPUTE_PGM_RSRC2:TGID_X_EN: 1
; COMPUTE_PGM_RSRC2:TGID_Y_EN: 1
; COMPUTE_PGM_RSRC2:TGID_Z_EN: 0
; COMPUTE_PGM_RSRC2:TIDIG_COMP_CNT: 1
	.section	.text._ZL13mul_mat_vec_qIL9ggml_type39ELi1ELb1ELb1EEvPKvS2_PKi31ggml_cuda_mm_fusion_args_devicePfj15HIP_vector_typeIjLj3EEjjjS8_jjjS8_jjjj,"axG",@progbits,_ZL13mul_mat_vec_qIL9ggml_type39ELi1ELb1ELb1EEvPKvS2_PKi31ggml_cuda_mm_fusion_args_devicePfj15HIP_vector_typeIjLj3EEjjjS8_jjjS8_jjjj,comdat
	.globl	_ZL13mul_mat_vec_qIL9ggml_type39ELi1ELb1ELb1EEvPKvS2_PKi31ggml_cuda_mm_fusion_args_devicePfj15HIP_vector_typeIjLj3EEjjjS8_jjjS8_jjjj ; -- Begin function _ZL13mul_mat_vec_qIL9ggml_type39ELi1ELb1ELb1EEvPKvS2_PKi31ggml_cuda_mm_fusion_args_devicePfj15HIP_vector_typeIjLj3EEjjjS8_jjjS8_jjjj
	.p2align	8
	.type	_ZL13mul_mat_vec_qIL9ggml_type39ELi1ELb1ELb1EEvPKvS2_PKi31ggml_cuda_mm_fusion_args_devicePfj15HIP_vector_typeIjLj3EEjjjS8_jjjS8_jjjj,@function
_ZL13mul_mat_vec_qIL9ggml_type39ELi1ELb1ELb1EEvPKvS2_PKi31ggml_cuda_mm_fusion_args_devicePfj15HIP_vector_typeIjLj3EEjjjS8_jjjS8_jjjj: ; @_ZL13mul_mat_vec_qIL9ggml_type39ELi1ELb1ELb1EEvPKvS2_PKi31ggml_cuda_mm_fusion_args_devicePfj15HIP_vector_typeIjLj3EEjjjS8_jjjS8_jjjj
; %bb.0:
	s_clause 0x3
	s_load_dwordx8 s[12:19], s[4:5], 0x0
	s_load_dwordx4 s[28:31], s[4:5], 0x20
	s_load_dwordx4 s[36:39], s[4:5], 0x40
	;; [unrolled: 1-line block ×3, first 2 shown]
	s_mov_b32 s10, s7
	s_waitcnt lgkmcnt(0)
	s_cmp_lg_u64 s[16:17], 0
	s_cselect_b32 s0, -1, 0
	s_cmp_eq_u64 s[16:17], 0
	s_cbranch_scc1 .LBB73_5
; %bb.1:
	s_mov_b32 s11, 0
	s_lshl_b64 s[2:3], s[10:11], 2
	s_add_u32 s2, s16, s2
	s_addc_u32 s3, s17, s3
	s_load_dword s33, s[2:3], 0x0
	s_clause 0x1
	s_load_dword s34, s[4:5], 0x50
	s_load_dword s35, s[4:5], 0x78
	s_cbranch_execnz .LBB73_3
.LBB73_2:
	s_load_dwordx2 s[2:3], s[4:5], 0x5c
	s_waitcnt lgkmcnt(0)
	s_mul_hi_u32 s1, s2, s10
	s_add_i32 s1, s10, s1
	s_lshr_b32 s33, s1, s3
.LBB73_3:
	s_andn2_b32 vcc_lo, exec_lo, s0
	s_cbranch_vccnz .LBB73_6
; %bb.4:
	s_mul_hi_u32 s0, s37, s10
	s_waitcnt lgkmcnt(0)
	s_mov_b32 s1, s33
	s_add_i32 s0, s10, s0
	s_lshr_b32 s0, s0, s38
	s_mul_i32 s0, s0, s39
	s_sub_i32 s11, s10, s0
	s_branch .LBB73_7
.LBB73_5:
                                        ; implicit-def: $sgpr33
	s_clause 0x1
	s_load_dword s34, s[4:5], 0x50
	s_load_dword s35, s[4:5], 0x78
	s_branch .LBB73_2
.LBB73_6:
	s_mov_b32 s1, s10
	s_mov_b32 s11, s10
.LBB73_7:
	s_load_dwordx4 s[24:27], s[4:5], 0x80
	v_or_b32_e32 v2, v0, v1
	s_cmp_lg_u64 s[18:19], 0
	v_mov_b32_e32 v10, 0
	v_mov_b32_e32 v11, 0
	s_cselect_b32 s0, -1, 0
	v_cmp_eq_u32_e32 vcc_lo, 0, v2
	s_mov_b32 s17, 0
	s_mul_i32 s2, s1, s22
	s_and_b32 s3, s0, vcc_lo
	s_and_saveexec_b32 s1, s3
	s_cbranch_execz .LBB73_9
; %bb.8:
	s_waitcnt lgkmcnt(0)
	s_mul_i32 s16, s26, s8
	s_mov_b32 s3, s17
	s_lshl_b64 s[38:39], s[16:17], 2
	v_lshlrev_b32_e32 v2, 2, v0
	s_add_u32 s7, s18, s38
	s_addc_u32 s9, s19, s39
	s_lshl_b64 s[16:17], s[2:3], 2
	s_add_u32 s3, s7, s16
	s_addc_u32 s9, s9, s17
	s_ashr_i32 s7, s6, 31
	s_lshl_b64 s[16:17], s[6:7], 2
	s_add_u32 s16, s3, s16
	s_addc_u32 s17, s9, s17
	global_load_dword v11, v2, s[16:17]
.LBB73_9:
	s_or_b32 exec_lo, exec_lo, s1
	s_cmp_lg_u64 s[28:29], 0
	s_cselect_b32 s9, -1, 0
	s_cmp_lg_u64 s[30:31], 0
	s_cselect_b32 s1, -1, 0
	s_and_b32 s3, s1, s9
	s_and_b32 s3, s3, vcc_lo
	s_and_saveexec_b32 s16, s3
	s_cbranch_execz .LBB73_11
; %bb.10:
	s_waitcnt lgkmcnt(0)
	s_mul_i32 s18, s26, s8
	s_mov_b32 s19, 0
	v_lshlrev_b32_e32 v2, 2, v0
	s_lshl_b64 s[38:39], s[18:19], 2
	s_mov_b32 s3, s19
	s_add_u32 s7, s30, s38
	s_addc_u32 s17, s31, s39
	s_lshl_b64 s[2:3], s[2:3], 2
	s_add_u32 s18, s7, s2
	s_addc_u32 s17, s17, s3
	s_ashr_i32 s7, s6, 31
	s_lshl_b64 s[2:3], s[6:7], 2
	s_add_u32 s2, s18, s2
	s_addc_u32 s3, s17, s3
	global_load_dword v10, v2, s[2:3]
.LBB73_11:
	s_or_b32 exec_lo, exec_lo, s16
	v_lshl_or_b32 v2, v1, 5, v0
	v_mov_b32_e32 v15, 0
	v_cndmask_b32_e64 v12, 0, 1, s9
	v_mov_b32_e32 v13, 0
	s_lshr_b32 s3, s36, 5
	v_lshrrev_b16 v3, 1, v2
	s_mov_b32 s7, exec_lo
	v_and_b32_e32 v14, 0xffff, v3
	v_cmpx_gt_u32_e64 s3, v14
	s_cbranch_execz .LBB73_17
; %bb.12:
	s_mul_hi_u32 s2, s23, s8
	s_waitcnt lgkmcnt(0)
	s_mul_i32 s34, s34, s6
	s_add_i32 s2, s8, s2
	s_mul_i32 s16, s25, s8
	s_lshr_b32 s2, s2, s35
	s_mul_i32 s17, s33, s20
	s_mul_i32 s2, s2, s24
	;; [unrolled: 1-line block ×3, first 2 shown]
	s_add_i32 s2, s2, s34
	v_lshlrev_b32_e32 v3, 3, v0
	s_add_i32 s11, s17, s2
	s_mul_i32 s17, s16, 36
	s_mul_hi_u32 s16, s16, 36
	v_lshrrev_b32_e32 v2, 1, v2
	s_mul_hi_u32 s2, s18, 36
	s_mul_i32 s18, s18, 36
	s_add_u32 s14, s14, s17
	s_addc_u32 s15, s15, s16
	s_add_u32 s14, s14, s18
	v_and_b32_e32 v4, 1, v0
	s_addc_u32 s15, s15, s2
	v_and_b32_e32 v16, 8, v3
	v_mad_u64_u32 v[2:3], null, v2, 36, s[14:15]
	v_mov_b32_e32 v17, 0
	v_lshlrev_b32_e32 v18, 3, v4
	v_mov_b32_e32 v19, 23
	v_mov_b32_e32 v15, 0
	;; [unrolled: 1-line block ×3, first 2 shown]
	s_mov_b32 s14, 0
	s_mov_b32 s15, 0xc080604
	s_mov_b32 s16, 0xf4f8fafc
	s_mov_b32 s17, 0x4040404
	s_branch .LBB73_14
.LBB73_13:                              ;   in Loop: Header=BB73_14 Depth=1
	s_waitcnt vmcnt(1)
	v_ashrrev_i32_e32 v22, 4, v8
	v_and_b32_e32 v23, 0x7070707, v8
	v_lshrrev_b32_e32 v8, 1, v8
	v_mov_b32_e32 v27, 0
	s_waitcnt vmcnt(0)
	v_cmp_ne_u16_sdwa vcc_lo, v20, v17 src0_sel:BYTE_0 src1_sel:DWORD
	v_and_b32_e32 v24, 0x7070707, v22
	v_perm_b32 v25, s15, 0x3020100, v23
	v_lshrrev_b32_e32 v22, 1, v22
	v_perm_b32 v23, s16, 0xfdfeff00, v23
	v_and_or_b32 v8, v8, s17, 0x3020100
	v_perm_b32 v26, s15, 0x3020100, v24
	v_perm_b32 v24, s16, 0xfdfeff00, v24
	v_and_or_b32 v22, v22, s17, 0x3020100
	v_add_nc_u32_e32 v14, 16, v14
	v_perm_b32 v8, v23, v25, v8
	v_ashrrev_i32_e32 v23, 4, v9
	v_and_b32_e32 v25, 0x7070707, v9
	v_perm_b32 v22, v24, v26, v22
	v_lshlrev_b32_sdwa v24, v19, v20 dst_sel:DWORD dst_unused:UNUSED_PAD src0_sel:DWORD src1_sel:BYTE_0
	v_dot4c_i32_i8 v27, v8, v6
	v_lshrrev_b32_e32 v6, 1, v9
	v_perm_b32 v8, s15, 0x3020100, v25
	v_and_b32_e32 v9, 0x7070707, v23
	v_add_co_u32 v2, s2, 0x240, v2
	v_dot4c_i32_i8 v27, v22, v4
	v_perm_b32 v4, s16, 0xfdfeff00, v25
	v_lshrrev_b32_e32 v22, 1, v23
	v_and_or_b32 v6, v6, s17, 0x3020100
	v_perm_b32 v23, s15, 0x3020100, v9
	v_perm_b32 v9, s16, 0xfdfeff00, v9
	v_add_co_ci_u32_e64 v3, null, 0, v3, s2
	v_and_or_b32 v22, v22, s17, 0x3020100
	v_perm_b32 v4, v4, v8, v6
	v_mul_f32_e32 v6, 0.5, v24
	v_perm_b32 v8, v9, v23, v22
	v_dot4c_i32_i8 v27, v4, v7
	v_cndmask_b32_e32 v4, 0x200000, v6, vcc_lo
	v_cmp_le_u32_e32 vcc_lo, s3, v14
	v_dot4c_i32_i8 v27, v8, v5
	v_mul_f32_e32 v4, v4, v21
	s_or_b32 s14, vcc_lo, s14
	v_cvt_f32_i32_e32 v5, v27
	v_fmac_f32_e32 v15, v4, v5
	s_andn2_b32 exec_lo, exec_lo, s14
	s_cbranch_execz .LBB73_16
.LBB73_14:                              ; =>This Inner Loop Header: Depth=1
	v_add_nc_u32_e32 v22, s11, v14
	v_add_co_u32 v4, vcc_lo, v2, v18
	v_add_co_ci_u32_e64 v5, null, 0, v3, vcc_lo
	v_mad_i64_i32 v[20:21], null, v22, 17, s[12:13]
	v_add_co_u32 v8, vcc_lo, v20, v16
	v_add_co_ci_u32_e64 v9, null, 0, v21, vcc_lo
	s_clause 0x2
	global_load_dword v23, v[2:3], off
	global_load_dwordx2 v[6:7], v[4:5], off offset:4
	global_load_dwordx2 v[4:5], v[4:5], off offset:20
	s_clause 0x1
	global_load_dwordx2 v[8:9], v[8:9], off offset:1
	global_load_ubyte v20, v[20:21], off
	s_andn2_b32 vcc_lo, exec_lo, s9
	s_waitcnt vmcnt(4)
	v_cvt_f32_f16_e32 v21, v23
	s_cbranch_vccnz .LBB73_13
; %bb.15:                               ;   in Loop: Header=BB73_14 Depth=1
	v_mad_i64_i32 v[22:23], null, v22, 17, s[28:29]
	v_add_co_u32 v24, vcc_lo, v22, v16
	v_add_co_ci_u32_e64 v25, null, 0, v23, vcc_lo
	s_clause 0x1
	global_load_dwordx2 v[24:25], v[24:25], off offset:1
	global_load_ubyte v22, v[22:23], off
	v_mov_b32_e32 v23, 0
	s_waitcnt vmcnt(1)
	v_ashrrev_i32_e32 v26, 4, v24
	v_and_b32_e32 v27, 0x7070707, v24
	v_lshrrev_b32_e32 v24, 1, v24
	v_ashrrev_i32_e32 v28, 4, v25
	v_and_b32_e32 v29, 0x7070707, v25
	v_and_b32_e32 v32, 0x7070707, v26
	v_perm_b32 v31, s15, 0x3020100, v27
	v_perm_b32 v27, s16, 0xfdfeff00, v27
	v_lshrrev_b32_e32 v26, 1, v26
	v_and_or_b32 v24, v24, s17, 0x3020100
	v_lshrrev_b32_e32 v25, 1, v25
	v_perm_b32 v34, s15, 0x3020100, v32
	v_perm_b32 v32, s16, 0xfdfeff00, v32
	v_and_or_b32 v26, v26, s17, 0x3020100
	v_perm_b32 v24, v27, v31, v24
	v_perm_b32 v33, s15, 0x3020100, v29
	v_and_b32_e32 v27, 0x7070707, v28
	v_perm_b32 v29, s16, 0xfdfeff00, v29
	v_lshrrev_b32_e32 v28, 1, v28
	v_perm_b32 v26, v32, v34, v26
	v_dot4c_i32_i8 v23, v24, v6
	v_and_or_b32 v24, v25, s17, 0x3020100
	s_waitcnt vmcnt(0)
	v_lshlrev_b32_e32 v30, 23, v22
	v_perm_b32 v25, s15, 0x3020100, v27
	v_perm_b32 v27, s16, 0xfdfeff00, v27
	v_and_or_b32 v28, v28, s17, 0x3020100
	v_dot4c_i32_i8 v23, v26, v4
	v_perm_b32 v24, v29, v33, v24
	v_mul_f32_e32 v26, 0.5, v30
	v_cmp_ne_u32_e32 vcc_lo, 0, v22
	v_perm_b32 v25, v27, v25, v28
	v_dot4c_i32_i8 v23, v24, v7
	v_cndmask_b32_e32 v22, 0x200000, v26, vcc_lo
	v_dot4c_i32_i8 v23, v25, v5
	v_mul_f32_e32 v22, v22, v21
	v_cvt_f32_i32_e32 v23, v23
	v_fmac_f32_e32 v13, v22, v23
	s_branch .LBB73_13
.LBB73_16:
	s_or_b32 exec_lo, exec_lo, s14
.LBB73_17:
	s_or_b32 exec_lo, exec_lo, s7
	s_load_dword s2, s[4:5], 0x30
	s_waitcnt vmcnt(0) lgkmcnt(0)
	; wave barrier
	buffer_gl0_inv
	s_mov_b32 s3, exec_lo
	v_cmpx_eq_u32_e32 0, v1
	s_cbranch_execz .LBB73_44
; %bb.18:
	v_mbcnt_lo_u32_b32 v2, -1, 0
	v_xor_b32_e32 v1, 16, v2
	v_xor_b32_e32 v4, 8, v2
	;; [unrolled: 1-line block ×3, first 2 shown]
	v_cmp_gt_i32_e32 vcc_lo, 32, v1
	v_cndmask_b32_e32 v1, v2, v1, vcc_lo
	v_cmp_gt_i32_e32 vcc_lo, 32, v4
	v_lshlrev_b32_e32 v1, 2, v1
	v_cndmask_b32_e32 v4, v2, v4, vcc_lo
	v_cmp_gt_i32_e32 vcc_lo, 32, v5
	ds_bpermute_b32 v3, v1, v15
	v_lshlrev_b32_e32 v4, 2, v4
	v_cndmask_b32_e32 v5, v2, v5, vcc_lo
	v_lshlrev_b32_e32 v5, 2, v5
	s_waitcnt lgkmcnt(0)
	v_add_f32_e32 v3, v15, v3
	ds_bpermute_b32 v6, v4, v3
	s_waitcnt lgkmcnt(0)
	v_add_f32_e32 v3, v3, v6
	v_xor_b32_e32 v6, 2, v2
	ds_bpermute_b32 v7, v5, v3
	v_cmp_gt_i32_e32 vcc_lo, 32, v6
	v_cndmask_b32_e32 v6, v2, v6, vcc_lo
	v_lshlrev_b32_e32 v6, 2, v6
	s_waitcnt lgkmcnt(0)
	v_add_f32_e32 v3, v3, v7
	v_xor_b32_e32 v7, 1, v2
	ds_bpermute_b32 v8, v6, v3
	v_cmp_gt_i32_e32 vcc_lo, 32, v7
	v_cndmask_b32_e32 v2, v2, v7, vcc_lo
	v_cmp_ne_u32_e32 vcc_lo, 1, v12
	v_lshlrev_b32_e32 v7, 2, v2
	s_waitcnt lgkmcnt(0)
	v_add_f32_e32 v2, v3, v8
	ds_bpermute_b32 v3, v7, v2
	s_cbranch_vccnz .LBB73_20
; %bb.19:
	ds_bpermute_b32 v1, v1, v13
	s_waitcnt lgkmcnt(0)
	v_add_f32_e32 v1, v13, v1
	ds_bpermute_b32 v4, v4, v1
	s_waitcnt lgkmcnt(0)
	v_add_f32_e32 v1, v1, v4
	;; [unrolled: 3-line block ×5, first 2 shown]
.LBB73_20:
	v_cmp_eq_u32_e32 vcc_lo, 0, v0
	s_and_b32 exec_lo, exec_lo, vcc_lo
	s_cbranch_execz .LBB73_44
; %bb.21:
	s_waitcnt lgkmcnt(0)
	v_add_f32_e32 v1, v2, v3
	v_cmp_ne_u32_e32 vcc_lo, 1, v12
	v_add_f32_e32 v2, v11, v1
	v_cndmask_b32_e64 v1, v1, v2, s0
	s_cbranch_vccnz .LBB73_43
; %bb.22:
	v_add_f32_e32 v2, v10, v13
	s_cmp_lt_i32 s2, 2
	s_mov_b32 s0, 0
	v_cndmask_b32_e64 v2, v13, v2, s1
	s_cbranch_scc1 .LBB73_26
; %bb.23:
	s_cmp_gt_i32 s2, 2
	s_cbranch_scc0 .LBB73_27
; %bb.24:
	s_cmp_eq_u32 s2, 3
	s_cbranch_scc0 .LBB73_28
; %bb.25:
	v_max_f32_e32 v3, v2, v2
	s_mov_b32 s1, 0
	v_min_f32_e32 v3, 0x40e00000, v3
	v_mul_f32_e32 v4, 0xbfd9db23, v3
	v_mul_f32_e32 v5, 0x3fb8aa3b, v4
	v_cmp_ngt_f32_e32 vcc_lo, 0xc2ce8ed0, v4
	v_fma_f32 v6, 0x3fb8aa3b, v4, -v5
	v_rndne_f32_e32 v7, v5
	v_fmamk_f32 v6, v4, 0x32a5705f, v6
	v_sub_f32_e32 v5, v5, v7
	v_add_f32_e32 v5, v5, v6
	v_cvt_i32_f32_e32 v6, v7
	v_exp_f32_e32 v5, v5
	v_ldexp_f32 v5, v5, v6
	v_cndmask_b32_e32 v5, 0, v5, vcc_lo
	v_cmp_nlt_f32_e32 vcc_lo, 0x42b17218, v4
	v_cndmask_b32_e32 v4, 0x7f800000, v5, vcc_lo
	v_add_f32_e32 v4, 1.0, v4
	v_div_scale_f32 v5, null, v4, v4, v3
	v_div_scale_f32 v8, vcc_lo, v3, v4, v3
	v_rcp_f32_e32 v6, v5
	v_fma_f32 v7, -v5, v6, 1.0
	v_fmac_f32_e32 v6, v7, v6
	v_mul_f32_e32 v7, v8, v6
	v_fma_f32 v9, -v5, v7, v8
	v_fmac_f32_e32 v7, v9, v6
	v_max_f32_e32 v9, v1, v1
	v_fma_f32 v5, -v5, v7, v8
	v_min_f32_e32 v8, 0x40e00000, v9
	v_div_fmas_f32 v5, v5, v6, v7
	v_max_f32_e32 v6, 0xc0e00000, v8
	v_div_fixup_f32 v3, v5, v4, v3
	v_add_f32_e32 v4, 1.0, v6
	v_mul_f32_e32 v3, v4, v3
	s_branch .LBB73_29
.LBB73_26:
	s_mov_b32 s1, 0
                                        ; implicit-def: $vgpr3
	s_cbranch_execnz .LBB73_33
	s_branch .LBB73_34
.LBB73_27:
	s_mov_b32 s3, -1
	s_mov_b32 s1, 0
                                        ; implicit-def: $vgpr3
	s_branch .LBB73_30
.LBB73_28:
	s_mov_b32 s1, -1
                                        ; implicit-def: $vgpr3
.LBB73_29:
	s_mov_b32 s3, 0
.LBB73_30:
	s_and_b32 vcc_lo, exec_lo, s3
	s_cbranch_vccz .LBB73_32
; %bb.31:
	v_mul_f32_e32 v3, 0xbfb8aa3b, v2
	v_cmp_nlt_f32_e32 vcc_lo, 0x42ce8ed0, v2
	v_rndne_f32_e32 v4, v3
	v_fma_f32 v5, 0xbfb8aa3b, v2, -v3
	v_sub_f32_e32 v3, v3, v4
	v_fmamk_f32 v5, v2, 0xb2a5705f, v5
	v_cvt_i32_f32_e32 v4, v4
	v_add_f32_e32 v3, v3, v5
	v_exp_f32_e32 v3, v3
	v_ldexp_f32 v3, v3, v4
	v_cndmask_b32_e32 v3, 0, v3, vcc_lo
	v_cmp_ngt_f32_e32 vcc_lo, 0xc2b17218, v2
	v_cndmask_b32_e32 v3, 0x7f800000, v3, vcc_lo
	v_add_f32_e32 v3, 1.0, v3
	v_div_scale_f32 v4, null, v3, v3, v2
	v_rcp_f32_e32 v5, v4
	v_fma_f32 v6, -v4, v5, 1.0
	v_fmac_f32_e32 v5, v6, v5
	v_div_scale_f32 v6, vcc_lo, v2, v3, v2
	v_mul_f32_e32 v7, v6, v5
	v_fma_f32 v8, -v4, v7, v6
	v_fmac_f32_e32 v7, v8, v5
	v_fma_f32 v4, -v4, v7, v6
	v_div_fmas_f32 v4, v4, v5, v7
	v_div_fixup_f32 v3, v4, v3, v2
	v_mul_f32_e32 v3, v1, v3
.LBB73_32:
	s_branch .LBB73_34
.LBB73_33:
	s_cmp_lg_u32 s2, 1
	s_mov_b32 s0, -1
	s_cselect_b32 s1, -1, 0
.LBB73_34:
	s_andn2_b32 vcc_lo, exec_lo, s1
	s_cbranch_vccz .LBB73_36
; %bb.35:
	s_andn2_b32 vcc_lo, exec_lo, s0
	s_cbranch_vccz .LBB73_37
	s_branch .LBB73_42
.LBB73_36:
	v_mul_f32_e32 v3, v2, v1
	s_cbranch_execnz .LBB73_42
.LBB73_37:
	v_mul_f32_e32 v3, 0x3d372713, v2
	v_mul_f32_e32 v4, 0x3f4c422a, v2
	v_fma_f32 v3, v2, v3, 1.0
	v_mul_f32_e32 v3, v4, v3
                                        ; implicit-def: $vgpr4
	v_cmp_ngt_f32_e64 s0, 0x3f200000, |v3|
	s_and_saveexec_b32 s1, s0
	s_xor_b32 s0, exec_lo, s1
	s_cbranch_execz .LBB73_39
; %bb.38:
	v_add_f32_e64 v4, |v3|, |v3|
	v_mul_f32_e32 v5, 0x3fb8aa3b, v4
	v_cmp_ngt_f32_e32 vcc_lo, 0xc2ce8ed0, v4
	v_rndne_f32_e32 v6, v5
	v_fma_f32 v7, 0x3fb8aa3b, v4, -v5
	v_sub_f32_e32 v5, v5, v6
	v_fmamk_f32 v7, v4, 0x32a5705f, v7
	v_cvt_i32_f32_e32 v6, v6
	v_add_f32_e32 v5, v5, v7
	v_exp_f32_e32 v5, v5
	v_ldexp_f32 v5, v5, v6
	v_cndmask_b32_e32 v5, 0, v5, vcc_lo
	v_cmp_nlt_f32_e32 vcc_lo, 0x42b17218, v4
	v_cndmask_b32_e32 v4, 0x7f800000, v5, vcc_lo
	v_add_f32_e32 v4, 1.0, v4
	v_rcp_f32_e32 v4, v4
	v_fma_f32 v4, v4, -2.0, 1.0
.LBB73_39:
	s_andn2_saveexec_b32 s0, s0
	s_cbranch_execz .LBB73_41
; %bb.40:
	v_mul_f32_e32 v4, v3, v3
	s_mov_b32 s1, 0xbbbac73d
	v_fmaak_f32 v5, s1, v4, 0x3ca908c9
	v_fmaak_f32 v5, v4, v5, 0xbd5c1c4e
	;; [unrolled: 1-line block ×4, first 2 shown]
	v_mul_f32_e64 v5, |v3|, v5
	v_fma_f32 v4, v4, v5, |v3|
.LBB73_41:
	s_or_b32 exec_lo, exec_lo, s0
	v_bfi_b32 v3, 0x7fffffff, v4, v3
	v_mul_f32_e32 v2, 0.5, v2
	v_add_f32_e32 v3, 1.0, v3
	v_mul_f32_e32 v2, v2, v3
	v_mul_f32_e32 v3, v1, v2
.LBB73_42:
	v_mov_b32_e32 v1, v3
.LBB73_43:
	s_load_dwordx2 s[0:1], s[4:5], 0x38
	s_mul_i32 s2, s22, s10
	s_mul_i32 s3, s26, s8
	s_add_i32 s2, s2, s6
	v_lshlrev_b32_e32 v0, 2, v0
	s_add_i32 s2, s2, s3
	s_mov_b32 s3, 0
	s_lshl_b64 s[2:3], s[2:3], 2
	s_waitcnt lgkmcnt(0)
	s_add_u32 s0, s0, s2
	s_addc_u32 s1, s1, s3
	global_store_dword v0, v1, s[0:1]
.LBB73_44:
	s_endpgm
	.section	.rodata,"a",@progbits
	.p2align	6, 0x0
	.amdhsa_kernel _ZL13mul_mat_vec_qIL9ggml_type39ELi1ELb1ELb1EEvPKvS2_PKi31ggml_cuda_mm_fusion_args_devicePfj15HIP_vector_typeIjLj3EEjjjS8_jjjS8_jjjj
		.amdhsa_group_segment_fixed_size 0
		.amdhsa_private_segment_fixed_size 0
		.amdhsa_kernarg_size 144
		.amdhsa_user_sgpr_count 6
		.amdhsa_user_sgpr_private_segment_buffer 1
		.amdhsa_user_sgpr_dispatch_ptr 0
		.amdhsa_user_sgpr_queue_ptr 0
		.amdhsa_user_sgpr_kernarg_segment_ptr 1
		.amdhsa_user_sgpr_dispatch_id 0
		.amdhsa_user_sgpr_flat_scratch_init 0
		.amdhsa_user_sgpr_private_segment_size 0
		.amdhsa_wavefront_size32 1
		.amdhsa_uses_dynamic_stack 0
		.amdhsa_system_sgpr_private_segment_wavefront_offset 0
		.amdhsa_system_sgpr_workgroup_id_x 1
		.amdhsa_system_sgpr_workgroup_id_y 1
		.amdhsa_system_sgpr_workgroup_id_z 1
		.amdhsa_system_sgpr_workgroup_info 0
		.amdhsa_system_vgpr_workitem_id 1
		.amdhsa_next_free_vgpr 35
		.amdhsa_next_free_sgpr 40
		.amdhsa_reserve_vcc 1
		.amdhsa_reserve_flat_scratch 0
		.amdhsa_float_round_mode_32 0
		.amdhsa_float_round_mode_16_64 0
		.amdhsa_float_denorm_mode_32 3
		.amdhsa_float_denorm_mode_16_64 3
		.amdhsa_dx10_clamp 1
		.amdhsa_ieee_mode 1
		.amdhsa_fp16_overflow 0
		.amdhsa_workgroup_processor_mode 1
		.amdhsa_memory_ordered 1
		.amdhsa_forward_progress 1
		.amdhsa_shared_vgpr_count 0
		.amdhsa_exception_fp_ieee_invalid_op 0
		.amdhsa_exception_fp_denorm_src 0
		.amdhsa_exception_fp_ieee_div_zero 0
		.amdhsa_exception_fp_ieee_overflow 0
		.amdhsa_exception_fp_ieee_underflow 0
		.amdhsa_exception_fp_ieee_inexact 0
		.amdhsa_exception_int_div_zero 0
	.end_amdhsa_kernel
	.section	.text._ZL13mul_mat_vec_qIL9ggml_type39ELi1ELb1ELb1EEvPKvS2_PKi31ggml_cuda_mm_fusion_args_devicePfj15HIP_vector_typeIjLj3EEjjjS8_jjjS8_jjjj,"axG",@progbits,_ZL13mul_mat_vec_qIL9ggml_type39ELi1ELb1ELb1EEvPKvS2_PKi31ggml_cuda_mm_fusion_args_devicePfj15HIP_vector_typeIjLj3EEjjjS8_jjjS8_jjjj,comdat
.Lfunc_end73:
	.size	_ZL13mul_mat_vec_qIL9ggml_type39ELi1ELb1ELb1EEvPKvS2_PKi31ggml_cuda_mm_fusion_args_devicePfj15HIP_vector_typeIjLj3EEjjjS8_jjjS8_jjjj, .Lfunc_end73-_ZL13mul_mat_vec_qIL9ggml_type39ELi1ELb1ELb1EEvPKvS2_PKi31ggml_cuda_mm_fusion_args_devicePfj15HIP_vector_typeIjLj3EEjjjS8_jjjS8_jjjj
                                        ; -- End function
	.set _ZL13mul_mat_vec_qIL9ggml_type39ELi1ELb1ELb1EEvPKvS2_PKi31ggml_cuda_mm_fusion_args_devicePfj15HIP_vector_typeIjLj3EEjjjS8_jjjS8_jjjj.num_vgpr, 35
	.set _ZL13mul_mat_vec_qIL9ggml_type39ELi1ELb1ELb1EEvPKvS2_PKi31ggml_cuda_mm_fusion_args_devicePfj15HIP_vector_typeIjLj3EEjjjS8_jjjS8_jjjj.num_agpr, 0
	.set _ZL13mul_mat_vec_qIL9ggml_type39ELi1ELb1ELb1EEvPKvS2_PKi31ggml_cuda_mm_fusion_args_devicePfj15HIP_vector_typeIjLj3EEjjjS8_jjjS8_jjjj.numbered_sgpr, 40
	.set _ZL13mul_mat_vec_qIL9ggml_type39ELi1ELb1ELb1EEvPKvS2_PKi31ggml_cuda_mm_fusion_args_devicePfj15HIP_vector_typeIjLj3EEjjjS8_jjjS8_jjjj.num_named_barrier, 0
	.set _ZL13mul_mat_vec_qIL9ggml_type39ELi1ELb1ELb1EEvPKvS2_PKi31ggml_cuda_mm_fusion_args_devicePfj15HIP_vector_typeIjLj3EEjjjS8_jjjS8_jjjj.private_seg_size, 0
	.set _ZL13mul_mat_vec_qIL9ggml_type39ELi1ELb1ELb1EEvPKvS2_PKi31ggml_cuda_mm_fusion_args_devicePfj15HIP_vector_typeIjLj3EEjjjS8_jjjS8_jjjj.uses_vcc, 1
	.set _ZL13mul_mat_vec_qIL9ggml_type39ELi1ELb1ELb1EEvPKvS2_PKi31ggml_cuda_mm_fusion_args_devicePfj15HIP_vector_typeIjLj3EEjjjS8_jjjS8_jjjj.uses_flat_scratch, 0
	.set _ZL13mul_mat_vec_qIL9ggml_type39ELi1ELb1ELb1EEvPKvS2_PKi31ggml_cuda_mm_fusion_args_devicePfj15HIP_vector_typeIjLj3EEjjjS8_jjjS8_jjjj.has_dyn_sized_stack, 0
	.set _ZL13mul_mat_vec_qIL9ggml_type39ELi1ELb1ELb1EEvPKvS2_PKi31ggml_cuda_mm_fusion_args_devicePfj15HIP_vector_typeIjLj3EEjjjS8_jjjS8_jjjj.has_recursion, 0
	.set _ZL13mul_mat_vec_qIL9ggml_type39ELi1ELb1ELb1EEvPKvS2_PKi31ggml_cuda_mm_fusion_args_devicePfj15HIP_vector_typeIjLj3EEjjjS8_jjjS8_jjjj.has_indirect_call, 0
	.section	.AMDGPU.csdata,"",@progbits
; Kernel info:
; codeLenInByte = 2584
; TotalNumSgprs: 42
; NumVgprs: 35
; ScratchSize: 0
; MemoryBound: 0
; FloatMode: 240
; IeeeMode: 1
; LDSByteSize: 0 bytes/workgroup (compile time only)
; SGPRBlocks: 0
; VGPRBlocks: 4
; NumSGPRsForWavesPerEU: 42
; NumVGPRsForWavesPerEU: 35
; Occupancy: 16
; WaveLimiterHint : 0
; COMPUTE_PGM_RSRC2:SCRATCH_EN: 0
; COMPUTE_PGM_RSRC2:USER_SGPR: 6
; COMPUTE_PGM_RSRC2:TRAP_HANDLER: 0
; COMPUTE_PGM_RSRC2:TGID_X_EN: 1
; COMPUTE_PGM_RSRC2:TGID_Y_EN: 1
; COMPUTE_PGM_RSRC2:TGID_Z_EN: 1
; COMPUTE_PGM_RSRC2:TIDIG_COMP_CNT: 1
	.section	.text._ZL13mul_mat_vec_qIL9ggml_type39ELi1ELb0ELb1EEvPKvS2_PKi31ggml_cuda_mm_fusion_args_devicePfj15HIP_vector_typeIjLj3EEjjjS8_jjjS8_jjjj,"axG",@progbits,_ZL13mul_mat_vec_qIL9ggml_type39ELi1ELb0ELb1EEvPKvS2_PKi31ggml_cuda_mm_fusion_args_devicePfj15HIP_vector_typeIjLj3EEjjjS8_jjjS8_jjjj,comdat
	.globl	_ZL13mul_mat_vec_qIL9ggml_type39ELi1ELb0ELb1EEvPKvS2_PKi31ggml_cuda_mm_fusion_args_devicePfj15HIP_vector_typeIjLj3EEjjjS8_jjjS8_jjjj ; -- Begin function _ZL13mul_mat_vec_qIL9ggml_type39ELi1ELb0ELb1EEvPKvS2_PKi31ggml_cuda_mm_fusion_args_devicePfj15HIP_vector_typeIjLj3EEjjjS8_jjjS8_jjjj
	.p2align	8
	.type	_ZL13mul_mat_vec_qIL9ggml_type39ELi1ELb0ELb1EEvPKvS2_PKi31ggml_cuda_mm_fusion_args_devicePfj15HIP_vector_typeIjLj3EEjjjS8_jjjS8_jjjj,@function
_ZL13mul_mat_vec_qIL9ggml_type39ELi1ELb0ELb1EEvPKvS2_PKi31ggml_cuda_mm_fusion_args_devicePfj15HIP_vector_typeIjLj3EEjjjS8_jjjS8_jjjj: ; @_ZL13mul_mat_vec_qIL9ggml_type39ELi1ELb0ELb1EEvPKvS2_PKi31ggml_cuda_mm_fusion_args_devicePfj15HIP_vector_typeIjLj3EEjjjS8_jjjS8_jjjj
; %bb.0:
	s_clause 0x1
	s_load_dwordx2 s[0:1], s[4:5], 0x10
	s_load_dwordx4 s[16:19], s[4:5], 0x40
	s_mov_b32 s10, s7
	s_waitcnt lgkmcnt(0)
	s_cmp_lg_u64 s[0:1], 0
	s_cselect_b32 s7, -1, 0
	s_cmp_eq_u64 s[0:1], 0
	s_cbranch_scc1 .LBB74_5
; %bb.1:
	s_mov_b32 s11, 0
	s_lshl_b64 s[2:3], s[10:11], 2
	s_add_u32 s0, s0, s2
	s_addc_u32 s1, s1, s3
	s_load_dword s20, s[0:1], 0x0
	s_clause 0x1
	s_load_dwordx4 s[0:3], s[4:5], 0x68
	s_load_dword s21, s[4:5], 0x50
	s_cbranch_execnz .LBB74_3
.LBB74_2:
	s_load_dwordx2 s[12:13], s[4:5], 0x5c
	s_waitcnt lgkmcnt(0)
	s_mul_hi_u32 s9, s12, s10
	s_add_i32 s9, s10, s9
	s_lshr_b32 s20, s9, s13
.LBB74_3:
	s_load_dword s11, s[4:5], 0x78
	s_andn2_b32 vcc_lo, exec_lo, s7
	s_cbranch_vccnz .LBB74_6
; %bb.4:
	s_mul_hi_u32 s7, s17, s10
	s_add_i32 s7, s10, s7
	s_lshr_b32 s7, s7, s18
	s_mul_i32 s7, s7, s19
	s_sub_i32 s22, s10, s7
	s_branch .LBB74_7
.LBB74_5:
                                        ; implicit-def: $sgpr20
	s_clause 0x1
	s_load_dwordx4 s[0:3], s[4:5], 0x68
	s_load_dword s21, s[4:5], 0x50
	s_branch .LBB74_2
.LBB74_6:
	s_mov_b32 s22, s10
.LBB74_7:
	s_load_dwordx4 s[12:15], s[4:5], 0x80
	v_lshl_or_b32 v2, v1, 5, v0
	v_mov_b32_e32 v4, 0
	s_lshr_b32 s9, s16, 5
	s_mov_b32 s7, exec_lo
	v_lshrrev_b16 v3, 1, v2
	v_and_b32_e32 v5, 0xffff, v3
	v_cmpx_gt_u32_e64 s9, v5
	s_cbranch_execz .LBB74_11
; %bb.8:
	s_load_dwordx4 s[16:19], s[4:5], 0x0
	s_waitcnt lgkmcnt(0)
	s_mul_hi_u32 s3, s3, s8
	s_mul_i32 s21, s21, s6
	s_add_i32 s3, s8, s3
	s_mul_i32 s13, s13, s8
	s_lshr_b32 s3, s3, s11
	s_mul_i32 s0, s20, s0
	s_mul_i32 s3, s3, s12
	;; [unrolled: 1-line block ×3, first 2 shown]
	s_add_i32 s3, s3, s21
	s_mul_hi_u32 s12, s13, 36
	s_add_i32 s1, s0, s3
	s_mul_i32 s3, s13, 36
	v_lshlrev_b32_e32 v3, 3, v0
	v_lshrrev_b32_e32 v2, 1, v2
	s_mul_hi_u32 s0, s11, 36
	s_mul_i32 s11, s11, 36
	v_and_b32_e32 v7, 1, v0
	v_and_b32_e32 v6, 8, v3
	v_mov_b32_e32 v4, 0
	s_add_u32 s3, s18, s3
	s_addc_u32 s13, s19, s12
	s_add_u32 s12, s3, s11
	s_addc_u32 s13, s13, s0
	v_lshlrev_b32_e32 v7, 3, v7
	v_mad_u64_u32 v[2:3], null, v2, 36, s[12:13]
	s_mov_b32 s3, 0
	s_mov_b32 s11, 0xc080604
	s_mov_b32 s12, 0xf4f8fafc
	s_mov_b32 s13, 0x4040404
.LBB74_9:                               ; =>This Inner Loop Header: Depth=1
	v_add_nc_u32_e32 v10, s1, v5
	v_add_co_u32 v8, vcc_lo, v2, v7
	v_add_co_ci_u32_e64 v9, null, 0, v3, vcc_lo
	v_mad_i64_i32 v[10:11], null, v10, 17, s[16:17]
	s_clause 0x1
	global_load_dwordx2 v[12:13], v[8:9], off offset:4
	global_load_dwordx2 v[8:9], v[8:9], off offset:20
	v_mov_b32_e32 v16, 0
	v_add_nc_u32_e32 v5, 16, v5
	v_add_co_u32 v14, vcc_lo, v10, v6
	v_add_co_ci_u32_e64 v15, null, 0, v11, vcc_lo
	v_cmp_le_u32_e64 s0, s9, v5
	s_clause 0x1
	global_load_dwordx2 v[14:15], v[14:15], off offset:1
	global_load_ubyte v10, v[10:11], off
	global_load_dword v11, v[2:3], off
	s_or_b32 s3, s0, s3
	s_waitcnt vmcnt(2)
	v_ashrrev_i32_e32 v18, 4, v14
	v_and_b32_e32 v19, 0x7070707, v14
	v_lshrrev_b32_e32 v14, 1, v14
	v_ashrrev_i32_e32 v20, 4, v15
	v_and_b32_e32 v21, 0x7070707, v15
	v_and_b32_e32 v23, 0x7070707, v18
	v_perm_b32 v22, s11, 0x3020100, v19
	v_perm_b32 v19, s12, 0xfdfeff00, v19
	v_and_or_b32 v14, v14, s13, 0x3020100
	v_lshrrev_b32_e32 v18, 1, v18
	v_lshrrev_b32_e32 v15, 1, v15
	v_perm_b32 v26, s11, 0x3020100, v23
	v_perm_b32 v23, s12, 0xfdfeff00, v23
	;; [unrolled: 1-line block ×3, first 2 shown]
	v_and_or_b32 v18, v18, s13, 0x3020100
	v_perm_b32 v24, s11, 0x3020100, v21
	v_and_b32_e32 v25, 0x7070707, v20
	v_perm_b32 v21, s12, 0xfdfeff00, v21
	v_and_or_b32 v15, v15, s13, 0x3020100
	v_lshrrev_b32_e32 v19, 1, v20
	v_perm_b32 v18, v23, v26, v18
	v_dot4c_i32_i8 v16, v14, v12
	s_waitcnt vmcnt(1)
	v_lshlrev_b32_e32 v17, 23, v10
	v_perm_b32 v20, s11, 0x3020100, v25
	v_perm_b32 v12, s12, 0xfdfeff00, v25
	;; [unrolled: 1-line block ×3, first 2 shown]
	v_and_or_b32 v15, v19, s13, 0x3020100
	v_dot4c_i32_i8 v16, v18, v8
	v_mul_f32_e32 v8, 0.5, v17
	v_cmp_ne_u32_e32 vcc_lo, 0, v10
	s_waitcnt vmcnt(0)
	v_cvt_f32_f16_e32 v11, v11
	v_perm_b32 v12, v12, v20, v15
	v_dot4c_i32_i8 v16, v14, v13
	v_cndmask_b32_e32 v8, 0x200000, v8, vcc_lo
	v_add_co_u32 v2, vcc_lo, 0x240, v2
	v_dot4c_i32_i8 v16, v12, v9
	v_add_co_ci_u32_e64 v3, null, 0, v3, vcc_lo
	v_mul_f32_e32 v8, v8, v11
	v_cvt_f32_i32_e32 v9, v16
	v_fmac_f32_e32 v4, v8, v9
	s_andn2_b32 exec_lo, exec_lo, s3
	s_cbranch_execnz .LBB74_9
; %bb.10:
	s_or_b32 exec_lo, exec_lo, s3
.LBB74_11:
	s_or_b32 exec_lo, exec_lo, s7
	s_waitcnt lgkmcnt(0)
	; wave barrier
	buffer_gl0_inv
	s_mov_b32 s0, exec_lo
	v_cmpx_eq_u32_e32 0, v1
	s_cbranch_execz .LBB74_14
; %bb.12:
	v_mbcnt_lo_u32_b32 v1, -1, 0
	v_xor_b32_e32 v2, 16, v1
	v_xor_b32_e32 v3, 8, v1
	v_cmp_gt_i32_e32 vcc_lo, 32, v2
	v_cndmask_b32_e32 v2, v1, v2, vcc_lo
	v_cmp_gt_i32_e32 vcc_lo, 32, v3
	v_lshlrev_b32_e32 v2, 2, v2
	v_cndmask_b32_e32 v3, v1, v3, vcc_lo
	ds_bpermute_b32 v2, v2, v4
	v_lshlrev_b32_e32 v3, 2, v3
	s_waitcnt lgkmcnt(0)
	v_add_f32_e32 v2, v4, v2
	v_xor_b32_e32 v4, 4, v1
	ds_bpermute_b32 v3, v3, v2
	v_cmp_gt_i32_e32 vcc_lo, 32, v4
	v_cndmask_b32_e32 v4, v1, v4, vcc_lo
	v_lshlrev_b32_e32 v4, 2, v4
	s_waitcnt lgkmcnt(0)
	v_add_f32_e32 v2, v2, v3
	ds_bpermute_b32 v3, v4, v2
	v_xor_b32_e32 v4, 2, v1
	v_cmp_gt_i32_e32 vcc_lo, 32, v4
	v_cndmask_b32_e32 v4, v1, v4, vcc_lo
	v_lshlrev_b32_e32 v4, 2, v4
	s_waitcnt lgkmcnt(0)
	v_add_f32_e32 v2, v2, v3
	ds_bpermute_b32 v3, v4, v2
	v_xor_b32_e32 v4, 1, v1
	v_cmp_gt_i32_e32 vcc_lo, 32, v4
	v_cndmask_b32_e32 v1, v1, v4, vcc_lo
	v_cmp_eq_u32_e32 vcc_lo, 0, v0
	v_lshlrev_b32_e32 v4, 2, v1
	s_waitcnt lgkmcnt(0)
	v_add_f32_e32 v1, v2, v3
	ds_bpermute_b32 v2, v4, v1
	s_and_b32 exec_lo, exec_lo, vcc_lo
	s_cbranch_execz .LBB74_14
; %bb.13:
	s_load_dwordx2 s[0:1], s[4:5], 0x38
	s_mul_i32 s2, s2, s10
	s_mul_i32 s3, s14, s8
	s_add_i32 s2, s2, s6
	s_waitcnt lgkmcnt(0)
	v_add_f32_e32 v0, v1, v2
	s_add_i32 s2, s2, s3
	s_mov_b32 s3, 0
	v_mov_b32_e32 v1, 0
	s_lshl_b64 s[2:3], s[2:3], 2
	s_add_u32 s0, s0, s2
	s_addc_u32 s1, s1, s3
	global_store_dword v1, v0, s[0:1]
.LBB74_14:
	s_endpgm
	.section	.rodata,"a",@progbits
	.p2align	6, 0x0
	.amdhsa_kernel _ZL13mul_mat_vec_qIL9ggml_type39ELi1ELb0ELb1EEvPKvS2_PKi31ggml_cuda_mm_fusion_args_devicePfj15HIP_vector_typeIjLj3EEjjjS8_jjjS8_jjjj
		.amdhsa_group_segment_fixed_size 0
		.amdhsa_private_segment_fixed_size 0
		.amdhsa_kernarg_size 144
		.amdhsa_user_sgpr_count 6
		.amdhsa_user_sgpr_private_segment_buffer 1
		.amdhsa_user_sgpr_dispatch_ptr 0
		.amdhsa_user_sgpr_queue_ptr 0
		.amdhsa_user_sgpr_kernarg_segment_ptr 1
		.amdhsa_user_sgpr_dispatch_id 0
		.amdhsa_user_sgpr_flat_scratch_init 0
		.amdhsa_user_sgpr_private_segment_size 0
		.amdhsa_wavefront_size32 1
		.amdhsa_uses_dynamic_stack 0
		.amdhsa_system_sgpr_private_segment_wavefront_offset 0
		.amdhsa_system_sgpr_workgroup_id_x 1
		.amdhsa_system_sgpr_workgroup_id_y 1
		.amdhsa_system_sgpr_workgroup_id_z 1
		.amdhsa_system_sgpr_workgroup_info 0
		.amdhsa_system_vgpr_workitem_id 1
		.amdhsa_next_free_vgpr 27
		.amdhsa_next_free_sgpr 23
		.amdhsa_reserve_vcc 1
		.amdhsa_reserve_flat_scratch 0
		.amdhsa_float_round_mode_32 0
		.amdhsa_float_round_mode_16_64 0
		.amdhsa_float_denorm_mode_32 3
		.amdhsa_float_denorm_mode_16_64 3
		.amdhsa_dx10_clamp 1
		.amdhsa_ieee_mode 1
		.amdhsa_fp16_overflow 0
		.amdhsa_workgroup_processor_mode 1
		.amdhsa_memory_ordered 1
		.amdhsa_forward_progress 1
		.amdhsa_shared_vgpr_count 0
		.amdhsa_exception_fp_ieee_invalid_op 0
		.amdhsa_exception_fp_denorm_src 0
		.amdhsa_exception_fp_ieee_div_zero 0
		.amdhsa_exception_fp_ieee_overflow 0
		.amdhsa_exception_fp_ieee_underflow 0
		.amdhsa_exception_fp_ieee_inexact 0
		.amdhsa_exception_int_div_zero 0
	.end_amdhsa_kernel
	.section	.text._ZL13mul_mat_vec_qIL9ggml_type39ELi1ELb0ELb1EEvPKvS2_PKi31ggml_cuda_mm_fusion_args_devicePfj15HIP_vector_typeIjLj3EEjjjS8_jjjS8_jjjj,"axG",@progbits,_ZL13mul_mat_vec_qIL9ggml_type39ELi1ELb0ELb1EEvPKvS2_PKi31ggml_cuda_mm_fusion_args_devicePfj15HIP_vector_typeIjLj3EEjjjS8_jjjS8_jjjj,comdat
.Lfunc_end74:
	.size	_ZL13mul_mat_vec_qIL9ggml_type39ELi1ELb0ELb1EEvPKvS2_PKi31ggml_cuda_mm_fusion_args_devicePfj15HIP_vector_typeIjLj3EEjjjS8_jjjS8_jjjj, .Lfunc_end74-_ZL13mul_mat_vec_qIL9ggml_type39ELi1ELb0ELb1EEvPKvS2_PKi31ggml_cuda_mm_fusion_args_devicePfj15HIP_vector_typeIjLj3EEjjjS8_jjjS8_jjjj
                                        ; -- End function
	.set _ZL13mul_mat_vec_qIL9ggml_type39ELi1ELb0ELb1EEvPKvS2_PKi31ggml_cuda_mm_fusion_args_devicePfj15HIP_vector_typeIjLj3EEjjjS8_jjjS8_jjjj.num_vgpr, 27
	.set _ZL13mul_mat_vec_qIL9ggml_type39ELi1ELb0ELb1EEvPKvS2_PKi31ggml_cuda_mm_fusion_args_devicePfj15HIP_vector_typeIjLj3EEjjjS8_jjjS8_jjjj.num_agpr, 0
	.set _ZL13mul_mat_vec_qIL9ggml_type39ELi1ELb0ELb1EEvPKvS2_PKi31ggml_cuda_mm_fusion_args_devicePfj15HIP_vector_typeIjLj3EEjjjS8_jjjS8_jjjj.numbered_sgpr, 23
	.set _ZL13mul_mat_vec_qIL9ggml_type39ELi1ELb0ELb1EEvPKvS2_PKi31ggml_cuda_mm_fusion_args_devicePfj15HIP_vector_typeIjLj3EEjjjS8_jjjS8_jjjj.num_named_barrier, 0
	.set _ZL13mul_mat_vec_qIL9ggml_type39ELi1ELb0ELb1EEvPKvS2_PKi31ggml_cuda_mm_fusion_args_devicePfj15HIP_vector_typeIjLj3EEjjjS8_jjjS8_jjjj.private_seg_size, 0
	.set _ZL13mul_mat_vec_qIL9ggml_type39ELi1ELb0ELb1EEvPKvS2_PKi31ggml_cuda_mm_fusion_args_devicePfj15HIP_vector_typeIjLj3EEjjjS8_jjjS8_jjjj.uses_vcc, 1
	.set _ZL13mul_mat_vec_qIL9ggml_type39ELi1ELb0ELb1EEvPKvS2_PKi31ggml_cuda_mm_fusion_args_devicePfj15HIP_vector_typeIjLj3EEjjjS8_jjjS8_jjjj.uses_flat_scratch, 0
	.set _ZL13mul_mat_vec_qIL9ggml_type39ELi1ELb0ELb1EEvPKvS2_PKi31ggml_cuda_mm_fusion_args_devicePfj15HIP_vector_typeIjLj3EEjjjS8_jjjS8_jjjj.has_dyn_sized_stack, 0
	.set _ZL13mul_mat_vec_qIL9ggml_type39ELi1ELb0ELb1EEvPKvS2_PKi31ggml_cuda_mm_fusion_args_devicePfj15HIP_vector_typeIjLj3EEjjjS8_jjjS8_jjjj.has_recursion, 0
	.set _ZL13mul_mat_vec_qIL9ggml_type39ELi1ELb0ELb1EEvPKvS2_PKi31ggml_cuda_mm_fusion_args_devicePfj15HIP_vector_typeIjLj3EEjjjS8_jjjS8_jjjj.has_indirect_call, 0
	.section	.AMDGPU.csdata,"",@progbits
; Kernel info:
; codeLenInByte = 1088
; TotalNumSgprs: 25
; NumVgprs: 27
; ScratchSize: 0
; MemoryBound: 0
; FloatMode: 240
; IeeeMode: 1
; LDSByteSize: 0 bytes/workgroup (compile time only)
; SGPRBlocks: 0
; VGPRBlocks: 3
; NumSGPRsForWavesPerEU: 25
; NumVGPRsForWavesPerEU: 27
; Occupancy: 16
; WaveLimiterHint : 0
; COMPUTE_PGM_RSRC2:SCRATCH_EN: 0
; COMPUTE_PGM_RSRC2:USER_SGPR: 6
; COMPUTE_PGM_RSRC2:TRAP_HANDLER: 0
; COMPUTE_PGM_RSRC2:TGID_X_EN: 1
; COMPUTE_PGM_RSRC2:TGID_Y_EN: 1
; COMPUTE_PGM_RSRC2:TGID_Z_EN: 1
; COMPUTE_PGM_RSRC2:TIDIG_COMP_CNT: 1
	.section	.text._ZL13mul_mat_vec_qIL9ggml_type39ELi1ELb1ELb0EEvPKvS2_PKi31ggml_cuda_mm_fusion_args_devicePfj15HIP_vector_typeIjLj3EEjjjS8_jjjS8_jjjj,"axG",@progbits,_ZL13mul_mat_vec_qIL9ggml_type39ELi1ELb1ELb0EEvPKvS2_PKi31ggml_cuda_mm_fusion_args_devicePfj15HIP_vector_typeIjLj3EEjjjS8_jjjS8_jjjj,comdat
	.globl	_ZL13mul_mat_vec_qIL9ggml_type39ELi1ELb1ELb0EEvPKvS2_PKi31ggml_cuda_mm_fusion_args_devicePfj15HIP_vector_typeIjLj3EEjjjS8_jjjS8_jjjj ; -- Begin function _ZL13mul_mat_vec_qIL9ggml_type39ELi1ELb1ELb0EEvPKvS2_PKi31ggml_cuda_mm_fusion_args_devicePfj15HIP_vector_typeIjLj3EEjjjS8_jjjS8_jjjj
	.p2align	8
	.type	_ZL13mul_mat_vec_qIL9ggml_type39ELi1ELb1ELb0EEvPKvS2_PKi31ggml_cuda_mm_fusion_args_devicePfj15HIP_vector_typeIjLj3EEjjjS8_jjjS8_jjjj,@function
_ZL13mul_mat_vec_qIL9ggml_type39ELi1ELb1ELb0EEvPKvS2_PKi31ggml_cuda_mm_fusion_args_devicePfj15HIP_vector_typeIjLj3EEjjjS8_jjjS8_jjjj: ; @_ZL13mul_mat_vec_qIL9ggml_type39ELi1ELb1ELb0EEvPKvS2_PKi31ggml_cuda_mm_fusion_args_devicePfj15HIP_vector_typeIjLj3EEjjjS8_jjjS8_jjjj
; %bb.0:
	s_clause 0x3
	s_load_dwordx8 s[12:19], s[4:5], 0x0
	s_load_dwordx4 s[28:31], s[4:5], 0x20
	s_load_dwordx4 s[36:39], s[4:5], 0x40
	;; [unrolled: 1-line block ×3, first 2 shown]
	s_mov_b32 s10, s7
	s_waitcnt lgkmcnt(0)
	s_cmp_lg_u64 s[16:17], 0
	s_cselect_b32 s0, -1, 0
	s_cmp_eq_u64 s[16:17], 0
	s_cbranch_scc1 .LBB75_5
; %bb.1:
	s_mov_b32 s11, 0
	s_lshl_b64 s[2:3], s[10:11], 2
	s_add_u32 s2, s16, s2
	s_addc_u32 s3, s17, s3
	s_load_dword s33, s[2:3], 0x0
	s_clause 0x1
	s_load_dword s34, s[4:5], 0x50
	s_load_dword s35, s[4:5], 0x78
	s_cbranch_execnz .LBB75_3
.LBB75_2:
	s_load_dwordx2 s[2:3], s[4:5], 0x5c
	s_waitcnt lgkmcnt(0)
	s_mul_hi_u32 s1, s2, s10
	s_add_i32 s1, s10, s1
	s_lshr_b32 s33, s1, s3
.LBB75_3:
	s_andn2_b32 vcc_lo, exec_lo, s0
	s_cbranch_vccnz .LBB75_6
; %bb.4:
	s_mul_hi_u32 s0, s37, s10
	s_waitcnt lgkmcnt(0)
	s_mov_b32 s1, s33
	s_add_i32 s0, s10, s0
	s_lshr_b32 s0, s0, s38
	s_mul_i32 s0, s0, s39
	s_sub_i32 s11, s10, s0
	s_branch .LBB75_7
.LBB75_5:
                                        ; implicit-def: $sgpr33
	s_clause 0x1
	s_load_dword s34, s[4:5], 0x50
	s_load_dword s35, s[4:5], 0x78
	s_branch .LBB75_2
.LBB75_6:
	s_mov_b32 s1, s10
	s_mov_b32 s11, s10
.LBB75_7:
	s_load_dwordx4 s[24:27], s[4:5], 0x80
	v_or_b32_e32 v2, v0, v1
	s_cmp_lg_u64 s[18:19], 0
	v_mov_b32_e32 v10, 0
	v_mov_b32_e32 v11, 0
	s_cselect_b32 s0, -1, 0
	v_cmp_eq_u32_e32 vcc_lo, 0, v2
	s_mov_b32 s17, 0
	s_mul_i32 s2, s1, s22
	s_and_b32 s3, s0, vcc_lo
	s_and_saveexec_b32 s1, s3
	s_cbranch_execz .LBB75_9
; %bb.8:
	s_waitcnt lgkmcnt(0)
	s_mul_i32 s16, s26, s8
	s_mov_b32 s3, s17
	s_lshl_b64 s[38:39], s[16:17], 2
	v_lshlrev_b32_e32 v2, 2, v0
	s_add_u32 s7, s18, s38
	s_addc_u32 s9, s19, s39
	s_lshl_b64 s[16:17], s[2:3], 2
	s_add_u32 s3, s7, s16
	s_addc_u32 s9, s9, s17
	s_ashr_i32 s7, s6, 31
	s_lshl_b64 s[16:17], s[6:7], 2
	s_add_u32 s16, s3, s16
	s_addc_u32 s17, s9, s17
	global_load_dword v11, v2, s[16:17]
.LBB75_9:
	s_or_b32 exec_lo, exec_lo, s1
	s_cmp_lg_u64 s[28:29], 0
	s_cselect_b32 s9, -1, 0
	s_cmp_lg_u64 s[30:31], 0
	s_cselect_b32 s1, -1, 0
	s_and_b32 s3, s1, s9
	s_and_b32 s3, s3, vcc_lo
	s_and_saveexec_b32 s16, s3
	s_cbranch_execz .LBB75_11
; %bb.10:
	s_waitcnt lgkmcnt(0)
	s_mul_i32 s18, s26, s8
	s_mov_b32 s19, 0
	v_lshlrev_b32_e32 v2, 2, v0
	s_lshl_b64 s[38:39], s[18:19], 2
	s_mov_b32 s3, s19
	s_add_u32 s7, s30, s38
	s_addc_u32 s17, s31, s39
	s_lshl_b64 s[2:3], s[2:3], 2
	s_add_u32 s18, s7, s2
	s_addc_u32 s17, s17, s3
	s_ashr_i32 s7, s6, 31
	s_lshl_b64 s[2:3], s[6:7], 2
	s_add_u32 s2, s18, s2
	s_addc_u32 s3, s17, s3
	global_load_dword v10, v2, s[2:3]
.LBB75_11:
	s_or_b32 exec_lo, exec_lo, s16
	v_lshl_or_b32 v2, v1, 5, v0
	v_mov_b32_e32 v15, 0
	v_cndmask_b32_e64 v12, 0, 1, s9
	v_mov_b32_e32 v13, 0
	s_lshr_b32 s3, s36, 5
	v_lshrrev_b16 v3, 1, v2
	s_mov_b32 s7, exec_lo
	v_and_b32_e32 v14, 0xffff, v3
	v_cmpx_gt_u32_e64 s3, v14
	s_cbranch_execz .LBB75_17
; %bb.12:
	s_mul_hi_u32 s2, s23, s8
	s_waitcnt lgkmcnt(0)
	s_mul_i32 s34, s34, s6
	s_add_i32 s2, s8, s2
	s_mul_i32 s16, s25, s8
	s_lshr_b32 s2, s2, s35
	s_mul_i32 s17, s33, s20
	s_mul_i32 s2, s2, s24
	;; [unrolled: 1-line block ×3, first 2 shown]
	s_add_i32 s2, s2, s34
	v_lshlrev_b32_e32 v3, 3, v0
	s_add_i32 s11, s17, s2
	s_mul_i32 s17, s16, 36
	s_mul_hi_u32 s16, s16, 36
	v_lshrrev_b32_e32 v2, 1, v2
	s_mul_hi_u32 s2, s18, 36
	s_mul_i32 s18, s18, 36
	s_add_u32 s14, s14, s17
	s_addc_u32 s15, s15, s16
	s_add_u32 s14, s14, s18
	v_and_b32_e32 v4, 1, v0
	s_addc_u32 s15, s15, s2
	v_and_b32_e32 v16, 8, v3
	v_mad_u64_u32 v[2:3], null, v2, 36, s[14:15]
	v_mov_b32_e32 v17, 0
	v_lshlrev_b32_e32 v18, 3, v4
	v_mov_b32_e32 v19, 23
	v_mov_b32_e32 v15, 0
	;; [unrolled: 1-line block ×3, first 2 shown]
	s_mov_b32 s14, 0
	s_mov_b32 s15, 0xc080604
	;; [unrolled: 1-line block ×4, first 2 shown]
	s_branch .LBB75_14
.LBB75_13:                              ;   in Loop: Header=BB75_14 Depth=1
	s_waitcnt vmcnt(1)
	v_ashrrev_i32_e32 v22, 4, v8
	v_and_b32_e32 v23, 0x7070707, v8
	v_lshrrev_b32_e32 v8, 1, v8
	v_mov_b32_e32 v27, 0
	s_waitcnt vmcnt(0)
	v_cmp_ne_u16_sdwa vcc_lo, v20, v17 src0_sel:BYTE_0 src1_sel:DWORD
	v_and_b32_e32 v24, 0x7070707, v22
	v_perm_b32 v25, s15, 0x3020100, v23
	v_lshrrev_b32_e32 v22, 1, v22
	v_perm_b32 v23, s16, 0xfdfeff00, v23
	v_and_or_b32 v8, v8, s17, 0x3020100
	v_perm_b32 v26, s15, 0x3020100, v24
	v_perm_b32 v24, s16, 0xfdfeff00, v24
	v_and_or_b32 v22, v22, s17, 0x3020100
	v_add_nc_u32_e32 v14, 16, v14
	v_perm_b32 v8, v23, v25, v8
	v_ashrrev_i32_e32 v23, 4, v9
	v_and_b32_e32 v25, 0x7070707, v9
	v_perm_b32 v22, v24, v26, v22
	v_lshlrev_b32_sdwa v24, v19, v20 dst_sel:DWORD dst_unused:UNUSED_PAD src0_sel:DWORD src1_sel:BYTE_0
	v_dot4c_i32_i8 v27, v8, v6
	v_lshrrev_b32_e32 v6, 1, v9
	v_perm_b32 v8, s15, 0x3020100, v25
	v_and_b32_e32 v9, 0x7070707, v23
	v_add_co_u32 v2, s2, 0x240, v2
	v_dot4c_i32_i8 v27, v22, v4
	v_perm_b32 v4, s16, 0xfdfeff00, v25
	v_lshrrev_b32_e32 v22, 1, v23
	v_and_or_b32 v6, v6, s17, 0x3020100
	v_perm_b32 v23, s15, 0x3020100, v9
	v_perm_b32 v9, s16, 0xfdfeff00, v9
	v_add_co_ci_u32_e64 v3, null, 0, v3, s2
	v_and_or_b32 v22, v22, s17, 0x3020100
	v_perm_b32 v4, v4, v8, v6
	v_mul_f32_e32 v6, 0.5, v24
	v_perm_b32 v8, v9, v23, v22
	v_dot4c_i32_i8 v27, v4, v7
	v_cndmask_b32_e32 v4, 0x200000, v6, vcc_lo
	v_cmp_le_u32_e32 vcc_lo, s3, v14
	v_dot4c_i32_i8 v27, v8, v5
	v_mul_f32_e32 v4, v4, v21
	s_or_b32 s14, vcc_lo, s14
	v_cvt_f32_i32_e32 v5, v27
	v_fmac_f32_e32 v15, v4, v5
	s_andn2_b32 exec_lo, exec_lo, s14
	s_cbranch_execz .LBB75_16
.LBB75_14:                              ; =>This Inner Loop Header: Depth=1
	v_add_nc_u32_e32 v22, s11, v14
	v_add_co_u32 v4, vcc_lo, v2, v18
	v_add_co_ci_u32_e64 v5, null, 0, v3, vcc_lo
	v_mad_i64_i32 v[20:21], null, v22, 17, s[12:13]
	v_add_co_u32 v8, vcc_lo, v20, v16
	v_add_co_ci_u32_e64 v9, null, 0, v21, vcc_lo
	s_clause 0x2
	global_load_dword v23, v[2:3], off
	global_load_dwordx2 v[6:7], v[4:5], off offset:4
	global_load_dwordx2 v[4:5], v[4:5], off offset:20
	s_clause 0x1
	global_load_dwordx2 v[8:9], v[8:9], off offset:1
	global_load_ubyte v20, v[20:21], off
	s_andn2_b32 vcc_lo, exec_lo, s9
	s_waitcnt vmcnt(4)
	v_cvt_f32_f16_e32 v21, v23
	s_cbranch_vccnz .LBB75_13
; %bb.15:                               ;   in Loop: Header=BB75_14 Depth=1
	v_mad_i64_i32 v[22:23], null, v22, 17, s[28:29]
	v_add_co_u32 v24, vcc_lo, v22, v16
	v_add_co_ci_u32_e64 v25, null, 0, v23, vcc_lo
	s_clause 0x1
	global_load_dwordx2 v[24:25], v[24:25], off offset:1
	global_load_ubyte v22, v[22:23], off
	v_mov_b32_e32 v23, 0
	s_waitcnt vmcnt(1)
	v_ashrrev_i32_e32 v26, 4, v24
	v_and_b32_e32 v27, 0x7070707, v24
	v_lshrrev_b32_e32 v24, 1, v24
	v_ashrrev_i32_e32 v28, 4, v25
	v_and_b32_e32 v29, 0x7070707, v25
	v_and_b32_e32 v32, 0x7070707, v26
	v_perm_b32 v31, s15, 0x3020100, v27
	v_perm_b32 v27, s16, 0xfdfeff00, v27
	v_lshrrev_b32_e32 v26, 1, v26
	v_and_or_b32 v24, v24, s17, 0x3020100
	v_lshrrev_b32_e32 v25, 1, v25
	v_perm_b32 v34, s15, 0x3020100, v32
	v_perm_b32 v32, s16, 0xfdfeff00, v32
	v_and_or_b32 v26, v26, s17, 0x3020100
	v_perm_b32 v24, v27, v31, v24
	v_perm_b32 v33, s15, 0x3020100, v29
	v_and_b32_e32 v27, 0x7070707, v28
	v_perm_b32 v29, s16, 0xfdfeff00, v29
	v_lshrrev_b32_e32 v28, 1, v28
	v_perm_b32 v26, v32, v34, v26
	v_dot4c_i32_i8 v23, v24, v6
	v_and_or_b32 v24, v25, s17, 0x3020100
	s_waitcnt vmcnt(0)
	v_lshlrev_b32_e32 v30, 23, v22
	v_perm_b32 v25, s15, 0x3020100, v27
	v_perm_b32 v27, s16, 0xfdfeff00, v27
	v_and_or_b32 v28, v28, s17, 0x3020100
	v_dot4c_i32_i8 v23, v26, v4
	v_perm_b32 v24, v29, v33, v24
	v_mul_f32_e32 v26, 0.5, v30
	v_cmp_ne_u32_e32 vcc_lo, 0, v22
	v_perm_b32 v25, v27, v25, v28
	v_dot4c_i32_i8 v23, v24, v7
	v_cndmask_b32_e32 v22, 0x200000, v26, vcc_lo
	v_dot4c_i32_i8 v23, v25, v5
	v_mul_f32_e32 v22, v22, v21
	v_cvt_f32_i32_e32 v23, v23
	v_fmac_f32_e32 v13, v22, v23
	s_branch .LBB75_13
.LBB75_16:
	s_or_b32 exec_lo, exec_lo, s14
.LBB75_17:
	s_or_b32 exec_lo, exec_lo, s7
	s_load_dword s2, s[4:5], 0x30
	s_waitcnt vmcnt(0) lgkmcnt(0)
	; wave barrier
	buffer_gl0_inv
	s_mov_b32 s3, exec_lo
	v_cmpx_eq_u32_e32 0, v1
	s_cbranch_execz .LBB75_44
; %bb.18:
	v_mbcnt_lo_u32_b32 v2, -1, 0
	v_xor_b32_e32 v1, 16, v2
	v_xor_b32_e32 v4, 8, v2
	;; [unrolled: 1-line block ×3, first 2 shown]
	v_cmp_gt_i32_e32 vcc_lo, 32, v1
	v_cndmask_b32_e32 v1, v2, v1, vcc_lo
	v_cmp_gt_i32_e32 vcc_lo, 32, v4
	v_lshlrev_b32_e32 v1, 2, v1
	v_cndmask_b32_e32 v4, v2, v4, vcc_lo
	v_cmp_gt_i32_e32 vcc_lo, 32, v5
	ds_bpermute_b32 v3, v1, v15
	v_lshlrev_b32_e32 v4, 2, v4
	v_cndmask_b32_e32 v5, v2, v5, vcc_lo
	v_lshlrev_b32_e32 v5, 2, v5
	s_waitcnt lgkmcnt(0)
	v_add_f32_e32 v3, v15, v3
	ds_bpermute_b32 v6, v4, v3
	s_waitcnt lgkmcnt(0)
	v_add_f32_e32 v3, v3, v6
	v_xor_b32_e32 v6, 2, v2
	ds_bpermute_b32 v7, v5, v3
	v_cmp_gt_i32_e32 vcc_lo, 32, v6
	v_cndmask_b32_e32 v6, v2, v6, vcc_lo
	v_lshlrev_b32_e32 v6, 2, v6
	s_waitcnt lgkmcnt(0)
	v_add_f32_e32 v3, v3, v7
	v_xor_b32_e32 v7, 1, v2
	ds_bpermute_b32 v8, v6, v3
	v_cmp_gt_i32_e32 vcc_lo, 32, v7
	v_cndmask_b32_e32 v2, v2, v7, vcc_lo
	v_cmp_ne_u32_e32 vcc_lo, 1, v12
	v_lshlrev_b32_e32 v7, 2, v2
	s_waitcnt lgkmcnt(0)
	v_add_f32_e32 v2, v3, v8
	ds_bpermute_b32 v3, v7, v2
	s_cbranch_vccnz .LBB75_20
; %bb.19:
	ds_bpermute_b32 v1, v1, v13
	s_waitcnt lgkmcnt(0)
	v_add_f32_e32 v1, v13, v1
	ds_bpermute_b32 v4, v4, v1
	s_waitcnt lgkmcnt(0)
	v_add_f32_e32 v1, v1, v4
	ds_bpermute_b32 v4, v5, v1
	s_waitcnt lgkmcnt(0)
	v_add_f32_e32 v1, v1, v4
	ds_bpermute_b32 v4, v6, v1
	s_waitcnt lgkmcnt(0)
	v_add_f32_e32 v1, v1, v4
	ds_bpermute_b32 v4, v7, v1
	s_waitcnt lgkmcnt(0)
	v_add_f32_e32 v13, v1, v4
.LBB75_20:
	v_cmp_eq_u32_e32 vcc_lo, 0, v0
	s_and_b32 exec_lo, exec_lo, vcc_lo
	s_cbranch_execz .LBB75_44
; %bb.21:
	s_waitcnt lgkmcnt(0)
	v_add_f32_e32 v1, v2, v3
	v_cmp_ne_u32_e32 vcc_lo, 1, v12
	v_add_f32_e32 v2, v11, v1
	v_cndmask_b32_e64 v1, v1, v2, s0
	s_cbranch_vccnz .LBB75_43
; %bb.22:
	v_add_f32_e32 v2, v10, v13
	s_cmp_lt_i32 s2, 2
	s_mov_b32 s0, 0
	v_cndmask_b32_e64 v2, v13, v2, s1
	s_cbranch_scc1 .LBB75_26
; %bb.23:
	s_cmp_gt_i32 s2, 2
	s_cbranch_scc0 .LBB75_27
; %bb.24:
	s_cmp_eq_u32 s2, 3
	s_cbranch_scc0 .LBB75_28
; %bb.25:
	v_max_f32_e32 v3, v2, v2
	s_mov_b32 s1, 0
	v_min_f32_e32 v3, 0x40e00000, v3
	v_mul_f32_e32 v4, 0xbfd9db23, v3
	v_mul_f32_e32 v5, 0x3fb8aa3b, v4
	v_cmp_ngt_f32_e32 vcc_lo, 0xc2ce8ed0, v4
	v_fma_f32 v6, 0x3fb8aa3b, v4, -v5
	v_rndne_f32_e32 v7, v5
	v_fmamk_f32 v6, v4, 0x32a5705f, v6
	v_sub_f32_e32 v5, v5, v7
	v_add_f32_e32 v5, v5, v6
	v_cvt_i32_f32_e32 v6, v7
	v_exp_f32_e32 v5, v5
	v_ldexp_f32 v5, v5, v6
	v_cndmask_b32_e32 v5, 0, v5, vcc_lo
	v_cmp_nlt_f32_e32 vcc_lo, 0x42b17218, v4
	v_cndmask_b32_e32 v4, 0x7f800000, v5, vcc_lo
	v_add_f32_e32 v4, 1.0, v4
	v_div_scale_f32 v5, null, v4, v4, v3
	v_div_scale_f32 v8, vcc_lo, v3, v4, v3
	v_rcp_f32_e32 v6, v5
	v_fma_f32 v7, -v5, v6, 1.0
	v_fmac_f32_e32 v6, v7, v6
	v_mul_f32_e32 v7, v8, v6
	v_fma_f32 v9, -v5, v7, v8
	v_fmac_f32_e32 v7, v9, v6
	v_max_f32_e32 v9, v1, v1
	v_fma_f32 v5, -v5, v7, v8
	v_min_f32_e32 v8, 0x40e00000, v9
	v_div_fmas_f32 v5, v5, v6, v7
	v_max_f32_e32 v6, 0xc0e00000, v8
	v_div_fixup_f32 v3, v5, v4, v3
	v_add_f32_e32 v4, 1.0, v6
	v_mul_f32_e32 v3, v4, v3
	s_branch .LBB75_29
.LBB75_26:
	s_mov_b32 s1, 0
                                        ; implicit-def: $vgpr3
	s_cbranch_execnz .LBB75_33
	s_branch .LBB75_34
.LBB75_27:
	s_mov_b32 s3, -1
	s_mov_b32 s1, 0
                                        ; implicit-def: $vgpr3
	s_branch .LBB75_30
.LBB75_28:
	s_mov_b32 s1, -1
                                        ; implicit-def: $vgpr3
.LBB75_29:
	s_mov_b32 s3, 0
.LBB75_30:
	s_and_b32 vcc_lo, exec_lo, s3
	s_cbranch_vccz .LBB75_32
; %bb.31:
	v_mul_f32_e32 v3, 0xbfb8aa3b, v2
	v_cmp_nlt_f32_e32 vcc_lo, 0x42ce8ed0, v2
	v_rndne_f32_e32 v4, v3
	v_fma_f32 v5, 0xbfb8aa3b, v2, -v3
	v_sub_f32_e32 v3, v3, v4
	v_fmamk_f32 v5, v2, 0xb2a5705f, v5
	v_cvt_i32_f32_e32 v4, v4
	v_add_f32_e32 v3, v3, v5
	v_exp_f32_e32 v3, v3
	v_ldexp_f32 v3, v3, v4
	v_cndmask_b32_e32 v3, 0, v3, vcc_lo
	v_cmp_ngt_f32_e32 vcc_lo, 0xc2b17218, v2
	v_cndmask_b32_e32 v3, 0x7f800000, v3, vcc_lo
	v_add_f32_e32 v3, 1.0, v3
	v_div_scale_f32 v4, null, v3, v3, v2
	v_rcp_f32_e32 v5, v4
	v_fma_f32 v6, -v4, v5, 1.0
	v_fmac_f32_e32 v5, v6, v5
	v_div_scale_f32 v6, vcc_lo, v2, v3, v2
	v_mul_f32_e32 v7, v6, v5
	v_fma_f32 v8, -v4, v7, v6
	v_fmac_f32_e32 v7, v8, v5
	v_fma_f32 v4, -v4, v7, v6
	v_div_fmas_f32 v4, v4, v5, v7
	v_div_fixup_f32 v3, v4, v3, v2
	v_mul_f32_e32 v3, v1, v3
.LBB75_32:
	s_branch .LBB75_34
.LBB75_33:
	s_cmp_lg_u32 s2, 1
	s_mov_b32 s0, -1
	s_cselect_b32 s1, -1, 0
.LBB75_34:
	s_andn2_b32 vcc_lo, exec_lo, s1
	s_cbranch_vccz .LBB75_36
; %bb.35:
	s_andn2_b32 vcc_lo, exec_lo, s0
	s_cbranch_vccz .LBB75_37
	s_branch .LBB75_42
.LBB75_36:
	v_mul_f32_e32 v3, v2, v1
	s_cbranch_execnz .LBB75_42
.LBB75_37:
	v_mul_f32_e32 v3, 0x3d372713, v2
	v_mul_f32_e32 v4, 0x3f4c422a, v2
	v_fma_f32 v3, v2, v3, 1.0
	v_mul_f32_e32 v3, v4, v3
                                        ; implicit-def: $vgpr4
	v_cmp_ngt_f32_e64 s0, 0x3f200000, |v3|
	s_and_saveexec_b32 s1, s0
	s_xor_b32 s0, exec_lo, s1
	s_cbranch_execz .LBB75_39
; %bb.38:
	v_add_f32_e64 v4, |v3|, |v3|
	v_mul_f32_e32 v5, 0x3fb8aa3b, v4
	v_cmp_ngt_f32_e32 vcc_lo, 0xc2ce8ed0, v4
	v_rndne_f32_e32 v6, v5
	v_fma_f32 v7, 0x3fb8aa3b, v4, -v5
	v_sub_f32_e32 v5, v5, v6
	v_fmamk_f32 v7, v4, 0x32a5705f, v7
	v_cvt_i32_f32_e32 v6, v6
	v_add_f32_e32 v5, v5, v7
	v_exp_f32_e32 v5, v5
	v_ldexp_f32 v5, v5, v6
	v_cndmask_b32_e32 v5, 0, v5, vcc_lo
	v_cmp_nlt_f32_e32 vcc_lo, 0x42b17218, v4
	v_cndmask_b32_e32 v4, 0x7f800000, v5, vcc_lo
	v_add_f32_e32 v4, 1.0, v4
	v_rcp_f32_e32 v4, v4
	v_fma_f32 v4, v4, -2.0, 1.0
.LBB75_39:
	s_andn2_saveexec_b32 s0, s0
	s_cbranch_execz .LBB75_41
; %bb.40:
	v_mul_f32_e32 v4, v3, v3
	s_mov_b32 s1, 0xbbbac73d
	v_fmaak_f32 v5, s1, v4, 0x3ca908c9
	v_fmaak_f32 v5, v4, v5, 0xbd5c1c4e
	;; [unrolled: 1-line block ×4, first 2 shown]
	v_mul_f32_e64 v5, |v3|, v5
	v_fma_f32 v4, v4, v5, |v3|
.LBB75_41:
	s_or_b32 exec_lo, exec_lo, s0
	v_bfi_b32 v3, 0x7fffffff, v4, v3
	v_mul_f32_e32 v2, 0.5, v2
	v_add_f32_e32 v3, 1.0, v3
	v_mul_f32_e32 v2, v2, v3
	v_mul_f32_e32 v3, v1, v2
.LBB75_42:
	v_mov_b32_e32 v1, v3
.LBB75_43:
	s_load_dwordx2 s[0:1], s[4:5], 0x38
	s_mul_i32 s2, s22, s10
	s_mul_i32 s3, s26, s8
	s_add_i32 s2, s2, s6
	v_lshlrev_b32_e32 v0, 2, v0
	s_add_i32 s2, s2, s3
	s_mov_b32 s3, 0
	s_lshl_b64 s[2:3], s[2:3], 2
	s_waitcnt lgkmcnt(0)
	s_add_u32 s0, s0, s2
	s_addc_u32 s1, s1, s3
	global_store_dword v0, v1, s[0:1]
.LBB75_44:
	s_endpgm
	.section	.rodata,"a",@progbits
	.p2align	6, 0x0
	.amdhsa_kernel _ZL13mul_mat_vec_qIL9ggml_type39ELi1ELb1ELb0EEvPKvS2_PKi31ggml_cuda_mm_fusion_args_devicePfj15HIP_vector_typeIjLj3EEjjjS8_jjjS8_jjjj
		.amdhsa_group_segment_fixed_size 0
		.amdhsa_private_segment_fixed_size 0
		.amdhsa_kernarg_size 144
		.amdhsa_user_sgpr_count 6
		.amdhsa_user_sgpr_private_segment_buffer 1
		.amdhsa_user_sgpr_dispatch_ptr 0
		.amdhsa_user_sgpr_queue_ptr 0
		.amdhsa_user_sgpr_kernarg_segment_ptr 1
		.amdhsa_user_sgpr_dispatch_id 0
		.amdhsa_user_sgpr_flat_scratch_init 0
		.amdhsa_user_sgpr_private_segment_size 0
		.amdhsa_wavefront_size32 1
		.amdhsa_uses_dynamic_stack 0
		.amdhsa_system_sgpr_private_segment_wavefront_offset 0
		.amdhsa_system_sgpr_workgroup_id_x 1
		.amdhsa_system_sgpr_workgroup_id_y 1
		.amdhsa_system_sgpr_workgroup_id_z 1
		.amdhsa_system_sgpr_workgroup_info 0
		.amdhsa_system_vgpr_workitem_id 1
		.amdhsa_next_free_vgpr 35
		.amdhsa_next_free_sgpr 40
		.amdhsa_reserve_vcc 1
		.amdhsa_reserve_flat_scratch 0
		.amdhsa_float_round_mode_32 0
		.amdhsa_float_round_mode_16_64 0
		.amdhsa_float_denorm_mode_32 3
		.amdhsa_float_denorm_mode_16_64 3
		.amdhsa_dx10_clamp 1
		.amdhsa_ieee_mode 1
		.amdhsa_fp16_overflow 0
		.amdhsa_workgroup_processor_mode 1
		.amdhsa_memory_ordered 1
		.amdhsa_forward_progress 1
		.amdhsa_shared_vgpr_count 0
		.amdhsa_exception_fp_ieee_invalid_op 0
		.amdhsa_exception_fp_denorm_src 0
		.amdhsa_exception_fp_ieee_div_zero 0
		.amdhsa_exception_fp_ieee_overflow 0
		.amdhsa_exception_fp_ieee_underflow 0
		.amdhsa_exception_fp_ieee_inexact 0
		.amdhsa_exception_int_div_zero 0
	.end_amdhsa_kernel
	.section	.text._ZL13mul_mat_vec_qIL9ggml_type39ELi1ELb1ELb0EEvPKvS2_PKi31ggml_cuda_mm_fusion_args_devicePfj15HIP_vector_typeIjLj3EEjjjS8_jjjS8_jjjj,"axG",@progbits,_ZL13mul_mat_vec_qIL9ggml_type39ELi1ELb1ELb0EEvPKvS2_PKi31ggml_cuda_mm_fusion_args_devicePfj15HIP_vector_typeIjLj3EEjjjS8_jjjS8_jjjj,comdat
.Lfunc_end75:
	.size	_ZL13mul_mat_vec_qIL9ggml_type39ELi1ELb1ELb0EEvPKvS2_PKi31ggml_cuda_mm_fusion_args_devicePfj15HIP_vector_typeIjLj3EEjjjS8_jjjS8_jjjj, .Lfunc_end75-_ZL13mul_mat_vec_qIL9ggml_type39ELi1ELb1ELb0EEvPKvS2_PKi31ggml_cuda_mm_fusion_args_devicePfj15HIP_vector_typeIjLj3EEjjjS8_jjjS8_jjjj
                                        ; -- End function
	.set _ZL13mul_mat_vec_qIL9ggml_type39ELi1ELb1ELb0EEvPKvS2_PKi31ggml_cuda_mm_fusion_args_devicePfj15HIP_vector_typeIjLj3EEjjjS8_jjjS8_jjjj.num_vgpr, 35
	.set _ZL13mul_mat_vec_qIL9ggml_type39ELi1ELb1ELb0EEvPKvS2_PKi31ggml_cuda_mm_fusion_args_devicePfj15HIP_vector_typeIjLj3EEjjjS8_jjjS8_jjjj.num_agpr, 0
	.set _ZL13mul_mat_vec_qIL9ggml_type39ELi1ELb1ELb0EEvPKvS2_PKi31ggml_cuda_mm_fusion_args_devicePfj15HIP_vector_typeIjLj3EEjjjS8_jjjS8_jjjj.numbered_sgpr, 40
	.set _ZL13mul_mat_vec_qIL9ggml_type39ELi1ELb1ELb0EEvPKvS2_PKi31ggml_cuda_mm_fusion_args_devicePfj15HIP_vector_typeIjLj3EEjjjS8_jjjS8_jjjj.num_named_barrier, 0
	.set _ZL13mul_mat_vec_qIL9ggml_type39ELi1ELb1ELb0EEvPKvS2_PKi31ggml_cuda_mm_fusion_args_devicePfj15HIP_vector_typeIjLj3EEjjjS8_jjjS8_jjjj.private_seg_size, 0
	.set _ZL13mul_mat_vec_qIL9ggml_type39ELi1ELb1ELb0EEvPKvS2_PKi31ggml_cuda_mm_fusion_args_devicePfj15HIP_vector_typeIjLj3EEjjjS8_jjjS8_jjjj.uses_vcc, 1
	.set _ZL13mul_mat_vec_qIL9ggml_type39ELi1ELb1ELb0EEvPKvS2_PKi31ggml_cuda_mm_fusion_args_devicePfj15HIP_vector_typeIjLj3EEjjjS8_jjjS8_jjjj.uses_flat_scratch, 0
	.set _ZL13mul_mat_vec_qIL9ggml_type39ELi1ELb1ELb0EEvPKvS2_PKi31ggml_cuda_mm_fusion_args_devicePfj15HIP_vector_typeIjLj3EEjjjS8_jjjS8_jjjj.has_dyn_sized_stack, 0
	.set _ZL13mul_mat_vec_qIL9ggml_type39ELi1ELb1ELb0EEvPKvS2_PKi31ggml_cuda_mm_fusion_args_devicePfj15HIP_vector_typeIjLj3EEjjjS8_jjjS8_jjjj.has_recursion, 0
	.set _ZL13mul_mat_vec_qIL9ggml_type39ELi1ELb1ELb0EEvPKvS2_PKi31ggml_cuda_mm_fusion_args_devicePfj15HIP_vector_typeIjLj3EEjjjS8_jjjS8_jjjj.has_indirect_call, 0
	.section	.AMDGPU.csdata,"",@progbits
; Kernel info:
; codeLenInByte = 2584
; TotalNumSgprs: 42
; NumVgprs: 35
; ScratchSize: 0
; MemoryBound: 0
; FloatMode: 240
; IeeeMode: 1
; LDSByteSize: 0 bytes/workgroup (compile time only)
; SGPRBlocks: 0
; VGPRBlocks: 4
; NumSGPRsForWavesPerEU: 42
; NumVGPRsForWavesPerEU: 35
; Occupancy: 16
; WaveLimiterHint : 0
; COMPUTE_PGM_RSRC2:SCRATCH_EN: 0
; COMPUTE_PGM_RSRC2:USER_SGPR: 6
; COMPUTE_PGM_RSRC2:TRAP_HANDLER: 0
; COMPUTE_PGM_RSRC2:TGID_X_EN: 1
; COMPUTE_PGM_RSRC2:TGID_Y_EN: 1
; COMPUTE_PGM_RSRC2:TGID_Z_EN: 1
; COMPUTE_PGM_RSRC2:TIDIG_COMP_CNT: 1
	.section	.text._ZL13mul_mat_vec_qIL9ggml_type39ELi1ELb0ELb0EEvPKvS2_PKi31ggml_cuda_mm_fusion_args_devicePfj15HIP_vector_typeIjLj3EEjjjS8_jjjS8_jjjj,"axG",@progbits,_ZL13mul_mat_vec_qIL9ggml_type39ELi1ELb0ELb0EEvPKvS2_PKi31ggml_cuda_mm_fusion_args_devicePfj15HIP_vector_typeIjLj3EEjjjS8_jjjS8_jjjj,comdat
	.globl	_ZL13mul_mat_vec_qIL9ggml_type39ELi1ELb0ELb0EEvPKvS2_PKi31ggml_cuda_mm_fusion_args_devicePfj15HIP_vector_typeIjLj3EEjjjS8_jjjS8_jjjj ; -- Begin function _ZL13mul_mat_vec_qIL9ggml_type39ELi1ELb0ELb0EEvPKvS2_PKi31ggml_cuda_mm_fusion_args_devicePfj15HIP_vector_typeIjLj3EEjjjS8_jjjS8_jjjj
	.p2align	8
	.type	_ZL13mul_mat_vec_qIL9ggml_type39ELi1ELb0ELb0EEvPKvS2_PKi31ggml_cuda_mm_fusion_args_devicePfj15HIP_vector_typeIjLj3EEjjjS8_jjjS8_jjjj,@function
_ZL13mul_mat_vec_qIL9ggml_type39ELi1ELb0ELb0EEvPKvS2_PKi31ggml_cuda_mm_fusion_args_devicePfj15HIP_vector_typeIjLj3EEjjjS8_jjjS8_jjjj: ; @_ZL13mul_mat_vec_qIL9ggml_type39ELi1ELb0ELb0EEvPKvS2_PKi31ggml_cuda_mm_fusion_args_devicePfj15HIP_vector_typeIjLj3EEjjjS8_jjjS8_jjjj
; %bb.0:
	s_clause 0x1
	s_load_dwordx2 s[0:1], s[4:5], 0x10
	s_load_dwordx4 s[16:19], s[4:5], 0x40
	s_mov_b32 s10, s7
	s_waitcnt lgkmcnt(0)
	s_cmp_lg_u64 s[0:1], 0
	s_cselect_b32 s7, -1, 0
	s_cmp_eq_u64 s[0:1], 0
	s_cbranch_scc1 .LBB76_5
; %bb.1:
	s_mov_b32 s11, 0
	s_lshl_b64 s[2:3], s[10:11], 2
	s_add_u32 s0, s0, s2
	s_addc_u32 s1, s1, s3
	s_load_dword s20, s[0:1], 0x0
	s_clause 0x1
	s_load_dwordx4 s[0:3], s[4:5], 0x68
	s_load_dword s21, s[4:5], 0x50
	s_cbranch_execnz .LBB76_3
.LBB76_2:
	s_load_dwordx2 s[12:13], s[4:5], 0x5c
	s_waitcnt lgkmcnt(0)
	s_mul_hi_u32 s9, s12, s10
	s_add_i32 s9, s10, s9
	s_lshr_b32 s20, s9, s13
.LBB76_3:
	s_load_dword s11, s[4:5], 0x78
	s_andn2_b32 vcc_lo, exec_lo, s7
	s_cbranch_vccnz .LBB76_6
; %bb.4:
	s_mul_hi_u32 s7, s17, s10
	s_add_i32 s7, s10, s7
	s_lshr_b32 s7, s7, s18
	s_mul_i32 s7, s7, s19
	s_sub_i32 s22, s10, s7
	s_branch .LBB76_7
.LBB76_5:
                                        ; implicit-def: $sgpr20
	s_clause 0x1
	s_load_dwordx4 s[0:3], s[4:5], 0x68
	s_load_dword s21, s[4:5], 0x50
	s_branch .LBB76_2
.LBB76_6:
	s_mov_b32 s22, s10
.LBB76_7:
	s_load_dwordx4 s[12:15], s[4:5], 0x80
	v_lshl_or_b32 v2, v1, 5, v0
	v_mov_b32_e32 v4, 0
	s_lshr_b32 s9, s16, 5
	s_mov_b32 s7, exec_lo
	v_lshrrev_b16 v3, 1, v2
	v_and_b32_e32 v5, 0xffff, v3
	v_cmpx_gt_u32_e64 s9, v5
	s_cbranch_execz .LBB76_11
; %bb.8:
	s_load_dwordx4 s[16:19], s[4:5], 0x0
	s_waitcnt lgkmcnt(0)
	s_mul_hi_u32 s3, s3, s8
	s_mul_i32 s21, s21, s6
	s_add_i32 s3, s8, s3
	s_mul_i32 s13, s13, s8
	s_lshr_b32 s3, s3, s11
	s_mul_i32 s0, s20, s0
	s_mul_i32 s3, s3, s12
	;; [unrolled: 1-line block ×3, first 2 shown]
	s_add_i32 s3, s3, s21
	s_mul_hi_u32 s12, s13, 36
	s_add_i32 s1, s0, s3
	s_mul_i32 s3, s13, 36
	v_lshlrev_b32_e32 v3, 3, v0
	v_lshrrev_b32_e32 v2, 1, v2
	s_mul_hi_u32 s0, s11, 36
	s_mul_i32 s11, s11, 36
	v_and_b32_e32 v7, 1, v0
	v_and_b32_e32 v6, 8, v3
	v_mov_b32_e32 v4, 0
	s_add_u32 s3, s18, s3
	s_addc_u32 s13, s19, s12
	s_add_u32 s12, s3, s11
	s_addc_u32 s13, s13, s0
	v_lshlrev_b32_e32 v7, 3, v7
	v_mad_u64_u32 v[2:3], null, v2, 36, s[12:13]
	s_mov_b32 s3, 0
	s_mov_b32 s11, 0xc080604
	;; [unrolled: 1-line block ×4, first 2 shown]
.LBB76_9:                               ; =>This Inner Loop Header: Depth=1
	v_add_nc_u32_e32 v10, s1, v5
	v_add_co_u32 v8, vcc_lo, v2, v7
	v_add_co_ci_u32_e64 v9, null, 0, v3, vcc_lo
	v_mad_i64_i32 v[10:11], null, v10, 17, s[16:17]
	s_clause 0x1
	global_load_dwordx2 v[12:13], v[8:9], off offset:4
	global_load_dwordx2 v[8:9], v[8:9], off offset:20
	v_mov_b32_e32 v16, 0
	v_add_nc_u32_e32 v5, 16, v5
	v_add_co_u32 v14, vcc_lo, v10, v6
	v_add_co_ci_u32_e64 v15, null, 0, v11, vcc_lo
	v_cmp_le_u32_e64 s0, s9, v5
	s_clause 0x1
	global_load_dwordx2 v[14:15], v[14:15], off offset:1
	global_load_ubyte v10, v[10:11], off
	global_load_dword v11, v[2:3], off
	s_or_b32 s3, s0, s3
	s_waitcnt vmcnt(2)
	v_ashrrev_i32_e32 v18, 4, v14
	v_and_b32_e32 v19, 0x7070707, v14
	v_lshrrev_b32_e32 v14, 1, v14
	v_ashrrev_i32_e32 v20, 4, v15
	v_and_b32_e32 v21, 0x7070707, v15
	v_and_b32_e32 v23, 0x7070707, v18
	v_perm_b32 v22, s11, 0x3020100, v19
	v_perm_b32 v19, s12, 0xfdfeff00, v19
	v_and_or_b32 v14, v14, s13, 0x3020100
	v_lshrrev_b32_e32 v18, 1, v18
	v_lshrrev_b32_e32 v15, 1, v15
	v_perm_b32 v26, s11, 0x3020100, v23
	v_perm_b32 v23, s12, 0xfdfeff00, v23
	;; [unrolled: 1-line block ×3, first 2 shown]
	v_and_or_b32 v18, v18, s13, 0x3020100
	v_perm_b32 v24, s11, 0x3020100, v21
	v_and_b32_e32 v25, 0x7070707, v20
	v_perm_b32 v21, s12, 0xfdfeff00, v21
	v_and_or_b32 v15, v15, s13, 0x3020100
	v_lshrrev_b32_e32 v19, 1, v20
	v_perm_b32 v18, v23, v26, v18
	v_dot4c_i32_i8 v16, v14, v12
	s_waitcnt vmcnt(1)
	v_lshlrev_b32_e32 v17, 23, v10
	v_perm_b32 v20, s11, 0x3020100, v25
	v_perm_b32 v12, s12, 0xfdfeff00, v25
	;; [unrolled: 1-line block ×3, first 2 shown]
	v_and_or_b32 v15, v19, s13, 0x3020100
	v_dot4c_i32_i8 v16, v18, v8
	v_mul_f32_e32 v8, 0.5, v17
	v_cmp_ne_u32_e32 vcc_lo, 0, v10
	s_waitcnt vmcnt(0)
	v_cvt_f32_f16_e32 v11, v11
	v_perm_b32 v12, v12, v20, v15
	v_dot4c_i32_i8 v16, v14, v13
	v_cndmask_b32_e32 v8, 0x200000, v8, vcc_lo
	v_add_co_u32 v2, vcc_lo, 0x240, v2
	v_dot4c_i32_i8 v16, v12, v9
	v_add_co_ci_u32_e64 v3, null, 0, v3, vcc_lo
	v_mul_f32_e32 v8, v8, v11
	v_cvt_f32_i32_e32 v9, v16
	v_fmac_f32_e32 v4, v8, v9
	s_andn2_b32 exec_lo, exec_lo, s3
	s_cbranch_execnz .LBB76_9
; %bb.10:
	s_or_b32 exec_lo, exec_lo, s3
.LBB76_11:
	s_or_b32 exec_lo, exec_lo, s7
	s_waitcnt lgkmcnt(0)
	; wave barrier
	buffer_gl0_inv
	s_mov_b32 s0, exec_lo
	v_cmpx_eq_u32_e32 0, v1
	s_cbranch_execz .LBB76_14
; %bb.12:
	v_mbcnt_lo_u32_b32 v1, -1, 0
	v_xor_b32_e32 v2, 16, v1
	v_xor_b32_e32 v3, 8, v1
	v_cmp_gt_i32_e32 vcc_lo, 32, v2
	v_cndmask_b32_e32 v2, v1, v2, vcc_lo
	v_cmp_gt_i32_e32 vcc_lo, 32, v3
	v_lshlrev_b32_e32 v2, 2, v2
	v_cndmask_b32_e32 v3, v1, v3, vcc_lo
	ds_bpermute_b32 v2, v2, v4
	v_lshlrev_b32_e32 v3, 2, v3
	s_waitcnt lgkmcnt(0)
	v_add_f32_e32 v2, v4, v2
	v_xor_b32_e32 v4, 4, v1
	ds_bpermute_b32 v3, v3, v2
	v_cmp_gt_i32_e32 vcc_lo, 32, v4
	v_cndmask_b32_e32 v4, v1, v4, vcc_lo
	v_lshlrev_b32_e32 v4, 2, v4
	s_waitcnt lgkmcnt(0)
	v_add_f32_e32 v2, v2, v3
	ds_bpermute_b32 v3, v4, v2
	v_xor_b32_e32 v4, 2, v1
	v_cmp_gt_i32_e32 vcc_lo, 32, v4
	v_cndmask_b32_e32 v4, v1, v4, vcc_lo
	v_lshlrev_b32_e32 v4, 2, v4
	s_waitcnt lgkmcnt(0)
	v_add_f32_e32 v2, v2, v3
	ds_bpermute_b32 v3, v4, v2
	v_xor_b32_e32 v4, 1, v1
	v_cmp_gt_i32_e32 vcc_lo, 32, v4
	v_cndmask_b32_e32 v1, v1, v4, vcc_lo
	v_cmp_eq_u32_e32 vcc_lo, 0, v0
	v_lshlrev_b32_e32 v4, 2, v1
	s_waitcnt lgkmcnt(0)
	v_add_f32_e32 v1, v2, v3
	ds_bpermute_b32 v2, v4, v1
	s_and_b32 exec_lo, exec_lo, vcc_lo
	s_cbranch_execz .LBB76_14
; %bb.13:
	s_load_dwordx2 s[0:1], s[4:5], 0x38
	s_mul_i32 s2, s2, s10
	s_mul_i32 s3, s14, s8
	s_add_i32 s2, s2, s6
	s_waitcnt lgkmcnt(0)
	v_add_f32_e32 v0, v1, v2
	s_add_i32 s2, s2, s3
	s_mov_b32 s3, 0
	v_mov_b32_e32 v1, 0
	s_lshl_b64 s[2:3], s[2:3], 2
	s_add_u32 s0, s0, s2
	s_addc_u32 s1, s1, s3
	global_store_dword v1, v0, s[0:1]
.LBB76_14:
	s_endpgm
	.section	.rodata,"a",@progbits
	.p2align	6, 0x0
	.amdhsa_kernel _ZL13mul_mat_vec_qIL9ggml_type39ELi1ELb0ELb0EEvPKvS2_PKi31ggml_cuda_mm_fusion_args_devicePfj15HIP_vector_typeIjLj3EEjjjS8_jjjS8_jjjj
		.amdhsa_group_segment_fixed_size 0
		.amdhsa_private_segment_fixed_size 0
		.amdhsa_kernarg_size 144
		.amdhsa_user_sgpr_count 6
		.amdhsa_user_sgpr_private_segment_buffer 1
		.amdhsa_user_sgpr_dispatch_ptr 0
		.amdhsa_user_sgpr_queue_ptr 0
		.amdhsa_user_sgpr_kernarg_segment_ptr 1
		.amdhsa_user_sgpr_dispatch_id 0
		.amdhsa_user_sgpr_flat_scratch_init 0
		.amdhsa_user_sgpr_private_segment_size 0
		.amdhsa_wavefront_size32 1
		.amdhsa_uses_dynamic_stack 0
		.amdhsa_system_sgpr_private_segment_wavefront_offset 0
		.amdhsa_system_sgpr_workgroup_id_x 1
		.amdhsa_system_sgpr_workgroup_id_y 1
		.amdhsa_system_sgpr_workgroup_id_z 1
		.amdhsa_system_sgpr_workgroup_info 0
		.amdhsa_system_vgpr_workitem_id 1
		.amdhsa_next_free_vgpr 27
		.amdhsa_next_free_sgpr 23
		.amdhsa_reserve_vcc 1
		.amdhsa_reserve_flat_scratch 0
		.amdhsa_float_round_mode_32 0
		.amdhsa_float_round_mode_16_64 0
		.amdhsa_float_denorm_mode_32 3
		.amdhsa_float_denorm_mode_16_64 3
		.amdhsa_dx10_clamp 1
		.amdhsa_ieee_mode 1
		.amdhsa_fp16_overflow 0
		.amdhsa_workgroup_processor_mode 1
		.amdhsa_memory_ordered 1
		.amdhsa_forward_progress 1
		.amdhsa_shared_vgpr_count 0
		.amdhsa_exception_fp_ieee_invalid_op 0
		.amdhsa_exception_fp_denorm_src 0
		.amdhsa_exception_fp_ieee_div_zero 0
		.amdhsa_exception_fp_ieee_overflow 0
		.amdhsa_exception_fp_ieee_underflow 0
		.amdhsa_exception_fp_ieee_inexact 0
		.amdhsa_exception_int_div_zero 0
	.end_amdhsa_kernel
	.section	.text._ZL13mul_mat_vec_qIL9ggml_type39ELi1ELb0ELb0EEvPKvS2_PKi31ggml_cuda_mm_fusion_args_devicePfj15HIP_vector_typeIjLj3EEjjjS8_jjjS8_jjjj,"axG",@progbits,_ZL13mul_mat_vec_qIL9ggml_type39ELi1ELb0ELb0EEvPKvS2_PKi31ggml_cuda_mm_fusion_args_devicePfj15HIP_vector_typeIjLj3EEjjjS8_jjjS8_jjjj,comdat
.Lfunc_end76:
	.size	_ZL13mul_mat_vec_qIL9ggml_type39ELi1ELb0ELb0EEvPKvS2_PKi31ggml_cuda_mm_fusion_args_devicePfj15HIP_vector_typeIjLj3EEjjjS8_jjjS8_jjjj, .Lfunc_end76-_ZL13mul_mat_vec_qIL9ggml_type39ELi1ELb0ELb0EEvPKvS2_PKi31ggml_cuda_mm_fusion_args_devicePfj15HIP_vector_typeIjLj3EEjjjS8_jjjS8_jjjj
                                        ; -- End function
	.set _ZL13mul_mat_vec_qIL9ggml_type39ELi1ELb0ELb0EEvPKvS2_PKi31ggml_cuda_mm_fusion_args_devicePfj15HIP_vector_typeIjLj3EEjjjS8_jjjS8_jjjj.num_vgpr, 27
	.set _ZL13mul_mat_vec_qIL9ggml_type39ELi1ELb0ELb0EEvPKvS2_PKi31ggml_cuda_mm_fusion_args_devicePfj15HIP_vector_typeIjLj3EEjjjS8_jjjS8_jjjj.num_agpr, 0
	.set _ZL13mul_mat_vec_qIL9ggml_type39ELi1ELb0ELb0EEvPKvS2_PKi31ggml_cuda_mm_fusion_args_devicePfj15HIP_vector_typeIjLj3EEjjjS8_jjjS8_jjjj.numbered_sgpr, 23
	.set _ZL13mul_mat_vec_qIL9ggml_type39ELi1ELb0ELb0EEvPKvS2_PKi31ggml_cuda_mm_fusion_args_devicePfj15HIP_vector_typeIjLj3EEjjjS8_jjjS8_jjjj.num_named_barrier, 0
	.set _ZL13mul_mat_vec_qIL9ggml_type39ELi1ELb0ELb0EEvPKvS2_PKi31ggml_cuda_mm_fusion_args_devicePfj15HIP_vector_typeIjLj3EEjjjS8_jjjS8_jjjj.private_seg_size, 0
	.set _ZL13mul_mat_vec_qIL9ggml_type39ELi1ELb0ELb0EEvPKvS2_PKi31ggml_cuda_mm_fusion_args_devicePfj15HIP_vector_typeIjLj3EEjjjS8_jjjS8_jjjj.uses_vcc, 1
	.set _ZL13mul_mat_vec_qIL9ggml_type39ELi1ELb0ELb0EEvPKvS2_PKi31ggml_cuda_mm_fusion_args_devicePfj15HIP_vector_typeIjLj3EEjjjS8_jjjS8_jjjj.uses_flat_scratch, 0
	.set _ZL13mul_mat_vec_qIL9ggml_type39ELi1ELb0ELb0EEvPKvS2_PKi31ggml_cuda_mm_fusion_args_devicePfj15HIP_vector_typeIjLj3EEjjjS8_jjjS8_jjjj.has_dyn_sized_stack, 0
	.set _ZL13mul_mat_vec_qIL9ggml_type39ELi1ELb0ELb0EEvPKvS2_PKi31ggml_cuda_mm_fusion_args_devicePfj15HIP_vector_typeIjLj3EEjjjS8_jjjS8_jjjj.has_recursion, 0
	.set _ZL13mul_mat_vec_qIL9ggml_type39ELi1ELb0ELb0EEvPKvS2_PKi31ggml_cuda_mm_fusion_args_devicePfj15HIP_vector_typeIjLj3EEjjjS8_jjjS8_jjjj.has_indirect_call, 0
	.section	.AMDGPU.csdata,"",@progbits
; Kernel info:
; codeLenInByte = 1088
; TotalNumSgprs: 25
; NumVgprs: 27
; ScratchSize: 0
; MemoryBound: 0
; FloatMode: 240
; IeeeMode: 1
; LDSByteSize: 0 bytes/workgroup (compile time only)
; SGPRBlocks: 0
; VGPRBlocks: 3
; NumSGPRsForWavesPerEU: 25
; NumVGPRsForWavesPerEU: 27
; Occupancy: 16
; WaveLimiterHint : 0
; COMPUTE_PGM_RSRC2:SCRATCH_EN: 0
; COMPUTE_PGM_RSRC2:USER_SGPR: 6
; COMPUTE_PGM_RSRC2:TRAP_HANDLER: 0
; COMPUTE_PGM_RSRC2:TGID_X_EN: 1
; COMPUTE_PGM_RSRC2:TGID_Y_EN: 1
; COMPUTE_PGM_RSRC2:TGID_Z_EN: 1
; COMPUTE_PGM_RSRC2:TIDIG_COMP_CNT: 1
	.section	.text._ZL13mul_mat_vec_qIL9ggml_type39ELi2ELb0ELb0EEvPKvS2_PKi31ggml_cuda_mm_fusion_args_devicePfj15HIP_vector_typeIjLj3EEjjjS8_jjjS8_jjjj,"axG",@progbits,_ZL13mul_mat_vec_qIL9ggml_type39ELi2ELb0ELb0EEvPKvS2_PKi31ggml_cuda_mm_fusion_args_devicePfj15HIP_vector_typeIjLj3EEjjjS8_jjjS8_jjjj,comdat
	.globl	_ZL13mul_mat_vec_qIL9ggml_type39ELi2ELb0ELb0EEvPKvS2_PKi31ggml_cuda_mm_fusion_args_devicePfj15HIP_vector_typeIjLj3EEjjjS8_jjjS8_jjjj ; -- Begin function _ZL13mul_mat_vec_qIL9ggml_type39ELi2ELb0ELb0EEvPKvS2_PKi31ggml_cuda_mm_fusion_args_devicePfj15HIP_vector_typeIjLj3EEjjjS8_jjjS8_jjjj
	.p2align	8
	.type	_ZL13mul_mat_vec_qIL9ggml_type39ELi2ELb0ELb0EEvPKvS2_PKi31ggml_cuda_mm_fusion_args_devicePfj15HIP_vector_typeIjLj3EEjjjS8_jjjS8_jjjj,@function
_ZL13mul_mat_vec_qIL9ggml_type39ELi2ELb0ELb0EEvPKvS2_PKi31ggml_cuda_mm_fusion_args_devicePfj15HIP_vector_typeIjLj3EEjjjS8_jjjS8_jjjj: ; @_ZL13mul_mat_vec_qIL9ggml_type39ELi2ELb0ELb0EEvPKvS2_PKi31ggml_cuda_mm_fusion_args_devicePfj15HIP_vector_typeIjLj3EEjjjS8_jjjS8_jjjj
; %bb.0:
	s_clause 0x5
	s_load_dwordx4 s[16:19], s[4:5], 0x80
	s_load_dword s9, s[4:5], 0x40
	s_load_dwordx4 s[0:3], s[4:5], 0x50
	s_load_dword s24, s[4:5], 0x60
	;; [unrolled: 2-line block ×3, first 2 shown]
	v_lshl_or_b32 v2, v1, 5, v0
	v_mov_b32_e32 v4, 0
	v_mov_b32_e32 v6, 0
	v_lshrrev_b16 v3, 1, v2
	v_and_b32_e32 v5, 0xffff, v3
	s_waitcnt lgkmcnt(0)
	s_lshr_b32 s19, s9, 5
	s_mov_b32 s9, exec_lo
	v_cmpx_gt_u32_e64 s19, v5
	s_cbranch_execz .LBB77_4
; %bb.1:
	s_load_dwordx4 s[20:23], s[4:5], 0x0
	s_mul_i32 s10, s17, s8
	s_mul_i32 s11, s13, s7
	v_lshlrev_b32_e32 v3, 1, v0
	s_mul_hi_u32 s17, s10, 36
	s_mul_i32 s10, s10, 36
	v_lshrrev_b32_e32 v2, 1, v2
	s_mul_hi_u32 s26, s11, 36
	s_mul_i32 s11, s11, 36
	s_mul_hi_u32 s13, s3, s7
	s_mul_hi_u32 s15, s15, s8
	v_and_b32_e32 v6, 1, v0
	v_and_b32_e32 v9, 2, v3
	s_mul_i32 s0, s0, s6
	v_mov_b32_e32 v4, 0
	s_mov_b32 s3, 0
	v_lshlrev_b32_e32 v7, 3, v6
	v_lshlrev_b32_e32 v8, 2, v9
	v_lshlrev_b32_e32 v9, 2, v9
	v_mov_b32_e32 v6, 0
	s_waitcnt lgkmcnt(0)
	s_add_u32 s10, s22, s10
	s_addc_u32 s17, s23, s17
	s_add_u32 s10, s10, s11
	s_addc_u32 s11, s17, s26
	s_add_i32 s13, s7, s13
	s_add_i32 s15, s8, s15
	s_lshr_b32 s13, s13, s24
	v_mad_u64_u32 v[2:3], null, v2, 36, s[10:11]
	s_lshr_b32 s15, s15, s25
	s_mul_i32 s12, s13, s12
	s_mul_i32 s13, s15, s16
	s_add_i32 s12, s12, s0
	s_mov_b32 s15, 0xf4f8fafc
	s_add_i32 s12, s13, s12
	s_mov_b32 s13, 0xc080604
	s_mov_b32 s16, 0x4040404
.LBB77_2:                               ; =>This Inner Loop Header: Depth=1
	v_add_nc_u32_e32 v12, s12, v5
	v_add_nc_u32_e32 v14, s1, v5
	v_add_co_u32 v10, vcc_lo, v2, v7
	v_add_co_ci_u32_e64 v11, null, 0, v3, vcc_lo
	v_mad_i64_i32 v[12:13], null, v12, 17, s[20:21]
	v_mad_u64_u32 v[14:15], null, v14, 36, s[10:11]
	s_clause 0x2
	global_load_dword v22, v[2:3], off
	global_load_dwordx2 v[16:17], v[10:11], off offset:4
	global_load_dwordx2 v[10:11], v[10:11], off offset:20
	v_mov_b32_e32 v24, 0
	v_add_nc_u32_e32 v5, 16, v5
	v_add_co_u32 v18, vcc_lo, v12, v8
	v_add_co_ci_u32_e64 v19, null, 0, v13, vcc_lo
	v_add_co_u32 v20, vcc_lo, v14, v9
	v_add_co_ci_u32_e64 v21, null, 0, v15, vcc_lo
	s_clause 0x1
	global_load_dwordx2 v[18:19], v[18:19], off offset:1
	global_load_ubyte v23, v[12:13], off
	s_clause 0x2
	global_load_dwordx2 v[12:13], v[20:21], off offset:4
	global_load_dwordx2 v[20:21], v[20:21], off offset:20
	global_load_dword v14, v[14:15], off
	v_mov_b32_e32 v15, 0
	v_cmp_le_u32_e64 s0, s19, v5
	s_or_b32 s3, s0, s3
	s_waitcnt vmcnt(7)
	v_cvt_f32_f16_e32 v22, v22
	s_waitcnt vmcnt(4)
	v_ashrrev_i32_e32 v25, 4, v18
	v_and_b32_e32 v26, 0x7070707, v18
	v_lshrrev_b32_e32 v18, 1, v18
	v_ashrrev_i32_e32 v27, 4, v19
	v_and_b32_e32 v28, 0x7070707, v19
	v_and_b32_e32 v31, 0x7070707, v25
	v_perm_b32 v30, s13, 0x3020100, v26
	v_perm_b32 v26, s15, 0xfdfeff00, v26
	v_and_or_b32 v18, v18, s16, 0x3020100
	v_lshrrev_b32_e32 v25, 1, v25
	v_lshrrev_b32_e32 v19, 1, v19
	v_perm_b32 v34, s13, 0x3020100, v31
	v_perm_b32 v31, s15, 0xfdfeff00, v31
	;; [unrolled: 1-line block ×3, first 2 shown]
	v_and_or_b32 v25, v25, s16, 0x3020100
	v_perm_b32 v32, s13, 0x3020100, v28
	v_and_b32_e32 v33, 0x7070707, v27
	v_perm_b32 v28, s15, 0xfdfeff00, v28
	v_and_or_b32 v19, v19, s16, 0x3020100
	v_lshrrev_b32_e32 v27, 1, v27
	v_perm_b32 v25, v31, v34, v25
	v_dot4c_i32_i8 v15, v18, v16
	s_waitcnt vmcnt(2)
	v_dot4c_i32_i8 v24, v18, v12
	v_lshlrev_b32_e32 v29, 23, v23
	v_perm_b32 v26, s13, 0x3020100, v33
	v_perm_b32 v30, s15, 0xfdfeff00, v33
	;; [unrolled: 1-line block ×3, first 2 shown]
	v_and_or_b32 v16, v27, s16, 0x3020100
	v_dot4c_i32_i8 v15, v25, v10
	s_waitcnt vmcnt(1)
	v_dot4c_i32_i8 v24, v25, v20
	v_mul_f32_e32 v10, 0.5, v29
	v_cmp_ne_u32_e32 vcc_lo, 0, v23
	v_perm_b32 v16, v30, v26, v16
	v_dot4c_i32_i8 v15, v12, v17
	v_dot4c_i32_i8 v24, v12, v13
	s_waitcnt vmcnt(0)
	v_cvt_f32_f16_e32 v14, v14
	v_cndmask_b32_e32 v10, 0x200000, v10, vcc_lo
	v_add_co_u32 v2, vcc_lo, 0x240, v2
	v_dot4c_i32_i8 v15, v16, v11
	v_dot4c_i32_i8 v24, v16, v21
	v_mul_f32_e32 v11, v10, v22
	v_mul_f32_e32 v10, v10, v14
	v_add_co_ci_u32_e64 v3, null, 0, v3, vcc_lo
	v_cvt_f32_i32_e32 v12, v15
	v_cvt_f32_i32_e32 v13, v24
	v_fmac_f32_e32 v6, v11, v12
	v_fmac_f32_e32 v4, v10, v13
	s_andn2_b32 exec_lo, exec_lo, s3
	s_cbranch_execnz .LBB77_2
; %bb.3:
	s_or_b32 exec_lo, exec_lo, s3
.LBB77_4:
	s_or_b32 exec_lo, exec_lo, s9
	s_mov_b32 s1, 0
	; wave barrier
	buffer_gl0_inv
	s_mov_b32 s0, exec_lo
	v_cmpx_eq_u32_e32 0, v1
	s_cbranch_execz .LBB77_9
; %bb.5:
	v_mbcnt_lo_u32_b32 v7, -1, 0
	s_load_dwordx2 s[4:5], s[4:5], 0x38
	s_mul_i32 s0, s14, s7
	s_mul_i32 s3, s18, s8
	s_add_i32 s0, s0, s6
	v_xor_b32_e32 v1, 16, v7
	v_xor_b32_e32 v2, 8, v7
	s_add_i32 s0, s0, s3
	s_lshl_b64 s[0:1], s[0:1], 2
	v_cmp_gt_i32_e32 vcc_lo, 32, v1
	v_cndmask_b32_e32 v1, v7, v1, vcc_lo
	v_cmp_gt_i32_e32 vcc_lo, 32, v2
	v_lshlrev_b32_e32 v1, 2, v1
	v_cndmask_b32_e32 v2, v7, v2, vcc_lo
	s_waitcnt lgkmcnt(0)
	s_add_u32 s0, s4, s0
	s_addc_u32 s1, s5, s1
	ds_bpermute_b32 v3, v1, v6
	v_lshlrev_b32_e32 v2, 2, v2
	s_waitcnt lgkmcnt(0)
	v_add_f32_e32 v5, v6, v3
	v_xor_b32_e32 v3, 4, v7
	ds_bpermute_b32 v6, v2, v5
	v_cmp_gt_i32_e32 vcc_lo, 32, v3
	v_cndmask_b32_e32 v3, v7, v3, vcc_lo
	v_lshlrev_b32_e32 v3, 2, v3
	s_waitcnt lgkmcnt(0)
	v_add_f32_e32 v6, v5, v6
	v_xor_b32_e32 v5, 2, v7
	ds_bpermute_b32 v8, v3, v6
	v_cmp_gt_i32_e32 vcc_lo, 32, v5
	v_cndmask_b32_e32 v5, v7, v5, vcc_lo
	;; [unrolled: 7-line block ×3, first 2 shown]
	v_cmp_eq_u32_e32 vcc_lo, 0, v0
	v_lshlrev_b32_e32 v6, 2, v6
	s_waitcnt lgkmcnt(0)
	v_add_f32_e32 v7, v8, v9
	ds_bpermute_b32 v8, v6, v7
	s_and_saveexec_b32 s3, vcc_lo
	s_cbranch_execz .LBB77_7
; %bb.6:
	s_waitcnt lgkmcnt(0)
	v_add_f32_e32 v0, v7, v8
	v_mov_b32_e32 v7, 0
	global_store_dword v7, v0, s[0:1]
.LBB77_7:
	s_or_b32 exec_lo, exec_lo, s3
	ds_bpermute_b32 v0, v1, v4
	s_waitcnt lgkmcnt(0)
	v_add_f32_e32 v0, v4, v0
	ds_bpermute_b32 v1, v2, v0
	s_waitcnt lgkmcnt(0)
	v_add_f32_e32 v0, v0, v1
	;; [unrolled: 3-line block ×4, first 2 shown]
	ds_bpermute_b32 v1, v6, v0
	s_and_b32 exec_lo, exec_lo, vcc_lo
	s_cbranch_execz .LBB77_9
; %bb.8:
	s_mov_b32 s3, 0
	s_waitcnt lgkmcnt(0)
	v_add_f32_e32 v0, v0, v1
	s_lshl_b64 s[2:3], s[2:3], 2
	v_mov_b32_e32 v1, 0
	s_add_u32 s0, s0, s2
	s_addc_u32 s1, s1, s3
	global_store_dword v1, v0, s[0:1]
.LBB77_9:
	s_endpgm
	.section	.rodata,"a",@progbits
	.p2align	6, 0x0
	.amdhsa_kernel _ZL13mul_mat_vec_qIL9ggml_type39ELi2ELb0ELb0EEvPKvS2_PKi31ggml_cuda_mm_fusion_args_devicePfj15HIP_vector_typeIjLj3EEjjjS8_jjjS8_jjjj
		.amdhsa_group_segment_fixed_size 0
		.amdhsa_private_segment_fixed_size 0
		.amdhsa_kernarg_size 144
		.amdhsa_user_sgpr_count 6
		.amdhsa_user_sgpr_private_segment_buffer 1
		.amdhsa_user_sgpr_dispatch_ptr 0
		.amdhsa_user_sgpr_queue_ptr 0
		.amdhsa_user_sgpr_kernarg_segment_ptr 1
		.amdhsa_user_sgpr_dispatch_id 0
		.amdhsa_user_sgpr_flat_scratch_init 0
		.amdhsa_user_sgpr_private_segment_size 0
		.amdhsa_wavefront_size32 1
		.amdhsa_uses_dynamic_stack 0
		.amdhsa_system_sgpr_private_segment_wavefront_offset 0
		.amdhsa_system_sgpr_workgroup_id_x 1
		.amdhsa_system_sgpr_workgroup_id_y 1
		.amdhsa_system_sgpr_workgroup_id_z 1
		.amdhsa_system_sgpr_workgroup_info 0
		.amdhsa_system_vgpr_workitem_id 1
		.amdhsa_next_free_vgpr 35
		.amdhsa_next_free_sgpr 27
		.amdhsa_reserve_vcc 1
		.amdhsa_reserve_flat_scratch 0
		.amdhsa_float_round_mode_32 0
		.amdhsa_float_round_mode_16_64 0
		.amdhsa_float_denorm_mode_32 3
		.amdhsa_float_denorm_mode_16_64 3
		.amdhsa_dx10_clamp 1
		.amdhsa_ieee_mode 1
		.amdhsa_fp16_overflow 0
		.amdhsa_workgroup_processor_mode 1
		.amdhsa_memory_ordered 1
		.amdhsa_forward_progress 1
		.amdhsa_shared_vgpr_count 0
		.amdhsa_exception_fp_ieee_invalid_op 0
		.amdhsa_exception_fp_denorm_src 0
		.amdhsa_exception_fp_ieee_div_zero 0
		.amdhsa_exception_fp_ieee_overflow 0
		.amdhsa_exception_fp_ieee_underflow 0
		.amdhsa_exception_fp_ieee_inexact 0
		.amdhsa_exception_int_div_zero 0
	.end_amdhsa_kernel
	.section	.text._ZL13mul_mat_vec_qIL9ggml_type39ELi2ELb0ELb0EEvPKvS2_PKi31ggml_cuda_mm_fusion_args_devicePfj15HIP_vector_typeIjLj3EEjjjS8_jjjS8_jjjj,"axG",@progbits,_ZL13mul_mat_vec_qIL9ggml_type39ELi2ELb0ELb0EEvPKvS2_PKi31ggml_cuda_mm_fusion_args_devicePfj15HIP_vector_typeIjLj3EEjjjS8_jjjS8_jjjj,comdat
.Lfunc_end77:
	.size	_ZL13mul_mat_vec_qIL9ggml_type39ELi2ELb0ELb0EEvPKvS2_PKi31ggml_cuda_mm_fusion_args_devicePfj15HIP_vector_typeIjLj3EEjjjS8_jjjS8_jjjj, .Lfunc_end77-_ZL13mul_mat_vec_qIL9ggml_type39ELi2ELb0ELb0EEvPKvS2_PKi31ggml_cuda_mm_fusion_args_devicePfj15HIP_vector_typeIjLj3EEjjjS8_jjjS8_jjjj
                                        ; -- End function
	.set _ZL13mul_mat_vec_qIL9ggml_type39ELi2ELb0ELb0EEvPKvS2_PKi31ggml_cuda_mm_fusion_args_devicePfj15HIP_vector_typeIjLj3EEjjjS8_jjjS8_jjjj.num_vgpr, 35
	.set _ZL13mul_mat_vec_qIL9ggml_type39ELi2ELb0ELb0EEvPKvS2_PKi31ggml_cuda_mm_fusion_args_devicePfj15HIP_vector_typeIjLj3EEjjjS8_jjjS8_jjjj.num_agpr, 0
	.set _ZL13mul_mat_vec_qIL9ggml_type39ELi2ELb0ELb0EEvPKvS2_PKi31ggml_cuda_mm_fusion_args_devicePfj15HIP_vector_typeIjLj3EEjjjS8_jjjS8_jjjj.numbered_sgpr, 27
	.set _ZL13mul_mat_vec_qIL9ggml_type39ELi2ELb0ELb0EEvPKvS2_PKi31ggml_cuda_mm_fusion_args_devicePfj15HIP_vector_typeIjLj3EEjjjS8_jjjS8_jjjj.num_named_barrier, 0
	.set _ZL13mul_mat_vec_qIL9ggml_type39ELi2ELb0ELb0EEvPKvS2_PKi31ggml_cuda_mm_fusion_args_devicePfj15HIP_vector_typeIjLj3EEjjjS8_jjjS8_jjjj.private_seg_size, 0
	.set _ZL13mul_mat_vec_qIL9ggml_type39ELi2ELb0ELb0EEvPKvS2_PKi31ggml_cuda_mm_fusion_args_devicePfj15HIP_vector_typeIjLj3EEjjjS8_jjjS8_jjjj.uses_vcc, 1
	.set _ZL13mul_mat_vec_qIL9ggml_type39ELi2ELb0ELb0EEvPKvS2_PKi31ggml_cuda_mm_fusion_args_devicePfj15HIP_vector_typeIjLj3EEjjjS8_jjjS8_jjjj.uses_flat_scratch, 0
	.set _ZL13mul_mat_vec_qIL9ggml_type39ELi2ELb0ELb0EEvPKvS2_PKi31ggml_cuda_mm_fusion_args_devicePfj15HIP_vector_typeIjLj3EEjjjS8_jjjS8_jjjj.has_dyn_sized_stack, 0
	.set _ZL13mul_mat_vec_qIL9ggml_type39ELi2ELb0ELb0EEvPKvS2_PKi31ggml_cuda_mm_fusion_args_devicePfj15HIP_vector_typeIjLj3EEjjjS8_jjjS8_jjjj.has_recursion, 0
	.set _ZL13mul_mat_vec_qIL9ggml_type39ELi2ELb0ELb0EEvPKvS2_PKi31ggml_cuda_mm_fusion_args_devicePfj15HIP_vector_typeIjLj3EEjjjS8_jjjS8_jjjj.has_indirect_call, 0
	.section	.AMDGPU.csdata,"",@progbits
; Kernel info:
; codeLenInByte = 1200
; TotalNumSgprs: 29
; NumVgprs: 35
; ScratchSize: 0
; MemoryBound: 0
; FloatMode: 240
; IeeeMode: 1
; LDSByteSize: 0 bytes/workgroup (compile time only)
; SGPRBlocks: 0
; VGPRBlocks: 4
; NumSGPRsForWavesPerEU: 29
; NumVGPRsForWavesPerEU: 35
; Occupancy: 16
; WaveLimiterHint : 0
; COMPUTE_PGM_RSRC2:SCRATCH_EN: 0
; COMPUTE_PGM_RSRC2:USER_SGPR: 6
; COMPUTE_PGM_RSRC2:TRAP_HANDLER: 0
; COMPUTE_PGM_RSRC2:TGID_X_EN: 1
; COMPUTE_PGM_RSRC2:TGID_Y_EN: 1
; COMPUTE_PGM_RSRC2:TGID_Z_EN: 1
; COMPUTE_PGM_RSRC2:TIDIG_COMP_CNT: 1
	.section	.text._ZL13mul_mat_vec_qIL9ggml_type39ELi3ELb0ELb0EEvPKvS2_PKi31ggml_cuda_mm_fusion_args_devicePfj15HIP_vector_typeIjLj3EEjjjS8_jjjS8_jjjj,"axG",@progbits,_ZL13mul_mat_vec_qIL9ggml_type39ELi3ELb0ELb0EEvPKvS2_PKi31ggml_cuda_mm_fusion_args_devicePfj15HIP_vector_typeIjLj3EEjjjS8_jjjS8_jjjj,comdat
	.globl	_ZL13mul_mat_vec_qIL9ggml_type39ELi3ELb0ELb0EEvPKvS2_PKi31ggml_cuda_mm_fusion_args_devicePfj15HIP_vector_typeIjLj3EEjjjS8_jjjS8_jjjj ; -- Begin function _ZL13mul_mat_vec_qIL9ggml_type39ELi3ELb0ELb0EEvPKvS2_PKi31ggml_cuda_mm_fusion_args_devicePfj15HIP_vector_typeIjLj3EEjjjS8_jjjS8_jjjj
	.p2align	8
	.type	_ZL13mul_mat_vec_qIL9ggml_type39ELi3ELb0ELb0EEvPKvS2_PKi31ggml_cuda_mm_fusion_args_devicePfj15HIP_vector_typeIjLj3EEjjjS8_jjjS8_jjjj,@function
_ZL13mul_mat_vec_qIL9ggml_type39ELi3ELb0ELb0EEvPKvS2_PKi31ggml_cuda_mm_fusion_args_devicePfj15HIP_vector_typeIjLj3EEjjjS8_jjjS8_jjjj: ; @_ZL13mul_mat_vec_qIL9ggml_type39ELi3ELb0ELb0EEvPKvS2_PKi31ggml_cuda_mm_fusion_args_devicePfj15HIP_vector_typeIjLj3EEjjjS8_jjjS8_jjjj
; %bb.0:
	s_clause 0x5
	s_load_dwordx4 s[16:19], s[4:5], 0x80
	s_load_dword s9, s[4:5], 0x40
	s_load_dwordx4 s[0:3], s[4:5], 0x50
	s_load_dword s24, s[4:5], 0x60
	;; [unrolled: 2-line block ×3, first 2 shown]
	v_lshl_or_b32 v2, v1, 5, v0
	v_mov_b32_e32 v4, 0
	v_mov_b32_e32 v5, 0
	;; [unrolled: 1-line block ×3, first 2 shown]
	v_lshrrev_b16 v3, 1, v2
	v_and_b32_e32 v6, 0xffff, v3
	s_waitcnt lgkmcnt(0)
	s_lshr_b32 s19, s9, 5
	s_mov_b32 s9, exec_lo
	v_cmpx_gt_u32_e64 s19, v6
	s_cbranch_execz .LBB78_4
; %bb.1:
	s_load_dwordx4 s[20:23], s[4:5], 0x0
	s_mul_i32 s10, s17, s8
	s_mul_i32 s11, s13, s7
	s_mul_hi_u32 s13, s15, s8
	v_lshlrev_b32_e32 v3, 1, v0
	s_mul_hi_u32 s15, s10, 36
	s_mul_i32 s10, s10, 36
	v_lshrrev_b32_e32 v2, 1, v2
	s_mul_hi_u32 s17, s11, 36
	s_mul_i32 s11, s11, 36
	s_mul_hi_u32 s3, s3, s7
	v_and_b32_e32 v5, 1, v0
	v_and_b32_e32 v7, 2, v3
	s_mul_i32 s0, s0, s6
	v_mov_b32_e32 v4, 0
	v_lshlrev_b32_e32 v8, 3, v5
	v_lshlrev_b32_e32 v9, 2, v7
	;; [unrolled: 1-line block ×3, first 2 shown]
	v_mov_b32_e32 v5, 0
	s_waitcnt lgkmcnt(0)
	s_add_u32 s10, s22, s10
	s_addc_u32 s15, s23, s15
	s_add_u32 s10, s10, s11
	s_addc_u32 s11, s15, s17
	s_add_i32 s15, s7, s3
	s_add_i32 s13, s8, s13
	s_lshr_b32 s15, s15, s24
	v_mad_u64_u32 v[2:3], null, v2, 36, s[10:11]
	s_lshr_b32 s13, s13, s25
	s_mul_i32 s12, s15, s12
	v_mov_b32_e32 v7, 0
	s_mul_i32 s13, s13, s16
	s_add_i32 s12, s12, s0
	s_lshl_b32 s3, s1, 1
	s_add_i32 s13, s13, s12
	s_mov_b32 s12, 0
	s_mov_b32 s15, 0xc080604
	;; [unrolled: 1-line block ×4, first 2 shown]
.LBB78_2:                               ; =>This Inner Loop Header: Depth=1
	v_add_nc_u32_e32 v13, s13, v6
	v_add_nc_u32_e32 v17, s3, v6
	;; [unrolled: 1-line block ×3, first 2 shown]
	v_add_co_u32 v11, vcc_lo, v2, v8
	v_mad_i64_i32 v[13:14], null, v13, 17, s[20:21]
	v_mad_u64_u32 v[17:18], null, v17, 36, s[10:11]
	v_mad_u64_u32 v[19:20], null, v19, 36, s[10:11]
	v_add_co_ci_u32_e64 v12, null, 0, v3, vcc_lo
	v_add_co_u32 v21, vcc_lo, v13, v9
	v_add_co_ci_u32_e64 v22, null, 0, v14, vcc_lo
	v_add_co_u32 v23, vcc_lo, v17, v10
	;; [unrolled: 2-line block ×3, first 2 shown]
	v_add_co_ci_u32_e64 v26, null, 0, v20, vcc_lo
	s_clause 0x2
	global_load_dword v29, v[2:3], off
	global_load_dwordx2 v[15:16], v[11:12], off offset:4
	global_load_dwordx2 v[11:12], v[11:12], off offset:20
	s_clause 0x1
	global_load_dwordx2 v[21:22], v[21:22], off offset:1
	global_load_ubyte v30, v[13:14], off
	s_clause 0x5
	global_load_dwordx2 v[13:14], v[23:24], off offset:4
	global_load_dwordx2 v[23:24], v[23:24], off offset:20
	;; [unrolled: 1-line block ×4, first 2 shown]
	global_load_dword v17, v[17:18], off
	global_load_dword v18, v[19:20], off
	v_mov_b32_e32 v19, 0
	v_mov_b32_e32 v20, 0
	;; [unrolled: 1-line block ×3, first 2 shown]
	v_add_nc_u32_e32 v6, 16, v6
	v_add_co_u32 v2, vcc_lo, 0x240, v2
	v_add_co_ci_u32_e64 v3, null, 0, v3, vcc_lo
	v_cmp_le_u32_e32 vcc_lo, s19, v6
	s_or_b32 s12, vcc_lo, s12
	s_waitcnt vmcnt(7)
	v_ashrrev_i32_e32 v32, 4, v21
	v_and_b32_e32 v33, 0x7070707, v21
	v_lshrrev_b32_e32 v21, 1, v21
	v_ashrrev_i32_e32 v34, 4, v22
	v_and_b32_e32 v35, 0x7070707, v22
	v_and_b32_e32 v38, 0x7070707, v32
	v_perm_b32 v37, s15, 0x3020100, v33
	v_perm_b32 v33, s16, 0xfdfeff00, v33
	v_and_or_b32 v21, v21, s17, 0x3020100
	v_lshrrev_b32_e32 v32, 1, v32
	v_lshrrev_b32_e32 v22, 1, v22
	s_waitcnt vmcnt(6)
	v_lshlrev_b32_e32 v36, 23, v30
	v_cmp_ne_u32_e64 s0, 0, v30
	v_perm_b32 v30, s15, 0x3020100, v38
	v_perm_b32 v38, s16, 0xfdfeff00, v38
	;; [unrolled: 1-line block ×3, first 2 shown]
	v_and_or_b32 v32, v32, s17, 0x3020100
	v_perm_b32 v39, s15, 0x3020100, v35
	v_and_b32_e32 v40, 0x7070707, v34
	v_perm_b32 v35, s16, 0xfdfeff00, v35
	v_and_or_b32 v22, v22, s17, 0x3020100
	v_lshrrev_b32_e32 v34, 1, v34
	v_perm_b32 v30, v38, v30, v32
	v_dot4c_i32_i8 v19, v21, v15
	s_waitcnt vmcnt(3)
	v_dot4c_i32_i8 v20, v21, v27
	v_dot4c_i32_i8 v31, v21, v13
	v_perm_b32 v33, s15, 0x3020100, v40
	v_perm_b32 v37, s16, 0xfdfeff00, v40
	;; [unrolled: 1-line block ×3, first 2 shown]
	v_and_or_b32 v34, v34, s17, 0x3020100
	v_dot4c_i32_i8 v19, v30, v11
	s_waitcnt vmcnt(2)
	v_dot4c_i32_i8 v20, v30, v25
	v_dot4c_i32_i8 v31, v30, v23
	v_mul_f32_e32 v36, 0.5, v36
	v_perm_b32 v13, v37, v33, v34
	v_dot4c_i32_i8 v19, v22, v16
	v_dot4c_i32_i8 v20, v22, v28
	;; [unrolled: 1-line block ×3, first 2 shown]
	v_cvt_f32_f16_e32 v29, v29
	s_waitcnt vmcnt(0)
	v_cvt_f32_f16_e32 v18, v18
	v_cvt_f32_f16_e32 v17, v17
	v_cndmask_b32_e64 v35, 0x200000, v36, s0
	v_dot4c_i32_i8 v19, v13, v12
	v_dot4c_i32_i8 v20, v13, v26
	;; [unrolled: 1-line block ×3, first 2 shown]
	v_mul_f32_e32 v11, v35, v29
	v_mul_f32_e32 v14, v35, v18
	;; [unrolled: 1-line block ×3, first 2 shown]
	v_cvt_f32_i32_e32 v13, v19
	v_cvt_f32_i32_e32 v15, v20
	;; [unrolled: 1-line block ×3, first 2 shown]
	v_fmac_f32_e32 v7, v11, v13
	v_fmac_f32_e32 v5, v14, v15
	v_fmac_f32_e32 v4, v12, v16
	s_andn2_b32 exec_lo, exec_lo, s12
	s_cbranch_execnz .LBB78_2
; %bb.3:
	s_or_b32 exec_lo, exec_lo, s12
.LBB78_4:
	s_or_b32 exec_lo, exec_lo, s9
	s_mov_b32 s1, 0
	; wave barrier
	buffer_gl0_inv
	s_mov_b32 s0, exec_lo
	v_cmpx_eq_u32_e32 0, v1
	s_cbranch_execz .LBB78_11
; %bb.5:
	v_mbcnt_lo_u32_b32 v8, -1, 0
	s_load_dwordx2 s[4:5], s[4:5], 0x38
	s_mul_i32 s0, s14, s7
	s_mul_i32 s3, s18, s8
	s_add_i32 s0, s0, s6
	v_xor_b32_e32 v1, 16, v8
	v_xor_b32_e32 v2, 8, v8
	s_add_i32 s0, s0, s3
	s_lshl_b64 s[0:1], s[0:1], 2
	v_cmp_gt_i32_e32 vcc_lo, 32, v1
	v_cndmask_b32_e32 v1, v8, v1, vcc_lo
	v_cmp_gt_i32_e32 vcc_lo, 32, v2
	v_lshlrev_b32_e32 v1, 2, v1
	v_cndmask_b32_e32 v2, v8, v2, vcc_lo
	s_waitcnt lgkmcnt(0)
	s_add_u32 s0, s4, s0
	s_addc_u32 s1, s5, s1
	ds_bpermute_b32 v3, v1, v7
	v_lshlrev_b32_e32 v2, 2, v2
	s_waitcnt lgkmcnt(0)
	v_add_f32_e32 v6, v7, v3
	v_xor_b32_e32 v3, 4, v8
	ds_bpermute_b32 v7, v2, v6
	v_cmp_gt_i32_e32 vcc_lo, 32, v3
	v_cndmask_b32_e32 v3, v8, v3, vcc_lo
	v_lshlrev_b32_e32 v3, 2, v3
	s_waitcnt lgkmcnt(0)
	v_add_f32_e32 v7, v6, v7
	v_xor_b32_e32 v6, 2, v8
	ds_bpermute_b32 v9, v3, v7
	v_cmp_gt_i32_e32 vcc_lo, 32, v6
	v_cndmask_b32_e32 v6, v8, v6, vcc_lo
	;; [unrolled: 7-line block ×3, first 2 shown]
	v_cmp_eq_u32_e32 vcc_lo, 0, v0
	v_lshlrev_b32_e32 v7, 2, v7
	s_waitcnt lgkmcnt(0)
	v_add_f32_e32 v8, v9, v10
	ds_bpermute_b32 v9, v7, v8
	s_and_saveexec_b32 s3, vcc_lo
	s_cbranch_execz .LBB78_7
; %bb.6:
	s_waitcnt lgkmcnt(0)
	v_add_f32_e32 v0, v8, v9
	v_mov_b32_e32 v8, 0
	global_store_dword v8, v0, s[0:1]
.LBB78_7:
	s_or_b32 exec_lo, exec_lo, s3
	ds_bpermute_b32 v0, v1, v5
	s_waitcnt lgkmcnt(0)
	v_add_f32_e32 v0, v5, v0
	ds_bpermute_b32 v5, v2, v0
	s_waitcnt lgkmcnt(0)
	v_add_f32_e32 v0, v0, v5
	;; [unrolled: 3-line block ×4, first 2 shown]
	ds_bpermute_b32 v5, v7, v0
	s_and_saveexec_b32 s4, vcc_lo
	s_cbranch_execz .LBB78_9
; %bb.8:
	s_mov_b32 s3, 0
	s_waitcnt lgkmcnt(0)
	v_add_f32_e32 v0, v0, v5
	s_lshl_b64 s[6:7], s[2:3], 2
	v_mov_b32_e32 v5, 0
	s_add_u32 s6, s0, s6
	s_addc_u32 s7, s1, s7
	global_store_dword v5, v0, s[6:7]
.LBB78_9:
	s_or_b32 exec_lo, exec_lo, s4
	ds_bpermute_b32 v0, v1, v4
	s_waitcnt lgkmcnt(0)
	v_add_f32_e32 v0, v4, v0
	ds_bpermute_b32 v1, v2, v0
	s_waitcnt lgkmcnt(0)
	v_add_f32_e32 v0, v0, v1
	;; [unrolled: 3-line block ×4, first 2 shown]
	ds_bpermute_b32 v1, v7, v0
	s_and_b32 exec_lo, exec_lo, vcc_lo
	s_cbranch_execz .LBB78_11
; %bb.10:
	s_lshl_b32 s2, s2, 1
	s_mov_b32 s3, 0
	s_waitcnt lgkmcnt(0)
	v_add_f32_e32 v0, v0, v1
	s_lshl_b64 s[2:3], s[2:3], 2
	v_mov_b32_e32 v1, 0
	s_add_u32 s0, s0, s2
	s_addc_u32 s1, s1, s3
	global_store_dword v1, v0, s[0:1]
.LBB78_11:
	s_endpgm
	.section	.rodata,"a",@progbits
	.p2align	6, 0x0
	.amdhsa_kernel _ZL13mul_mat_vec_qIL9ggml_type39ELi3ELb0ELb0EEvPKvS2_PKi31ggml_cuda_mm_fusion_args_devicePfj15HIP_vector_typeIjLj3EEjjjS8_jjjS8_jjjj
		.amdhsa_group_segment_fixed_size 0
		.amdhsa_private_segment_fixed_size 0
		.amdhsa_kernarg_size 144
		.amdhsa_user_sgpr_count 6
		.amdhsa_user_sgpr_private_segment_buffer 1
		.amdhsa_user_sgpr_dispatch_ptr 0
		.amdhsa_user_sgpr_queue_ptr 0
		.amdhsa_user_sgpr_kernarg_segment_ptr 1
		.amdhsa_user_sgpr_dispatch_id 0
		.amdhsa_user_sgpr_flat_scratch_init 0
		.amdhsa_user_sgpr_private_segment_size 0
		.amdhsa_wavefront_size32 1
		.amdhsa_uses_dynamic_stack 0
		.amdhsa_system_sgpr_private_segment_wavefront_offset 0
		.amdhsa_system_sgpr_workgroup_id_x 1
		.amdhsa_system_sgpr_workgroup_id_y 1
		.amdhsa_system_sgpr_workgroup_id_z 1
		.amdhsa_system_sgpr_workgroup_info 0
		.amdhsa_system_vgpr_workitem_id 1
		.amdhsa_next_free_vgpr 41
		.amdhsa_next_free_sgpr 26
		.amdhsa_reserve_vcc 1
		.amdhsa_reserve_flat_scratch 0
		.amdhsa_float_round_mode_32 0
		.amdhsa_float_round_mode_16_64 0
		.amdhsa_float_denorm_mode_32 3
		.amdhsa_float_denorm_mode_16_64 3
		.amdhsa_dx10_clamp 1
		.amdhsa_ieee_mode 1
		.amdhsa_fp16_overflow 0
		.amdhsa_workgroup_processor_mode 1
		.amdhsa_memory_ordered 1
		.amdhsa_forward_progress 1
		.amdhsa_shared_vgpr_count 0
		.amdhsa_exception_fp_ieee_invalid_op 0
		.amdhsa_exception_fp_denorm_src 0
		.amdhsa_exception_fp_ieee_div_zero 0
		.amdhsa_exception_fp_ieee_overflow 0
		.amdhsa_exception_fp_ieee_underflow 0
		.amdhsa_exception_fp_ieee_inexact 0
		.amdhsa_exception_int_div_zero 0
	.end_amdhsa_kernel
	.section	.text._ZL13mul_mat_vec_qIL9ggml_type39ELi3ELb0ELb0EEvPKvS2_PKi31ggml_cuda_mm_fusion_args_devicePfj15HIP_vector_typeIjLj3EEjjjS8_jjjS8_jjjj,"axG",@progbits,_ZL13mul_mat_vec_qIL9ggml_type39ELi3ELb0ELb0EEvPKvS2_PKi31ggml_cuda_mm_fusion_args_devicePfj15HIP_vector_typeIjLj3EEjjjS8_jjjS8_jjjj,comdat
.Lfunc_end78:
	.size	_ZL13mul_mat_vec_qIL9ggml_type39ELi3ELb0ELb0EEvPKvS2_PKi31ggml_cuda_mm_fusion_args_devicePfj15HIP_vector_typeIjLj3EEjjjS8_jjjS8_jjjj, .Lfunc_end78-_ZL13mul_mat_vec_qIL9ggml_type39ELi3ELb0ELb0EEvPKvS2_PKi31ggml_cuda_mm_fusion_args_devicePfj15HIP_vector_typeIjLj3EEjjjS8_jjjS8_jjjj
                                        ; -- End function
	.set _ZL13mul_mat_vec_qIL9ggml_type39ELi3ELb0ELb0EEvPKvS2_PKi31ggml_cuda_mm_fusion_args_devicePfj15HIP_vector_typeIjLj3EEjjjS8_jjjS8_jjjj.num_vgpr, 41
	.set _ZL13mul_mat_vec_qIL9ggml_type39ELi3ELb0ELb0EEvPKvS2_PKi31ggml_cuda_mm_fusion_args_devicePfj15HIP_vector_typeIjLj3EEjjjS8_jjjS8_jjjj.num_agpr, 0
	.set _ZL13mul_mat_vec_qIL9ggml_type39ELi3ELb0ELb0EEvPKvS2_PKi31ggml_cuda_mm_fusion_args_devicePfj15HIP_vector_typeIjLj3EEjjjS8_jjjS8_jjjj.numbered_sgpr, 26
	.set _ZL13mul_mat_vec_qIL9ggml_type39ELi3ELb0ELb0EEvPKvS2_PKi31ggml_cuda_mm_fusion_args_devicePfj15HIP_vector_typeIjLj3EEjjjS8_jjjS8_jjjj.num_named_barrier, 0
	.set _ZL13mul_mat_vec_qIL9ggml_type39ELi3ELb0ELb0EEvPKvS2_PKi31ggml_cuda_mm_fusion_args_devicePfj15HIP_vector_typeIjLj3EEjjjS8_jjjS8_jjjj.private_seg_size, 0
	.set _ZL13mul_mat_vec_qIL9ggml_type39ELi3ELb0ELb0EEvPKvS2_PKi31ggml_cuda_mm_fusion_args_devicePfj15HIP_vector_typeIjLj3EEjjjS8_jjjS8_jjjj.uses_vcc, 1
	.set _ZL13mul_mat_vec_qIL9ggml_type39ELi3ELb0ELb0EEvPKvS2_PKi31ggml_cuda_mm_fusion_args_devicePfj15HIP_vector_typeIjLj3EEjjjS8_jjjS8_jjjj.uses_flat_scratch, 0
	.set _ZL13mul_mat_vec_qIL9ggml_type39ELi3ELb0ELb0EEvPKvS2_PKi31ggml_cuda_mm_fusion_args_devicePfj15HIP_vector_typeIjLj3EEjjjS8_jjjS8_jjjj.has_dyn_sized_stack, 0
	.set _ZL13mul_mat_vec_qIL9ggml_type39ELi3ELb0ELb0EEvPKvS2_PKi31ggml_cuda_mm_fusion_args_devicePfj15HIP_vector_typeIjLj3EEjjjS8_jjjS8_jjjj.has_recursion, 0
	.set _ZL13mul_mat_vec_qIL9ggml_type39ELi3ELb0ELb0EEvPKvS2_PKi31ggml_cuda_mm_fusion_args_devicePfj15HIP_vector_typeIjLj3EEjjjS8_jjjS8_jjjj.has_indirect_call, 0
	.section	.AMDGPU.csdata,"",@progbits
; Kernel info:
; codeLenInByte = 1428
; TotalNumSgprs: 28
; NumVgprs: 41
; ScratchSize: 0
; MemoryBound: 0
; FloatMode: 240
; IeeeMode: 1
; LDSByteSize: 0 bytes/workgroup (compile time only)
; SGPRBlocks: 0
; VGPRBlocks: 5
; NumSGPRsForWavesPerEU: 28
; NumVGPRsForWavesPerEU: 41
; Occupancy: 16
; WaveLimiterHint : 0
; COMPUTE_PGM_RSRC2:SCRATCH_EN: 0
; COMPUTE_PGM_RSRC2:USER_SGPR: 6
; COMPUTE_PGM_RSRC2:TRAP_HANDLER: 0
; COMPUTE_PGM_RSRC2:TGID_X_EN: 1
; COMPUTE_PGM_RSRC2:TGID_Y_EN: 1
; COMPUTE_PGM_RSRC2:TGID_Z_EN: 1
; COMPUTE_PGM_RSRC2:TIDIG_COMP_CNT: 1
	.section	.text._ZL13mul_mat_vec_qIL9ggml_type39ELi4ELb0ELb0EEvPKvS2_PKi31ggml_cuda_mm_fusion_args_devicePfj15HIP_vector_typeIjLj3EEjjjS8_jjjS8_jjjj,"axG",@progbits,_ZL13mul_mat_vec_qIL9ggml_type39ELi4ELb0ELb0EEvPKvS2_PKi31ggml_cuda_mm_fusion_args_devicePfj15HIP_vector_typeIjLj3EEjjjS8_jjjS8_jjjj,comdat
	.globl	_ZL13mul_mat_vec_qIL9ggml_type39ELi4ELb0ELb0EEvPKvS2_PKi31ggml_cuda_mm_fusion_args_devicePfj15HIP_vector_typeIjLj3EEjjjS8_jjjS8_jjjj ; -- Begin function _ZL13mul_mat_vec_qIL9ggml_type39ELi4ELb0ELb0EEvPKvS2_PKi31ggml_cuda_mm_fusion_args_devicePfj15HIP_vector_typeIjLj3EEjjjS8_jjjS8_jjjj
	.p2align	8
	.type	_ZL13mul_mat_vec_qIL9ggml_type39ELi4ELb0ELb0EEvPKvS2_PKi31ggml_cuda_mm_fusion_args_devicePfj15HIP_vector_typeIjLj3EEjjjS8_jjjS8_jjjj,@function
_ZL13mul_mat_vec_qIL9ggml_type39ELi4ELb0ELb0EEvPKvS2_PKi31ggml_cuda_mm_fusion_args_devicePfj15HIP_vector_typeIjLj3EEjjjS8_jjjS8_jjjj: ; @_ZL13mul_mat_vec_qIL9ggml_type39ELi4ELb0ELb0EEvPKvS2_PKi31ggml_cuda_mm_fusion_args_devicePfj15HIP_vector_typeIjLj3EEjjjS8_jjjS8_jjjj
; %bb.0:
	s_clause 0x5
	s_load_dwordx4 s[16:19], s[4:5], 0x80
	s_load_dword s9, s[4:5], 0x40
	s_load_dwordx4 s[0:3], s[4:5], 0x50
	s_load_dword s24, s[4:5], 0x60
	;; [unrolled: 2-line block ×3, first 2 shown]
	v_lshl_or_b32 v2, v1, 5, v0
	v_mov_b32_e32 v4, 0
	v_mov_b32_e32 v5, 0
	;; [unrolled: 1-line block ×4, first 2 shown]
	v_lshrrev_b16 v3, 1, v2
	v_and_b32_e32 v7, 0xffff, v3
	s_waitcnt lgkmcnt(0)
	s_lshr_b32 s19, s9, 5
	s_mov_b32 s9, exec_lo
	v_cmpx_gt_u32_e64 s19, v7
	s_cbranch_execz .LBB79_4
; %bb.1:
	s_load_dwordx4 s[20:23], s[4:5], 0x0
	s_mul_i32 s10, s17, s8
	s_mul_i32 s11, s13, s7
	;; [unrolled: 1-line block ×3, first 2 shown]
	s_mul_hi_u32 s0, s3, s7
	s_mul_hi_u32 s3, s15, s8
	v_lshlrev_b32_e32 v3, 1, v0
	s_mul_hi_u32 s15, s10, 36
	s_mul_i32 s10, s10, 36
	v_lshrrev_b32_e32 v2, 1, v2
	s_mul_hi_u32 s17, s11, 36
	s_mul_i32 s11, s11, 36
	v_and_b32_e32 v5, 1, v0
	v_and_b32_e32 v6, 2, v3
	v_mov_b32_e32 v4, 0
	v_mov_b32_e32 v8, 0
	v_lshlrev_b32_e32 v9, 3, v5
	v_lshlrev_b32_e32 v10, 2, v6
	;; [unrolled: 1-line block ×3, first 2 shown]
	s_waitcnt lgkmcnt(0)
	s_add_u32 s10, s22, s10
	s_addc_u32 s15, s23, s15
	s_add_u32 s10, s10, s11
	s_addc_u32 s11, s15, s17
	s_add_i32 s15, s7, s0
	s_add_i32 s3, s8, s3
	s_lshr_b32 s15, s15, s24
	v_mad_u64_u32 v[2:3], null, v2, 36, s[10:11]
	s_lshr_b32 s3, s3, s25
	s_mul_i32 s12, s15, s12
	v_mov_b32_e32 v5, 0
	v_mov_b32_e32 v6, 0
	s_mul_i32 s3, s3, s16
	s_add_i32 s12, s12, s13
	s_lshl_b32 s0, s1, 1
	s_add_i32 s3, s3, s12
	s_mul_i32 s13, s1, 3
	s_mov_b32 s12, 0
	s_mov_b32 s15, 0xc080604
	;; [unrolled: 1-line block ×4, first 2 shown]
.LBB79_2:                               ; =>This Inner Loop Header: Depth=1
	v_add_nc_u32_e32 v14, s3, v7
	v_add_nc_u32_e32 v18, s1, v7
	;; [unrolled: 1-line block ×4, first 2 shown]
	v_add_co_u32 v12, vcc_lo, v2, v9
	v_mad_i64_i32 v[14:15], null, v14, 17, s[20:21]
	v_mad_u64_u32 v[18:19], null, v18, 36, s[10:11]
	v_mad_u64_u32 v[20:21], null, v20, 36, s[10:11]
	;; [unrolled: 1-line block ×3, first 2 shown]
	v_add_co_ci_u32_e64 v13, null, 0, v3, vcc_lo
	v_add_co_u32 v24, vcc_lo, v14, v10
	v_add_co_ci_u32_e64 v25, null, 0, v15, vcc_lo
	v_add_co_u32 v26, vcc_lo, v18, v11
	;; [unrolled: 2-line block ×4, first 2 shown]
	v_add_co_ci_u32_e64 v31, null, 0, v23, vcc_lo
	s_clause 0x2
	global_load_dword v32, v[2:3], off
	global_load_dwordx2 v[16:17], v[12:13], off offset:4
	global_load_dwordx2 v[12:13], v[12:13], off offset:20
	s_clause 0x1
	global_load_dwordx2 v[24:25], v[24:25], off offset:1
	global_load_ubyte v33, v[14:15], off
	s_clause 0x8
	global_load_dwordx2 v[14:15], v[26:27], off offset:4
	global_load_dwordx2 v[26:27], v[26:27], off offset:20
	global_load_dword v34, v[20:21], off
	global_load_dword v35, v[18:19], off
	global_load_dwordx2 v[18:19], v[30:31], off offset:20
	global_load_dwordx2 v[20:21], v[28:29], off offset:4
	;; [unrolled: 1-line block ×4, first 2 shown]
	global_load_dword v22, v[22:23], off
	v_add_co_u32 v2, vcc_lo, 0x240, v2
	v_mov_b32_e32 v23, 0
	v_mov_b32_e32 v36, 0
	;; [unrolled: 1-line block ×4, first 2 shown]
	v_add_co_ci_u32_e64 v3, null, 0, v3, vcc_lo
	v_add_nc_u32_e32 v7, 16, v7
	s_waitcnt vmcnt(10)
	v_ashrrev_i32_e32 v39, 4, v24
	v_and_b32_e32 v40, 0x7070707, v24
	v_lshrrev_b32_e32 v24, 1, v24
	v_ashrrev_i32_e32 v41, 4, v25
	v_and_b32_e32 v42, 0x7070707, v25
	v_and_b32_e32 v45, 0x7070707, v39
	v_perm_b32 v44, s15, 0x3020100, v40
	v_perm_b32 v40, s16, 0xfdfeff00, v40
	v_and_or_b32 v24, v24, s17, 0x3020100
	v_lshrrev_b32_e32 v39, 1, v39
	v_lshrrev_b32_e32 v25, 1, v25
	s_waitcnt vmcnt(9)
	v_lshlrev_b32_e32 v43, 23, v33
	v_cmp_ne_u32_e32 vcc_lo, 0, v33
	v_perm_b32 v33, s15, 0x3020100, v45
	v_perm_b32 v45, s16, 0xfdfeff00, v45
	v_and_or_b32 v39, v39, s17, 0x3020100
	v_perm_b32 v24, v40, v44, v24
	v_perm_b32 v46, s15, 0x3020100, v42
	v_and_b32_e32 v47, 0x7070707, v41
	v_perm_b32 v42, s16, 0xfdfeff00, v42
	v_and_or_b32 v25, v25, s17, 0x3020100
	v_lshrrev_b32_e32 v41, 1, v41
	v_perm_b32 v33, v45, v33, v39
	v_dot4c_i32_i8 v23, v24, v16
	s_waitcnt vmcnt(8)
	v_dot4c_i32_i8 v36, v24, v14
	s_waitcnt vmcnt(3)
	;; [unrolled: 2-line block ×3, first 2 shown]
	v_dot4c_i32_i8 v38, v24, v30
	v_perm_b32 v48, s15, 0x3020100, v47
	v_perm_b32 v47, s16, 0xfdfeff00, v47
	v_and_or_b32 v41, v41, s17, 0x3020100
	v_perm_b32 v25, v42, v46, v25
	v_dot4c_i32_i8 v23, v33, v12
	v_dot4c_i32_i8 v36, v33, v26
	;; [unrolled: 1-line block ×4, first 2 shown]
	v_mul_f32_e32 v43, 0.5, v43
	v_perm_b32 v39, v47, v48, v41
	v_dot4c_i32_i8 v23, v25, v17
	v_dot4c_i32_i8 v36, v25, v15
	;; [unrolled: 1-line block ×4, first 2 shown]
	v_cvt_f32_f16_e32 v32, v32
	v_cvt_f32_f16_e32 v35, v35
	;; [unrolled: 1-line block ×3, first 2 shown]
	s_waitcnt vmcnt(0)
	v_cvt_f32_f16_e32 v22, v22
	v_cndmask_b32_e32 v40, 0x200000, v43, vcc_lo
	v_dot4c_i32_i8 v23, v39, v13
	v_dot4c_i32_i8 v36, v39, v27
	;; [unrolled: 1-line block ×4, first 2 shown]
	v_mul_f32_e32 v14, v40, v32
	v_mul_f32_e32 v12, v40, v35
	;; [unrolled: 1-line block ×4, first 2 shown]
	v_cvt_f32_i32_e32 v16, v23
	v_cvt_f32_i32_e32 v17, v36
	;; [unrolled: 1-line block ×4, first 2 shown]
	v_cmp_le_u32_e32 vcc_lo, s19, v7
	v_fmac_f32_e32 v8, v14, v16
	v_fmac_f32_e32 v6, v12, v17
	;; [unrolled: 1-line block ×4, first 2 shown]
	s_or_b32 s12, vcc_lo, s12
	s_andn2_b32 exec_lo, exec_lo, s12
	s_cbranch_execnz .LBB79_2
; %bb.3:
	s_or_b32 exec_lo, exec_lo, s12
.LBB79_4:
	s_or_b32 exec_lo, exec_lo, s9
	s_mov_b32 s1, 0
	; wave barrier
	buffer_gl0_inv
	s_mov_b32 s0, exec_lo
	v_cmpx_eq_u32_e32 0, v1
	s_cbranch_execz .LBB79_13
; %bb.5:
	v_mbcnt_lo_u32_b32 v9, -1, 0
	s_load_dwordx2 s[4:5], s[4:5], 0x38
	s_mul_i32 s0, s14, s7
	s_mul_i32 s3, s18, s8
	s_add_i32 s0, s0, s6
	v_xor_b32_e32 v1, 16, v9
	v_xor_b32_e32 v2, 8, v9
	s_add_i32 s0, s0, s3
	s_lshl_b64 s[0:1], s[0:1], 2
	v_cmp_gt_i32_e32 vcc_lo, 32, v1
	v_cndmask_b32_e32 v1, v9, v1, vcc_lo
	v_cmp_gt_i32_e32 vcc_lo, 32, v2
	v_lshlrev_b32_e32 v1, 2, v1
	v_cndmask_b32_e32 v2, v9, v2, vcc_lo
	s_waitcnt lgkmcnt(0)
	s_add_u32 s0, s4, s0
	s_addc_u32 s1, s5, s1
	ds_bpermute_b32 v3, v1, v8
	v_lshlrev_b32_e32 v2, 2, v2
	s_waitcnt lgkmcnt(0)
	v_add_f32_e32 v7, v8, v3
	v_xor_b32_e32 v3, 4, v9
	ds_bpermute_b32 v8, v2, v7
	v_cmp_gt_i32_e32 vcc_lo, 32, v3
	v_cndmask_b32_e32 v3, v9, v3, vcc_lo
	v_lshlrev_b32_e32 v3, 2, v3
	s_waitcnt lgkmcnt(0)
	v_add_f32_e32 v8, v7, v8
	v_xor_b32_e32 v7, 2, v9
	ds_bpermute_b32 v10, v3, v8
	v_cmp_gt_i32_e32 vcc_lo, 32, v7
	v_cndmask_b32_e32 v7, v9, v7, vcc_lo
	;; [unrolled: 7-line block ×3, first 2 shown]
	v_cmp_eq_u32_e32 vcc_lo, 0, v0
	v_lshlrev_b32_e32 v8, 2, v8
	s_waitcnt lgkmcnt(0)
	v_add_f32_e32 v9, v10, v11
	ds_bpermute_b32 v10, v8, v9
	s_and_saveexec_b32 s3, vcc_lo
	s_cbranch_execz .LBB79_7
; %bb.6:
	s_waitcnt lgkmcnt(0)
	v_add_f32_e32 v0, v9, v10
	v_mov_b32_e32 v9, 0
	global_store_dword v9, v0, s[0:1]
.LBB79_7:
	s_or_b32 exec_lo, exec_lo, s3
	ds_bpermute_b32 v0, v1, v6
	s_waitcnt lgkmcnt(0)
	v_add_f32_e32 v0, v6, v0
	ds_bpermute_b32 v6, v2, v0
	s_waitcnt lgkmcnt(0)
	v_add_f32_e32 v0, v0, v6
	;; [unrolled: 3-line block ×4, first 2 shown]
	ds_bpermute_b32 v6, v8, v0
	s_and_saveexec_b32 s4, vcc_lo
	s_cbranch_execz .LBB79_9
; %bb.8:
	s_mov_b32 s3, 0
	s_waitcnt lgkmcnt(0)
	v_add_f32_e32 v0, v0, v6
	s_lshl_b64 s[6:7], s[2:3], 2
	v_mov_b32_e32 v6, 0
	s_add_u32 s6, s0, s6
	s_addc_u32 s7, s1, s7
	global_store_dword v6, v0, s[6:7]
.LBB79_9:
	s_or_b32 exec_lo, exec_lo, s4
	ds_bpermute_b32 v0, v1, v5
	s_waitcnt lgkmcnt(0)
	v_add_f32_e32 v0, v5, v0
	ds_bpermute_b32 v5, v2, v0
	s_waitcnt lgkmcnt(0)
	v_add_f32_e32 v0, v0, v5
	;; [unrolled: 3-line block ×4, first 2 shown]
	ds_bpermute_b32 v5, v8, v0
	s_and_saveexec_b32 s3, vcc_lo
	s_cbranch_execz .LBB79_11
; %bb.10:
	s_lshl_b32 s4, s2, 1
	s_mov_b32 s5, 0
	s_waitcnt lgkmcnt(0)
	v_add_f32_e32 v0, v0, v5
	s_lshl_b64 s[4:5], s[4:5], 2
	v_mov_b32_e32 v5, 0
	s_add_u32 s4, s0, s4
	s_addc_u32 s5, s1, s5
	global_store_dword v5, v0, s[4:5]
.LBB79_11:
	s_or_b32 exec_lo, exec_lo, s3
	ds_bpermute_b32 v0, v1, v4
	s_waitcnt lgkmcnt(0)
	v_add_f32_e32 v0, v4, v0
	ds_bpermute_b32 v1, v2, v0
	s_waitcnt lgkmcnt(0)
	v_add_f32_e32 v0, v0, v1
	;; [unrolled: 3-line block ×4, first 2 shown]
	ds_bpermute_b32 v1, v8, v0
	s_and_b32 exec_lo, exec_lo, vcc_lo
	s_cbranch_execz .LBB79_13
; %bb.12:
	s_mul_i32 s2, s2, 3
	s_mov_b32 s3, 0
	s_waitcnt lgkmcnt(0)
	v_add_f32_e32 v0, v0, v1
	s_lshl_b64 s[2:3], s[2:3], 2
	v_mov_b32_e32 v1, 0
	s_add_u32 s0, s0, s2
	s_addc_u32 s1, s1, s3
	global_store_dword v1, v0, s[0:1]
.LBB79_13:
	s_endpgm
	.section	.rodata,"a",@progbits
	.p2align	6, 0x0
	.amdhsa_kernel _ZL13mul_mat_vec_qIL9ggml_type39ELi4ELb0ELb0EEvPKvS2_PKi31ggml_cuda_mm_fusion_args_devicePfj15HIP_vector_typeIjLj3EEjjjS8_jjjS8_jjjj
		.amdhsa_group_segment_fixed_size 0
		.amdhsa_private_segment_fixed_size 0
		.amdhsa_kernarg_size 144
		.amdhsa_user_sgpr_count 6
		.amdhsa_user_sgpr_private_segment_buffer 1
		.amdhsa_user_sgpr_dispatch_ptr 0
		.amdhsa_user_sgpr_queue_ptr 0
		.amdhsa_user_sgpr_kernarg_segment_ptr 1
		.amdhsa_user_sgpr_dispatch_id 0
		.amdhsa_user_sgpr_flat_scratch_init 0
		.amdhsa_user_sgpr_private_segment_size 0
		.amdhsa_wavefront_size32 1
		.amdhsa_uses_dynamic_stack 0
		.amdhsa_system_sgpr_private_segment_wavefront_offset 0
		.amdhsa_system_sgpr_workgroup_id_x 1
		.amdhsa_system_sgpr_workgroup_id_y 1
		.amdhsa_system_sgpr_workgroup_id_z 1
		.amdhsa_system_sgpr_workgroup_info 0
		.amdhsa_system_vgpr_workitem_id 1
		.amdhsa_next_free_vgpr 49
		.amdhsa_next_free_sgpr 26
		.amdhsa_reserve_vcc 1
		.amdhsa_reserve_flat_scratch 0
		.amdhsa_float_round_mode_32 0
		.amdhsa_float_round_mode_16_64 0
		.amdhsa_float_denorm_mode_32 3
		.amdhsa_float_denorm_mode_16_64 3
		.amdhsa_dx10_clamp 1
		.amdhsa_ieee_mode 1
		.amdhsa_fp16_overflow 0
		.amdhsa_workgroup_processor_mode 1
		.amdhsa_memory_ordered 1
		.amdhsa_forward_progress 1
		.amdhsa_shared_vgpr_count 0
		.amdhsa_exception_fp_ieee_invalid_op 0
		.amdhsa_exception_fp_denorm_src 0
		.amdhsa_exception_fp_ieee_div_zero 0
		.amdhsa_exception_fp_ieee_overflow 0
		.amdhsa_exception_fp_ieee_underflow 0
		.amdhsa_exception_fp_ieee_inexact 0
		.amdhsa_exception_int_div_zero 0
	.end_amdhsa_kernel
	.section	.text._ZL13mul_mat_vec_qIL9ggml_type39ELi4ELb0ELb0EEvPKvS2_PKi31ggml_cuda_mm_fusion_args_devicePfj15HIP_vector_typeIjLj3EEjjjS8_jjjS8_jjjj,"axG",@progbits,_ZL13mul_mat_vec_qIL9ggml_type39ELi4ELb0ELb0EEvPKvS2_PKi31ggml_cuda_mm_fusion_args_devicePfj15HIP_vector_typeIjLj3EEjjjS8_jjjS8_jjjj,comdat
.Lfunc_end79:
	.size	_ZL13mul_mat_vec_qIL9ggml_type39ELi4ELb0ELb0EEvPKvS2_PKi31ggml_cuda_mm_fusion_args_devicePfj15HIP_vector_typeIjLj3EEjjjS8_jjjS8_jjjj, .Lfunc_end79-_ZL13mul_mat_vec_qIL9ggml_type39ELi4ELb0ELb0EEvPKvS2_PKi31ggml_cuda_mm_fusion_args_devicePfj15HIP_vector_typeIjLj3EEjjjS8_jjjS8_jjjj
                                        ; -- End function
	.set _ZL13mul_mat_vec_qIL9ggml_type39ELi4ELb0ELb0EEvPKvS2_PKi31ggml_cuda_mm_fusion_args_devicePfj15HIP_vector_typeIjLj3EEjjjS8_jjjS8_jjjj.num_vgpr, 49
	.set _ZL13mul_mat_vec_qIL9ggml_type39ELi4ELb0ELb0EEvPKvS2_PKi31ggml_cuda_mm_fusion_args_devicePfj15HIP_vector_typeIjLj3EEjjjS8_jjjS8_jjjj.num_agpr, 0
	.set _ZL13mul_mat_vec_qIL9ggml_type39ELi4ELb0ELb0EEvPKvS2_PKi31ggml_cuda_mm_fusion_args_devicePfj15HIP_vector_typeIjLj3EEjjjS8_jjjS8_jjjj.numbered_sgpr, 26
	.set _ZL13mul_mat_vec_qIL9ggml_type39ELi4ELb0ELb0EEvPKvS2_PKi31ggml_cuda_mm_fusion_args_devicePfj15HIP_vector_typeIjLj3EEjjjS8_jjjS8_jjjj.num_named_barrier, 0
	.set _ZL13mul_mat_vec_qIL9ggml_type39ELi4ELb0ELb0EEvPKvS2_PKi31ggml_cuda_mm_fusion_args_devicePfj15HIP_vector_typeIjLj3EEjjjS8_jjjS8_jjjj.private_seg_size, 0
	.set _ZL13mul_mat_vec_qIL9ggml_type39ELi4ELb0ELb0EEvPKvS2_PKi31ggml_cuda_mm_fusion_args_devicePfj15HIP_vector_typeIjLj3EEjjjS8_jjjS8_jjjj.uses_vcc, 1
	.set _ZL13mul_mat_vec_qIL9ggml_type39ELi4ELb0ELb0EEvPKvS2_PKi31ggml_cuda_mm_fusion_args_devicePfj15HIP_vector_typeIjLj3EEjjjS8_jjjS8_jjjj.uses_flat_scratch, 0
	.set _ZL13mul_mat_vec_qIL9ggml_type39ELi4ELb0ELb0EEvPKvS2_PKi31ggml_cuda_mm_fusion_args_devicePfj15HIP_vector_typeIjLj3EEjjjS8_jjjS8_jjjj.has_dyn_sized_stack, 0
	.set _ZL13mul_mat_vec_qIL9ggml_type39ELi4ELb0ELb0EEvPKvS2_PKi31ggml_cuda_mm_fusion_args_devicePfj15HIP_vector_typeIjLj3EEjjjS8_jjjS8_jjjj.has_recursion, 0
	.set _ZL13mul_mat_vec_qIL9ggml_type39ELi4ELb0ELb0EEvPKvS2_PKi31ggml_cuda_mm_fusion_args_devicePfj15HIP_vector_typeIjLj3EEjjjS8_jjjS8_jjjj.has_indirect_call, 0
	.section	.AMDGPU.csdata,"",@progbits
; Kernel info:
; codeLenInByte = 1648
; TotalNumSgprs: 28
; NumVgprs: 49
; ScratchSize: 0
; MemoryBound: 0
; FloatMode: 240
; IeeeMode: 1
; LDSByteSize: 0 bytes/workgroup (compile time only)
; SGPRBlocks: 0
; VGPRBlocks: 6
; NumSGPRsForWavesPerEU: 28
; NumVGPRsForWavesPerEU: 49
; Occupancy: 16
; WaveLimiterHint : 0
; COMPUTE_PGM_RSRC2:SCRATCH_EN: 0
; COMPUTE_PGM_RSRC2:USER_SGPR: 6
; COMPUTE_PGM_RSRC2:TRAP_HANDLER: 0
; COMPUTE_PGM_RSRC2:TGID_X_EN: 1
; COMPUTE_PGM_RSRC2:TGID_Y_EN: 1
; COMPUTE_PGM_RSRC2:TGID_Z_EN: 1
; COMPUTE_PGM_RSRC2:TIDIG_COMP_CNT: 1
	.section	.text._ZL13mul_mat_vec_qIL9ggml_type39ELi5ELb0ELb0EEvPKvS2_PKi31ggml_cuda_mm_fusion_args_devicePfj15HIP_vector_typeIjLj3EEjjjS8_jjjS8_jjjj,"axG",@progbits,_ZL13mul_mat_vec_qIL9ggml_type39ELi5ELb0ELb0EEvPKvS2_PKi31ggml_cuda_mm_fusion_args_devicePfj15HIP_vector_typeIjLj3EEjjjS8_jjjS8_jjjj,comdat
	.globl	_ZL13mul_mat_vec_qIL9ggml_type39ELi5ELb0ELb0EEvPKvS2_PKi31ggml_cuda_mm_fusion_args_devicePfj15HIP_vector_typeIjLj3EEjjjS8_jjjS8_jjjj ; -- Begin function _ZL13mul_mat_vec_qIL9ggml_type39ELi5ELb0ELb0EEvPKvS2_PKi31ggml_cuda_mm_fusion_args_devicePfj15HIP_vector_typeIjLj3EEjjjS8_jjjS8_jjjj
	.p2align	8
	.type	_ZL13mul_mat_vec_qIL9ggml_type39ELi5ELb0ELb0EEvPKvS2_PKi31ggml_cuda_mm_fusion_args_devicePfj15HIP_vector_typeIjLj3EEjjjS8_jjjS8_jjjj,@function
_ZL13mul_mat_vec_qIL9ggml_type39ELi5ELb0ELb0EEvPKvS2_PKi31ggml_cuda_mm_fusion_args_devicePfj15HIP_vector_typeIjLj3EEjjjS8_jjjS8_jjjj: ; @_ZL13mul_mat_vec_qIL9ggml_type39ELi5ELb0ELb0EEvPKvS2_PKi31ggml_cuda_mm_fusion_args_devicePfj15HIP_vector_typeIjLj3EEjjjS8_jjjS8_jjjj
; %bb.0:
	s_clause 0x5
	s_load_dwordx4 s[16:19], s[4:5], 0x80
	s_load_dword s9, s[4:5], 0x40
	s_load_dwordx4 s[0:3], s[4:5], 0x50
	s_load_dword s24, s[4:5], 0x60
	;; [unrolled: 2-line block ×3, first 2 shown]
	v_lshl_or_b32 v2, v1, 5, v0
	v_mov_b32_e32 v4, 0
	v_mov_b32_e32 v5, 0
	;; [unrolled: 1-line block ×4, first 2 shown]
	v_lshrrev_b16 v3, 1, v2
	v_mov_b32_e32 v9, 0
	v_and_b32_e32 v8, 0xffff, v3
	s_waitcnt lgkmcnt(0)
	s_lshr_b32 s19, s9, 5
	s_mov_b32 s9, exec_lo
	v_cmpx_gt_u32_e64 s19, v8
	s_cbranch_execz .LBB80_4
; %bb.1:
	s_load_dwordx4 s[20:23], s[4:5], 0x0
	s_mul_i32 s10, s17, s8
	s_mul_i32 s11, s13, s7
	s_mul_hi_u32 s13, s15, s8
	v_lshlrev_b32_e32 v3, 1, v0
	s_mul_hi_u32 s15, s10, 36
	s_mul_i32 s10, s10, 36
	v_lshrrev_b32_e32 v2, 1, v2
	s_mul_hi_u32 s17, s11, 36
	s_mul_i32 s11, s11, 36
	s_mul_hi_u32 s3, s3, s7
	v_and_b32_e32 v5, 1, v0
	v_and_b32_e32 v6, 2, v3
	s_mul_i32 s0, s0, s6
	v_mov_b32_e32 v4, 0
	v_mov_b32_e32 v9, 0
	v_lshlrev_b32_e32 v10, 3, v5
	v_lshlrev_b32_e32 v11, 2, v6
	;; [unrolled: 1-line block ×3, first 2 shown]
	v_mov_b32_e32 v5, 0
	s_waitcnt lgkmcnt(0)
	s_add_u32 s10, s22, s10
	s_addc_u32 s15, s23, s15
	s_add_u32 s10, s10, s11
	s_addc_u32 s11, s15, s17
	s_add_i32 s15, s7, s3
	s_add_i32 s13, s8, s13
	s_lshr_b32 s15, s15, s24
	v_mad_u64_u32 v[2:3], null, v2, 36, s[10:11]
	s_lshr_b32 s13, s13, s25
	s_mul_i32 s12, s15, s12
	v_mov_b32_e32 v6, 0
	v_mov_b32_e32 v7, 0
	s_mul_i32 s13, s13, s16
	s_add_i32 s12, s12, s0
	s_lshl_b32 s3, s1, 1
	s_add_i32 s12, s13, s12
	s_mul_i32 s13, s1, 3
	s_lshl_b32 s16, s1, 2
	s_mov_b32 s15, 0
	s_mov_b32 s17, 0xc080604
	;; [unrolled: 1-line block ×4, first 2 shown]
.LBB80_2:                               ; =>This Inner Loop Header: Depth=1
	v_add_nc_u32_e32 v15, s12, v8
	v_add_nc_u32_e32 v19, s1, v8
	v_add_nc_u32_e32 v21, s3, v8
	v_add_nc_u32_e32 v23, s13, v8
	v_add_nc_u32_e32 v25, s16, v8
	v_mad_i64_i32 v[15:16], null, v15, 17, s[20:21]
	v_mad_u64_u32 v[19:20], null, v19, 36, s[10:11]
	v_mad_u64_u32 v[21:22], null, v21, 36, s[10:11]
	v_add_co_u32 v13, vcc_lo, v2, v10
	v_mad_u64_u32 v[23:24], null, v23, 36, s[10:11]
	v_add_co_ci_u32_e64 v14, null, 0, v3, vcc_lo
	v_mad_u64_u32 v[25:26], null, v25, 36, s[10:11]
	v_add_co_u32 v27, vcc_lo, v15, v11
	v_add_co_ci_u32_e64 v28, null, 0, v16, vcc_lo
	v_add_co_u32 v29, vcc_lo, v19, v12
	v_add_co_ci_u32_e64 v30, null, 0, v20, vcc_lo
	;; [unrolled: 2-line block ×5, first 2 shown]
	s_clause 0x2
	global_load_dword v37, v[2:3], off
	global_load_dwordx2 v[17:18], v[13:14], off offset:4
	global_load_dwordx2 v[13:14], v[13:14], off offset:20
	s_clause 0x1
	global_load_dwordx2 v[27:28], v[27:28], off offset:1
	global_load_ubyte v38, v[15:16], off
	s_clause 0xb
	global_load_dwordx2 v[15:16], v[29:30], off offset:4
	global_load_dwordx2 v[29:30], v[29:30], off offset:20
	global_load_dword v39, v[21:22], off
	global_load_dword v40, v[19:20], off
	global_load_dwordx2 v[19:20], v[31:32], off offset:4
	global_load_dwordx2 v[21:22], v[31:32], off offset:20
	;; [unrolled: 1-line block ×3, first 2 shown]
	global_load_dword v41, v[23:24], off
	global_load_dwordx2 v[23:24], v[33:34], off offset:20
	global_load_dwordx2 v[33:34], v[35:36], off offset:4
	;; [unrolled: 1-line block ×3, first 2 shown]
	global_load_dword v25, v[25:26], off
	v_mov_b32_e32 v26, 0
	v_mov_b32_e32 v42, 0
	;; [unrolled: 1-line block ×5, first 2 shown]
	v_add_nc_u32_e32 v8, 16, v8
	v_add_co_u32 v2, vcc_lo, 0x240, v2
	v_add_co_ci_u32_e64 v3, null, 0, v3, vcc_lo
	v_cmp_le_u32_e32 vcc_lo, s19, v8
	s_or_b32 s15, vcc_lo, s15
	s_waitcnt vmcnt(13)
	v_ashrrev_i32_e32 v46, 4, v27
	v_and_b32_e32 v47, 0x7070707, v27
	v_lshrrev_b32_e32 v27, 1, v27
	v_ashrrev_i32_e32 v48, 4, v28
	v_and_b32_e32 v49, 0x7070707, v28
	v_and_b32_e32 v52, 0x7070707, v46
	v_perm_b32 v51, s17, 0x3020100, v47
	v_perm_b32 v47, s22, 0xfdfeff00, v47
	v_and_or_b32 v27, v27, s23, 0x3020100
	v_lshrrev_b32_e32 v46, 1, v46
	v_lshrrev_b32_e32 v28, 1, v28
	s_waitcnt vmcnt(12)
	v_lshlrev_b32_e32 v50, 23, v38
	v_cmp_ne_u32_e64 s0, 0, v38
	v_perm_b32 v38, s17, 0x3020100, v52
	v_perm_b32 v52, s22, 0xfdfeff00, v52
	v_and_or_b32 v46, v46, s23, 0x3020100
	v_perm_b32 v27, v47, v51, v27
	v_perm_b32 v53, s17, 0x3020100, v49
	v_and_b32_e32 v54, 0x7070707, v48
	v_perm_b32 v49, s22, 0xfdfeff00, v49
	v_and_or_b32 v28, v28, s23, 0x3020100
	v_lshrrev_b32_e32 v48, 1, v48
	v_perm_b32 v38, v52, v38, v46
	v_dot4c_i32_i8 v26, v27, v17
	s_waitcnt vmcnt(11)
	v_dot4c_i32_i8 v42, v27, v15
	s_waitcnt vmcnt(7)
	;; [unrolled: 2-line block ×4, first 2 shown]
	v_dot4c_i32_i8 v45, v27, v33
	v_perm_b32 v55, s17, 0x3020100, v54
	v_perm_b32 v54, s22, 0xfdfeff00, v54
	v_and_or_b32 v48, v48, s23, 0x3020100
	v_perm_b32 v28, v49, v53, v28
	v_dot4c_i32_i8 v26, v38, v13
	v_dot4c_i32_i8 v42, v38, v29
	;; [unrolled: 1-line block ×4, first 2 shown]
	s_waitcnt vmcnt(1)
	v_dot4c_i32_i8 v45, v38, v35
	v_mul_f32_e32 v50, 0.5, v50
	v_perm_b32 v46, v54, v55, v48
	v_dot4c_i32_i8 v26, v28, v18
	v_dot4c_i32_i8 v42, v28, v16
	;; [unrolled: 1-line block ×5, first 2 shown]
	v_cvt_f32_f16_e32 v37, v37
	v_cvt_f32_f16_e32 v40, v40
	;; [unrolled: 1-line block ×4, first 2 shown]
	s_waitcnt vmcnt(0)
	v_cvt_f32_f16_e32 v25, v25
	v_cndmask_b32_e64 v47, 0x200000, v50, s0
	v_dot4c_i32_i8 v26, v46, v14
	v_dot4c_i32_i8 v42, v46, v30
	;; [unrolled: 1-line block ×5, first 2 shown]
	v_mul_f32_e32 v17, v47, v37
	v_mul_f32_e32 v15, v47, v40
	v_mul_f32_e32 v19, v47, v39
	v_mul_f32_e32 v31, v47, v41
	v_mul_f32_e32 v25, v47, v25
	v_cvt_f32_i32_e32 v13, v26
	v_cvt_f32_i32_e32 v14, v42
	;; [unrolled: 1-line block ×5, first 2 shown]
	v_fmac_f32_e32 v9, v17, v13
	v_fmac_f32_e32 v7, v15, v14
	;; [unrolled: 1-line block ×5, first 2 shown]
	s_andn2_b32 exec_lo, exec_lo, s15
	s_cbranch_execnz .LBB80_2
; %bb.3:
	s_or_b32 exec_lo, exec_lo, s15
.LBB80_4:
	s_or_b32 exec_lo, exec_lo, s9
	s_mov_b32 s1, 0
	; wave barrier
	buffer_gl0_inv
	s_mov_b32 s0, exec_lo
	v_cmpx_eq_u32_e32 0, v1
	s_cbranch_execz .LBB80_15
; %bb.5:
	v_mbcnt_lo_u32_b32 v10, -1, 0
	s_load_dwordx2 s[4:5], s[4:5], 0x38
	s_mul_i32 s0, s14, s7
	s_mul_i32 s3, s18, s8
	s_add_i32 s0, s0, s6
	v_xor_b32_e32 v1, 16, v10
	v_xor_b32_e32 v2, 8, v10
	s_add_i32 s0, s0, s3
	s_lshl_b64 s[0:1], s[0:1], 2
	v_cmp_gt_i32_e32 vcc_lo, 32, v1
	v_cndmask_b32_e32 v1, v10, v1, vcc_lo
	v_cmp_gt_i32_e32 vcc_lo, 32, v2
	v_lshlrev_b32_e32 v1, 2, v1
	v_cndmask_b32_e32 v2, v10, v2, vcc_lo
	s_waitcnt lgkmcnt(0)
	s_add_u32 s0, s4, s0
	s_addc_u32 s1, s5, s1
	ds_bpermute_b32 v3, v1, v9
	v_lshlrev_b32_e32 v2, 2, v2
	s_waitcnt lgkmcnt(0)
	v_add_f32_e32 v8, v9, v3
	v_xor_b32_e32 v3, 4, v10
	ds_bpermute_b32 v9, v2, v8
	v_cmp_gt_i32_e32 vcc_lo, 32, v3
	v_cndmask_b32_e32 v3, v10, v3, vcc_lo
	v_lshlrev_b32_e32 v3, 2, v3
	s_waitcnt lgkmcnt(0)
	v_add_f32_e32 v9, v8, v9
	v_xor_b32_e32 v8, 2, v10
	ds_bpermute_b32 v11, v3, v9
	v_cmp_gt_i32_e32 vcc_lo, 32, v8
	v_cndmask_b32_e32 v8, v10, v8, vcc_lo
	;; [unrolled: 7-line block ×3, first 2 shown]
	v_cmp_eq_u32_e32 vcc_lo, 0, v0
	v_lshlrev_b32_e32 v9, 2, v9
	s_waitcnt lgkmcnt(0)
	v_add_f32_e32 v10, v11, v12
	ds_bpermute_b32 v11, v9, v10
	s_and_saveexec_b32 s3, vcc_lo
	s_cbranch_execz .LBB80_7
; %bb.6:
	s_waitcnt lgkmcnt(0)
	v_add_f32_e32 v0, v10, v11
	v_mov_b32_e32 v10, 0
	global_store_dword v10, v0, s[0:1]
.LBB80_7:
	s_or_b32 exec_lo, exec_lo, s3
	ds_bpermute_b32 v0, v1, v7
	s_waitcnt lgkmcnt(0)
	v_add_f32_e32 v0, v7, v0
	ds_bpermute_b32 v7, v2, v0
	s_waitcnt lgkmcnt(0)
	v_add_f32_e32 v0, v0, v7
	;; [unrolled: 3-line block ×4, first 2 shown]
	ds_bpermute_b32 v7, v9, v0
	s_and_saveexec_b32 s4, vcc_lo
	s_cbranch_execz .LBB80_9
; %bb.8:
	s_mov_b32 s3, 0
	s_waitcnt lgkmcnt(0)
	v_add_f32_e32 v0, v0, v7
	s_lshl_b64 s[6:7], s[2:3], 2
	v_mov_b32_e32 v7, 0
	s_add_u32 s6, s0, s6
	s_addc_u32 s7, s1, s7
	global_store_dword v7, v0, s[6:7]
.LBB80_9:
	s_or_b32 exec_lo, exec_lo, s4
	ds_bpermute_b32 v0, v1, v6
	s_waitcnt lgkmcnt(0)
	v_add_f32_e32 v0, v6, v0
	ds_bpermute_b32 v6, v2, v0
	s_waitcnt lgkmcnt(0)
	v_add_f32_e32 v0, v0, v6
	;; [unrolled: 3-line block ×4, first 2 shown]
	ds_bpermute_b32 v6, v9, v0
	s_and_saveexec_b32 s3, vcc_lo
	s_cbranch_execz .LBB80_11
; %bb.10:
	s_lshl_b32 s4, s2, 1
	s_mov_b32 s5, 0
	s_waitcnt lgkmcnt(0)
	v_add_f32_e32 v0, v0, v6
	s_lshl_b64 s[4:5], s[4:5], 2
	v_mov_b32_e32 v6, 0
	s_add_u32 s4, s0, s4
	s_addc_u32 s5, s1, s5
	global_store_dword v6, v0, s[4:5]
.LBB80_11:
	s_or_b32 exec_lo, exec_lo, s3
	ds_bpermute_b32 v0, v1, v5
	s_waitcnt lgkmcnt(0)
	v_add_f32_e32 v0, v5, v0
	ds_bpermute_b32 v5, v2, v0
	s_waitcnt lgkmcnt(0)
	v_add_f32_e32 v0, v0, v5
	;; [unrolled: 3-line block ×4, first 2 shown]
	ds_bpermute_b32 v5, v9, v0
	s_and_saveexec_b32 s3, vcc_lo
	s_cbranch_execz .LBB80_13
; %bb.12:
	s_mul_i32 s4, s2, 3
	s_mov_b32 s5, 0
	s_waitcnt lgkmcnt(0)
	v_add_f32_e32 v0, v0, v5
	s_lshl_b64 s[4:5], s[4:5], 2
	v_mov_b32_e32 v5, 0
	s_add_u32 s4, s0, s4
	s_addc_u32 s5, s1, s5
	global_store_dword v5, v0, s[4:5]
.LBB80_13:
	s_or_b32 exec_lo, exec_lo, s3
	ds_bpermute_b32 v0, v1, v4
	s_waitcnt lgkmcnt(0)
	v_add_f32_e32 v0, v4, v0
	ds_bpermute_b32 v1, v2, v0
	s_waitcnt lgkmcnt(0)
	v_add_f32_e32 v0, v0, v1
	;; [unrolled: 3-line block ×4, first 2 shown]
	ds_bpermute_b32 v1, v9, v0
	s_and_b32 exec_lo, exec_lo, vcc_lo
	s_cbranch_execz .LBB80_15
; %bb.14:
	s_lshl_b32 s2, s2, 2
	s_mov_b32 s3, 0
	s_waitcnt lgkmcnt(0)
	v_add_f32_e32 v0, v0, v1
	s_lshl_b64 s[2:3], s[2:3], 2
	v_mov_b32_e32 v1, 0
	s_add_u32 s0, s0, s2
	s_addc_u32 s1, s1, s3
	global_store_dword v1, v0, s[0:1]
.LBB80_15:
	s_endpgm
	.section	.rodata,"a",@progbits
	.p2align	6, 0x0
	.amdhsa_kernel _ZL13mul_mat_vec_qIL9ggml_type39ELi5ELb0ELb0EEvPKvS2_PKi31ggml_cuda_mm_fusion_args_devicePfj15HIP_vector_typeIjLj3EEjjjS8_jjjS8_jjjj
		.amdhsa_group_segment_fixed_size 0
		.amdhsa_private_segment_fixed_size 0
		.amdhsa_kernarg_size 144
		.amdhsa_user_sgpr_count 6
		.amdhsa_user_sgpr_private_segment_buffer 1
		.amdhsa_user_sgpr_dispatch_ptr 0
		.amdhsa_user_sgpr_queue_ptr 0
		.amdhsa_user_sgpr_kernarg_segment_ptr 1
		.amdhsa_user_sgpr_dispatch_id 0
		.amdhsa_user_sgpr_flat_scratch_init 0
		.amdhsa_user_sgpr_private_segment_size 0
		.amdhsa_wavefront_size32 1
		.amdhsa_uses_dynamic_stack 0
		.amdhsa_system_sgpr_private_segment_wavefront_offset 0
		.amdhsa_system_sgpr_workgroup_id_x 1
		.amdhsa_system_sgpr_workgroup_id_y 1
		.amdhsa_system_sgpr_workgroup_id_z 1
		.amdhsa_system_sgpr_workgroup_info 0
		.amdhsa_system_vgpr_workitem_id 1
		.amdhsa_next_free_vgpr 56
		.amdhsa_next_free_sgpr 26
		.amdhsa_reserve_vcc 1
		.amdhsa_reserve_flat_scratch 0
		.amdhsa_float_round_mode_32 0
		.amdhsa_float_round_mode_16_64 0
		.amdhsa_float_denorm_mode_32 3
		.amdhsa_float_denorm_mode_16_64 3
		.amdhsa_dx10_clamp 1
		.amdhsa_ieee_mode 1
		.amdhsa_fp16_overflow 0
		.amdhsa_workgroup_processor_mode 1
		.amdhsa_memory_ordered 1
		.amdhsa_forward_progress 1
		.amdhsa_shared_vgpr_count 0
		.amdhsa_exception_fp_ieee_invalid_op 0
		.amdhsa_exception_fp_denorm_src 0
		.amdhsa_exception_fp_ieee_div_zero 0
		.amdhsa_exception_fp_ieee_overflow 0
		.amdhsa_exception_fp_ieee_underflow 0
		.amdhsa_exception_fp_ieee_inexact 0
		.amdhsa_exception_int_div_zero 0
	.end_amdhsa_kernel
	.section	.text._ZL13mul_mat_vec_qIL9ggml_type39ELi5ELb0ELb0EEvPKvS2_PKi31ggml_cuda_mm_fusion_args_devicePfj15HIP_vector_typeIjLj3EEjjjS8_jjjS8_jjjj,"axG",@progbits,_ZL13mul_mat_vec_qIL9ggml_type39ELi5ELb0ELb0EEvPKvS2_PKi31ggml_cuda_mm_fusion_args_devicePfj15HIP_vector_typeIjLj3EEjjjS8_jjjS8_jjjj,comdat
.Lfunc_end80:
	.size	_ZL13mul_mat_vec_qIL9ggml_type39ELi5ELb0ELb0EEvPKvS2_PKi31ggml_cuda_mm_fusion_args_devicePfj15HIP_vector_typeIjLj3EEjjjS8_jjjS8_jjjj, .Lfunc_end80-_ZL13mul_mat_vec_qIL9ggml_type39ELi5ELb0ELb0EEvPKvS2_PKi31ggml_cuda_mm_fusion_args_devicePfj15HIP_vector_typeIjLj3EEjjjS8_jjjS8_jjjj
                                        ; -- End function
	.set _ZL13mul_mat_vec_qIL9ggml_type39ELi5ELb0ELb0EEvPKvS2_PKi31ggml_cuda_mm_fusion_args_devicePfj15HIP_vector_typeIjLj3EEjjjS8_jjjS8_jjjj.num_vgpr, 56
	.set _ZL13mul_mat_vec_qIL9ggml_type39ELi5ELb0ELb0EEvPKvS2_PKi31ggml_cuda_mm_fusion_args_devicePfj15HIP_vector_typeIjLj3EEjjjS8_jjjS8_jjjj.num_agpr, 0
	.set _ZL13mul_mat_vec_qIL9ggml_type39ELi5ELb0ELb0EEvPKvS2_PKi31ggml_cuda_mm_fusion_args_devicePfj15HIP_vector_typeIjLj3EEjjjS8_jjjS8_jjjj.numbered_sgpr, 26
	.set _ZL13mul_mat_vec_qIL9ggml_type39ELi5ELb0ELb0EEvPKvS2_PKi31ggml_cuda_mm_fusion_args_devicePfj15HIP_vector_typeIjLj3EEjjjS8_jjjS8_jjjj.num_named_barrier, 0
	.set _ZL13mul_mat_vec_qIL9ggml_type39ELi5ELb0ELb0EEvPKvS2_PKi31ggml_cuda_mm_fusion_args_devicePfj15HIP_vector_typeIjLj3EEjjjS8_jjjS8_jjjj.private_seg_size, 0
	.set _ZL13mul_mat_vec_qIL9ggml_type39ELi5ELb0ELb0EEvPKvS2_PKi31ggml_cuda_mm_fusion_args_devicePfj15HIP_vector_typeIjLj3EEjjjS8_jjjS8_jjjj.uses_vcc, 1
	.set _ZL13mul_mat_vec_qIL9ggml_type39ELi5ELb0ELb0EEvPKvS2_PKi31ggml_cuda_mm_fusion_args_devicePfj15HIP_vector_typeIjLj3EEjjjS8_jjjS8_jjjj.uses_flat_scratch, 0
	.set _ZL13mul_mat_vec_qIL9ggml_type39ELi5ELb0ELb0EEvPKvS2_PKi31ggml_cuda_mm_fusion_args_devicePfj15HIP_vector_typeIjLj3EEjjjS8_jjjS8_jjjj.has_dyn_sized_stack, 0
	.set _ZL13mul_mat_vec_qIL9ggml_type39ELi5ELb0ELb0EEvPKvS2_PKi31ggml_cuda_mm_fusion_args_devicePfj15HIP_vector_typeIjLj3EEjjjS8_jjjS8_jjjj.has_recursion, 0
	.set _ZL13mul_mat_vec_qIL9ggml_type39ELi5ELb0ELb0EEvPKvS2_PKi31ggml_cuda_mm_fusion_args_devicePfj15HIP_vector_typeIjLj3EEjjjS8_jjjS8_jjjj.has_indirect_call, 0
	.section	.AMDGPU.csdata,"",@progbits
; Kernel info:
; codeLenInByte = 1888
; TotalNumSgprs: 28
; NumVgprs: 56
; ScratchSize: 0
; MemoryBound: 0
; FloatMode: 240
; IeeeMode: 1
; LDSByteSize: 0 bytes/workgroup (compile time only)
; SGPRBlocks: 0
; VGPRBlocks: 6
; NumSGPRsForWavesPerEU: 28
; NumVGPRsForWavesPerEU: 56
; Occupancy: 16
; WaveLimiterHint : 0
; COMPUTE_PGM_RSRC2:SCRATCH_EN: 0
; COMPUTE_PGM_RSRC2:USER_SGPR: 6
; COMPUTE_PGM_RSRC2:TRAP_HANDLER: 0
; COMPUTE_PGM_RSRC2:TGID_X_EN: 1
; COMPUTE_PGM_RSRC2:TGID_Y_EN: 1
; COMPUTE_PGM_RSRC2:TGID_Z_EN: 1
; COMPUTE_PGM_RSRC2:TIDIG_COMP_CNT: 1
	.section	.text._ZL13mul_mat_vec_qIL9ggml_type39ELi6ELb0ELb0EEvPKvS2_PKi31ggml_cuda_mm_fusion_args_devicePfj15HIP_vector_typeIjLj3EEjjjS8_jjjS8_jjjj,"axG",@progbits,_ZL13mul_mat_vec_qIL9ggml_type39ELi6ELb0ELb0EEvPKvS2_PKi31ggml_cuda_mm_fusion_args_devicePfj15HIP_vector_typeIjLj3EEjjjS8_jjjS8_jjjj,comdat
	.globl	_ZL13mul_mat_vec_qIL9ggml_type39ELi6ELb0ELb0EEvPKvS2_PKi31ggml_cuda_mm_fusion_args_devicePfj15HIP_vector_typeIjLj3EEjjjS8_jjjS8_jjjj ; -- Begin function _ZL13mul_mat_vec_qIL9ggml_type39ELi6ELb0ELb0EEvPKvS2_PKi31ggml_cuda_mm_fusion_args_devicePfj15HIP_vector_typeIjLj3EEjjjS8_jjjS8_jjjj
	.p2align	8
	.type	_ZL13mul_mat_vec_qIL9ggml_type39ELi6ELb0ELb0EEvPKvS2_PKi31ggml_cuda_mm_fusion_args_devicePfj15HIP_vector_typeIjLj3EEjjjS8_jjjS8_jjjj,@function
_ZL13mul_mat_vec_qIL9ggml_type39ELi6ELb0ELb0EEvPKvS2_PKi31ggml_cuda_mm_fusion_args_devicePfj15HIP_vector_typeIjLj3EEjjjS8_jjjS8_jjjj: ; @_ZL13mul_mat_vec_qIL9ggml_type39ELi6ELb0ELb0EEvPKvS2_PKi31ggml_cuda_mm_fusion_args_devicePfj15HIP_vector_typeIjLj3EEjjjS8_jjjS8_jjjj
; %bb.0:
	s_clause 0x5
	s_load_dwordx4 s[16:19], s[4:5], 0x80
	s_load_dword s9, s[4:5], 0x40
	s_load_dwordx4 s[0:3], s[4:5], 0x50
	s_load_dword s24, s[4:5], 0x60
	;; [unrolled: 2-line block ×3, first 2 shown]
	v_lshl_or_b32 v2, v1, 5, v0
	v_mov_b32_e32 v4, 0
	v_mov_b32_e32 v5, 0
	;; [unrolled: 1-line block ×4, first 2 shown]
	v_lshrrev_b16 v3, 1, v2
	v_mov_b32_e32 v8, 0
	v_mov_b32_e32 v10, 0
	v_and_b32_e32 v9, 0xffff, v3
	s_waitcnt lgkmcnt(0)
	s_lshr_b32 s19, s9, 5
	s_mov_b32 s9, exec_lo
	v_cmpx_gt_u32_e64 s19, v9
	s_cbranch_execz .LBB81_4
; %bb.1:
	s_load_dwordx4 s[20:23], s[4:5], 0x0
	s_mul_i32 s10, s17, s8
	s_mul_i32 s11, s13, s7
	s_mul_hi_u32 s13, s15, s8
	v_lshlrev_b32_e32 v3, 1, v0
	s_mul_hi_u32 s15, s10, 36
	s_mul_i32 s10, s10, 36
	v_lshrrev_b32_e32 v2, 1, v2
	s_mul_hi_u32 s17, s11, 36
	s_mul_i32 s11, s11, 36
	s_mul_hi_u32 s3, s3, s7
	v_and_b32_e32 v5, 1, v0
	v_and_b32_e32 v6, 2, v3
	s_mul_i32 s0, s0, s6
	v_mov_b32_e32 v4, 0
	v_mov_b32_e32 v7, 0
	v_lshlrev_b32_e32 v11, 3, v5
	v_lshlrev_b32_e32 v12, 2, v6
	;; [unrolled: 1-line block ×3, first 2 shown]
	v_mov_b32_e32 v5, 0
	s_waitcnt lgkmcnt(0)
	s_add_u32 s10, s22, s10
	s_addc_u32 s15, s23, s15
	s_add_u32 s10, s10, s11
	s_addc_u32 s11, s15, s17
	s_add_i32 s15, s7, s3
	s_add_i32 s13, s8, s13
	s_lshr_b32 s15, s15, s24
	v_mad_u64_u32 v[2:3], null, v2, 36, s[10:11]
	s_lshr_b32 s13, s13, s25
	s_mul_i32 s12, s15, s12
	v_mov_b32_e32 v6, 0
	v_mov_b32_e32 v8, 0
	;; [unrolled: 1-line block ×3, first 2 shown]
	s_mul_i32 s13, s13, s16
	s_add_i32 s12, s12, s0
	s_lshl_b32 s3, s1, 1
	s_add_i32 s12, s13, s12
	s_mul_i32 s13, s1, 3
	s_lshl_b32 s15, s1, 2
	s_mul_i32 s17, s1, 5
	s_mov_b32 s16, 0
	s_mov_b32 s22, 0xc080604
	;; [unrolled: 1-line block ×4, first 2 shown]
.LBB81_2:                               ; =>This Inner Loop Header: Depth=1
	v_add_nc_u32_e32 v16, s12, v9
	v_add_nc_u32_e32 v20, s1, v9
	;; [unrolled: 1-line block ×5, first 2 shown]
	v_mad_i64_i32 v[16:17], null, v16, 17, s[20:21]
	v_mad_u64_u32 v[20:21], null, v20, 36, s[10:11]
	v_mad_u64_u32 v[22:23], null, v22, 36, s[10:11]
	v_add_nc_u32_e32 v28, s17, v9
	v_add_co_u32 v14, vcc_lo, v2, v11
	v_mad_u64_u32 v[24:25], null, v24, 36, s[10:11]
	v_add_co_ci_u32_e64 v15, null, 0, v3, vcc_lo
	v_mad_u64_u32 v[26:27], null, v26, 36, s[10:11]
	v_add_co_u32 v30, vcc_lo, v16, v12
	v_mad_u64_u32 v[28:29], null, v28, 36, s[10:11]
	v_add_co_ci_u32_e64 v31, null, 0, v17, vcc_lo
	v_add_co_u32 v32, vcc_lo, v20, v13
	v_add_co_ci_u32_e64 v33, null, 0, v21, vcc_lo
	v_add_co_u32 v34, vcc_lo, v22, v13
	;; [unrolled: 2-line block ×5, first 2 shown]
	v_add_co_ci_u32_e64 v41, null, 0, v29, vcc_lo
	s_clause 0x2
	global_load_dword v42, v[2:3], off
	global_load_dwordx2 v[18:19], v[14:15], off offset:4
	global_load_dwordx2 v[14:15], v[14:15], off offset:20
	s_clause 0x1
	global_load_dwordx2 v[30:31], v[30:31], off offset:1
	global_load_ubyte v43, v[16:17], off
	s_clause 0xe
	global_load_dwordx2 v[16:17], v[32:33], off offset:4
	global_load_dwordx2 v[32:33], v[32:33], off offset:20
	global_load_dword v44, v[22:23], off
	global_load_dword v45, v[20:21], off
	global_load_dwordx2 v[20:21], v[34:35], off offset:4
	global_load_dwordx2 v[22:23], v[34:35], off offset:20
	;; [unrolled: 1-line block ×3, first 2 shown]
	global_load_dword v46, v[24:25], off
	global_load_dwordx2 v[24:25], v[36:37], off offset:20
	global_load_dwordx2 v[36:37], v[38:39], off offset:4
	;; [unrolled: 1-line block ×3, first 2 shown]
	global_load_dword v47, v[26:27], off
	global_load_dwordx2 v[26:27], v[40:41], off offset:4
	global_load_dwordx2 v[40:41], v[40:41], off offset:20
	global_load_dword v28, v[28:29], off
	v_mov_b32_e32 v29, 0
	v_mov_b32_e32 v48, 0
	;; [unrolled: 1-line block ×6, first 2 shown]
	v_add_nc_u32_e32 v9, 16, v9
	v_add_co_u32 v2, vcc_lo, 0x240, v2
	v_add_co_ci_u32_e64 v3, null, 0, v3, vcc_lo
	v_cmp_le_u32_e32 vcc_lo, s19, v9
	s_or_b32 s16, vcc_lo, s16
	s_waitcnt vmcnt(16)
	v_ashrrev_i32_e32 v53, 4, v30
	v_and_b32_e32 v54, 0x7070707, v30
	v_lshrrev_b32_e32 v30, 1, v30
	v_ashrrev_i32_e32 v55, 4, v31
	v_and_b32_e32 v56, 0x7070707, v31
	v_and_b32_e32 v59, 0x7070707, v53
	v_perm_b32 v58, s22, 0x3020100, v54
	v_perm_b32 v54, s23, 0xfdfeff00, v54
	v_and_or_b32 v30, v30, s24, 0x3020100
	v_lshrrev_b32_e32 v53, 1, v53
	v_lshrrev_b32_e32 v31, 1, v31
	s_waitcnt vmcnt(15)
	v_lshlrev_b32_e32 v57, 23, v43
	v_cmp_ne_u32_e64 s0, 0, v43
	v_perm_b32 v43, s22, 0x3020100, v59
	v_perm_b32 v59, s23, 0xfdfeff00, v59
	;; [unrolled: 1-line block ×3, first 2 shown]
	v_and_or_b32 v53, v53, s24, 0x3020100
	v_perm_b32 v60, s22, 0x3020100, v56
	v_and_b32_e32 v61, 0x7070707, v55
	v_perm_b32 v56, s23, 0xfdfeff00, v56
	v_and_or_b32 v31, v31, s24, 0x3020100
	v_lshrrev_b32_e32 v55, 1, v55
	v_perm_b32 v43, v59, v43, v53
	v_dot4c_i32_i8 v29, v30, v18
	s_waitcnt vmcnt(14)
	v_dot4c_i32_i8 v48, v30, v16
	s_waitcnt vmcnt(10)
	v_dot4c_i32_i8 v49, v30, v20
	s_waitcnt vmcnt(8)
	v_dot4c_i32_i8 v50, v30, v34
	s_waitcnt vmcnt(5)
	v_dot4c_i32_i8 v51, v30, v36
	s_waitcnt vmcnt(2)
	v_dot4c_i32_i8 v52, v30, v26
	v_perm_b32 v54, s22, 0x3020100, v61
	v_perm_b32 v58, s23, 0xfdfeff00, v61
	v_and_or_b32 v55, v55, s24, 0x3020100
	v_perm_b32 v31, v56, v60, v31
	v_dot4c_i32_i8 v29, v43, v14
	v_dot4c_i32_i8 v48, v43, v32
	;; [unrolled: 1-line block ×5, first 2 shown]
	s_waitcnt vmcnt(1)
	v_dot4c_i32_i8 v52, v43, v40
	v_mul_f32_e32 v57, 0.5, v57
	v_perm_b32 v53, v58, v54, v55
	v_dot4c_i32_i8 v29, v31, v19
	v_dot4c_i32_i8 v48, v31, v17
	;; [unrolled: 1-line block ×6, first 2 shown]
	v_cvt_f32_f16_e32 v42, v42
	v_cvt_f32_f16_e32 v45, v45
	;; [unrolled: 1-line block ×5, first 2 shown]
	s_waitcnt vmcnt(0)
	v_cvt_f32_f16_e32 v28, v28
	v_cndmask_b32_e64 v57, 0x200000, v57, s0
	v_dot4c_i32_i8 v29, v53, v15
	v_dot4c_i32_i8 v48, v53, v33
	;; [unrolled: 1-line block ×6, first 2 shown]
	v_mul_f32_e32 v18, v57, v42
	v_mul_f32_e32 v16, v57, v45
	;; [unrolled: 1-line block ×6, first 2 shown]
	v_cvt_f32_i32_e32 v14, v29
	v_cvt_f32_i32_e32 v15, v48
	;; [unrolled: 1-line block ×6, first 2 shown]
	v_fmac_f32_e32 v10, v18, v14
	v_fmac_f32_e32 v8, v16, v15
	;; [unrolled: 1-line block ×6, first 2 shown]
	s_andn2_b32 exec_lo, exec_lo, s16
	s_cbranch_execnz .LBB81_2
; %bb.3:
	s_or_b32 exec_lo, exec_lo, s16
.LBB81_4:
	s_or_b32 exec_lo, exec_lo, s9
	s_mov_b32 s1, 0
	; wave barrier
	buffer_gl0_inv
	s_mov_b32 s0, exec_lo
	v_cmpx_eq_u32_e32 0, v1
	s_cbranch_execz .LBB81_17
; %bb.5:
	v_mbcnt_lo_u32_b32 v11, -1, 0
	s_load_dwordx2 s[4:5], s[4:5], 0x38
	s_mul_i32 s0, s14, s7
	s_mul_i32 s3, s18, s8
	s_add_i32 s0, s0, s6
	v_xor_b32_e32 v1, 16, v11
	v_xor_b32_e32 v2, 8, v11
	s_add_i32 s0, s0, s3
	s_lshl_b64 s[0:1], s[0:1], 2
	v_cmp_gt_i32_e32 vcc_lo, 32, v1
	v_cndmask_b32_e32 v1, v11, v1, vcc_lo
	v_cmp_gt_i32_e32 vcc_lo, 32, v2
	v_lshlrev_b32_e32 v1, 2, v1
	v_cndmask_b32_e32 v2, v11, v2, vcc_lo
	s_waitcnt lgkmcnt(0)
	s_add_u32 s0, s4, s0
	s_addc_u32 s1, s5, s1
	ds_bpermute_b32 v3, v1, v10
	v_lshlrev_b32_e32 v2, 2, v2
	s_waitcnt lgkmcnt(0)
	v_add_f32_e32 v9, v10, v3
	v_xor_b32_e32 v3, 4, v11
	ds_bpermute_b32 v10, v2, v9
	v_cmp_gt_i32_e32 vcc_lo, 32, v3
	v_cndmask_b32_e32 v3, v11, v3, vcc_lo
	v_lshlrev_b32_e32 v3, 2, v3
	s_waitcnt lgkmcnt(0)
	v_add_f32_e32 v10, v9, v10
	v_xor_b32_e32 v9, 2, v11
	ds_bpermute_b32 v12, v3, v10
	v_cmp_gt_i32_e32 vcc_lo, 32, v9
	v_cndmask_b32_e32 v9, v11, v9, vcc_lo
	;; [unrolled: 7-line block ×3, first 2 shown]
	v_cmp_eq_u32_e32 vcc_lo, 0, v0
	v_lshlrev_b32_e32 v10, 2, v10
	s_waitcnt lgkmcnt(0)
	v_add_f32_e32 v11, v12, v13
	ds_bpermute_b32 v12, v10, v11
	s_and_saveexec_b32 s3, vcc_lo
	s_cbranch_execz .LBB81_7
; %bb.6:
	s_waitcnt lgkmcnt(0)
	v_add_f32_e32 v0, v11, v12
	v_mov_b32_e32 v11, 0
	global_store_dword v11, v0, s[0:1]
.LBB81_7:
	s_or_b32 exec_lo, exec_lo, s3
	ds_bpermute_b32 v0, v1, v8
	s_waitcnt lgkmcnt(0)
	v_add_f32_e32 v0, v8, v0
	ds_bpermute_b32 v8, v2, v0
	s_waitcnt lgkmcnt(0)
	v_add_f32_e32 v0, v0, v8
	ds_bpermute_b32 v8, v3, v0
	s_waitcnt lgkmcnt(0)
	v_add_f32_e32 v0, v0, v8
	ds_bpermute_b32 v8, v9, v0
	s_waitcnt lgkmcnt(0)
	v_add_f32_e32 v0, v0, v8
	ds_bpermute_b32 v8, v10, v0
	s_and_saveexec_b32 s4, vcc_lo
	s_cbranch_execz .LBB81_9
; %bb.8:
	s_mov_b32 s3, 0
	s_waitcnt lgkmcnt(0)
	v_add_f32_e32 v0, v0, v8
	s_lshl_b64 s[6:7], s[2:3], 2
	v_mov_b32_e32 v8, 0
	s_add_u32 s6, s0, s6
	s_addc_u32 s7, s1, s7
	global_store_dword v8, v0, s[6:7]
.LBB81_9:
	s_or_b32 exec_lo, exec_lo, s4
	ds_bpermute_b32 v0, v1, v7
	s_waitcnt lgkmcnt(0)
	v_add_f32_e32 v0, v7, v0
	ds_bpermute_b32 v7, v2, v0
	s_waitcnt lgkmcnt(0)
	v_add_f32_e32 v0, v0, v7
	;; [unrolled: 3-line block ×4, first 2 shown]
	ds_bpermute_b32 v7, v10, v0
	s_and_saveexec_b32 s3, vcc_lo
	s_cbranch_execz .LBB81_11
; %bb.10:
	s_lshl_b32 s4, s2, 1
	s_mov_b32 s5, 0
	s_waitcnt lgkmcnt(0)
	v_add_f32_e32 v0, v0, v7
	s_lshl_b64 s[4:5], s[4:5], 2
	v_mov_b32_e32 v7, 0
	s_add_u32 s4, s0, s4
	s_addc_u32 s5, s1, s5
	global_store_dword v7, v0, s[4:5]
.LBB81_11:
	s_or_b32 exec_lo, exec_lo, s3
	ds_bpermute_b32 v0, v1, v6
	s_waitcnt lgkmcnt(0)
	v_add_f32_e32 v0, v6, v0
	ds_bpermute_b32 v6, v2, v0
	s_waitcnt lgkmcnt(0)
	v_add_f32_e32 v0, v0, v6
	;; [unrolled: 3-line block ×4, first 2 shown]
	ds_bpermute_b32 v6, v10, v0
	s_and_saveexec_b32 s3, vcc_lo
	s_cbranch_execz .LBB81_13
; %bb.12:
	s_mul_i32 s4, s2, 3
	s_mov_b32 s5, 0
	s_waitcnt lgkmcnt(0)
	v_add_f32_e32 v0, v0, v6
	s_lshl_b64 s[4:5], s[4:5], 2
	v_mov_b32_e32 v6, 0
	s_add_u32 s4, s0, s4
	s_addc_u32 s5, s1, s5
	global_store_dword v6, v0, s[4:5]
.LBB81_13:
	s_or_b32 exec_lo, exec_lo, s3
	ds_bpermute_b32 v0, v1, v5
	s_waitcnt lgkmcnt(0)
	v_add_f32_e32 v0, v5, v0
	ds_bpermute_b32 v5, v2, v0
	s_waitcnt lgkmcnt(0)
	v_add_f32_e32 v0, v0, v5
	;; [unrolled: 3-line block ×4, first 2 shown]
	ds_bpermute_b32 v5, v10, v0
	s_and_saveexec_b32 s3, vcc_lo
	s_cbranch_execz .LBB81_15
; %bb.14:
	s_lshl_b32 s4, s2, 2
	s_mov_b32 s5, 0
	s_waitcnt lgkmcnt(0)
	v_add_f32_e32 v0, v0, v5
	s_lshl_b64 s[4:5], s[4:5], 2
	v_mov_b32_e32 v5, 0
	s_add_u32 s4, s0, s4
	s_addc_u32 s5, s1, s5
	global_store_dword v5, v0, s[4:5]
.LBB81_15:
	s_or_b32 exec_lo, exec_lo, s3
	ds_bpermute_b32 v0, v1, v4
	s_waitcnt lgkmcnt(0)
	v_add_f32_e32 v0, v4, v0
	ds_bpermute_b32 v1, v2, v0
	s_waitcnt lgkmcnt(0)
	v_add_f32_e32 v0, v0, v1
	;; [unrolled: 3-line block ×4, first 2 shown]
	ds_bpermute_b32 v1, v10, v0
	s_and_b32 exec_lo, exec_lo, vcc_lo
	s_cbranch_execz .LBB81_17
; %bb.16:
	s_mul_i32 s2, s2, 5
	s_mov_b32 s3, 0
	s_waitcnt lgkmcnt(0)
	v_add_f32_e32 v0, v0, v1
	s_lshl_b64 s[2:3], s[2:3], 2
	v_mov_b32_e32 v1, 0
	s_add_u32 s0, s0, s2
	s_addc_u32 s1, s1, s3
	global_store_dword v1, v0, s[0:1]
.LBB81_17:
	s_endpgm
	.section	.rodata,"a",@progbits
	.p2align	6, 0x0
	.amdhsa_kernel _ZL13mul_mat_vec_qIL9ggml_type39ELi6ELb0ELb0EEvPKvS2_PKi31ggml_cuda_mm_fusion_args_devicePfj15HIP_vector_typeIjLj3EEjjjS8_jjjS8_jjjj
		.amdhsa_group_segment_fixed_size 0
		.amdhsa_private_segment_fixed_size 0
		.amdhsa_kernarg_size 144
		.amdhsa_user_sgpr_count 6
		.amdhsa_user_sgpr_private_segment_buffer 1
		.amdhsa_user_sgpr_dispatch_ptr 0
		.amdhsa_user_sgpr_queue_ptr 0
		.amdhsa_user_sgpr_kernarg_segment_ptr 1
		.amdhsa_user_sgpr_dispatch_id 0
		.amdhsa_user_sgpr_flat_scratch_init 0
		.amdhsa_user_sgpr_private_segment_size 0
		.amdhsa_wavefront_size32 1
		.amdhsa_uses_dynamic_stack 0
		.amdhsa_system_sgpr_private_segment_wavefront_offset 0
		.amdhsa_system_sgpr_workgroup_id_x 1
		.amdhsa_system_sgpr_workgroup_id_y 1
		.amdhsa_system_sgpr_workgroup_id_z 1
		.amdhsa_system_sgpr_workgroup_info 0
		.amdhsa_system_vgpr_workitem_id 1
		.amdhsa_next_free_vgpr 62
		.amdhsa_next_free_sgpr 26
		.amdhsa_reserve_vcc 1
		.amdhsa_reserve_flat_scratch 0
		.amdhsa_float_round_mode_32 0
		.amdhsa_float_round_mode_16_64 0
		.amdhsa_float_denorm_mode_32 3
		.amdhsa_float_denorm_mode_16_64 3
		.amdhsa_dx10_clamp 1
		.amdhsa_ieee_mode 1
		.amdhsa_fp16_overflow 0
		.amdhsa_workgroup_processor_mode 1
		.amdhsa_memory_ordered 1
		.amdhsa_forward_progress 1
		.amdhsa_shared_vgpr_count 0
		.amdhsa_exception_fp_ieee_invalid_op 0
		.amdhsa_exception_fp_denorm_src 0
		.amdhsa_exception_fp_ieee_div_zero 0
		.amdhsa_exception_fp_ieee_overflow 0
		.amdhsa_exception_fp_ieee_underflow 0
		.amdhsa_exception_fp_ieee_inexact 0
		.amdhsa_exception_int_div_zero 0
	.end_amdhsa_kernel
	.section	.text._ZL13mul_mat_vec_qIL9ggml_type39ELi6ELb0ELb0EEvPKvS2_PKi31ggml_cuda_mm_fusion_args_devicePfj15HIP_vector_typeIjLj3EEjjjS8_jjjS8_jjjj,"axG",@progbits,_ZL13mul_mat_vec_qIL9ggml_type39ELi6ELb0ELb0EEvPKvS2_PKi31ggml_cuda_mm_fusion_args_devicePfj15HIP_vector_typeIjLj3EEjjjS8_jjjS8_jjjj,comdat
.Lfunc_end81:
	.size	_ZL13mul_mat_vec_qIL9ggml_type39ELi6ELb0ELb0EEvPKvS2_PKi31ggml_cuda_mm_fusion_args_devicePfj15HIP_vector_typeIjLj3EEjjjS8_jjjS8_jjjj, .Lfunc_end81-_ZL13mul_mat_vec_qIL9ggml_type39ELi6ELb0ELb0EEvPKvS2_PKi31ggml_cuda_mm_fusion_args_devicePfj15HIP_vector_typeIjLj3EEjjjS8_jjjS8_jjjj
                                        ; -- End function
	.set _ZL13mul_mat_vec_qIL9ggml_type39ELi6ELb0ELb0EEvPKvS2_PKi31ggml_cuda_mm_fusion_args_devicePfj15HIP_vector_typeIjLj3EEjjjS8_jjjS8_jjjj.num_vgpr, 62
	.set _ZL13mul_mat_vec_qIL9ggml_type39ELi6ELb0ELb0EEvPKvS2_PKi31ggml_cuda_mm_fusion_args_devicePfj15HIP_vector_typeIjLj3EEjjjS8_jjjS8_jjjj.num_agpr, 0
	.set _ZL13mul_mat_vec_qIL9ggml_type39ELi6ELb0ELb0EEvPKvS2_PKi31ggml_cuda_mm_fusion_args_devicePfj15HIP_vector_typeIjLj3EEjjjS8_jjjS8_jjjj.numbered_sgpr, 26
	.set _ZL13mul_mat_vec_qIL9ggml_type39ELi6ELb0ELb0EEvPKvS2_PKi31ggml_cuda_mm_fusion_args_devicePfj15HIP_vector_typeIjLj3EEjjjS8_jjjS8_jjjj.num_named_barrier, 0
	.set _ZL13mul_mat_vec_qIL9ggml_type39ELi6ELb0ELb0EEvPKvS2_PKi31ggml_cuda_mm_fusion_args_devicePfj15HIP_vector_typeIjLj3EEjjjS8_jjjS8_jjjj.private_seg_size, 0
	.set _ZL13mul_mat_vec_qIL9ggml_type39ELi6ELb0ELb0EEvPKvS2_PKi31ggml_cuda_mm_fusion_args_devicePfj15HIP_vector_typeIjLj3EEjjjS8_jjjS8_jjjj.uses_vcc, 1
	.set _ZL13mul_mat_vec_qIL9ggml_type39ELi6ELb0ELb0EEvPKvS2_PKi31ggml_cuda_mm_fusion_args_devicePfj15HIP_vector_typeIjLj3EEjjjS8_jjjS8_jjjj.uses_flat_scratch, 0
	.set _ZL13mul_mat_vec_qIL9ggml_type39ELi6ELb0ELb0EEvPKvS2_PKi31ggml_cuda_mm_fusion_args_devicePfj15HIP_vector_typeIjLj3EEjjjS8_jjjS8_jjjj.has_dyn_sized_stack, 0
	.set _ZL13mul_mat_vec_qIL9ggml_type39ELi6ELb0ELb0EEvPKvS2_PKi31ggml_cuda_mm_fusion_args_devicePfj15HIP_vector_typeIjLj3EEjjjS8_jjjS8_jjjj.has_recursion, 0
	.set _ZL13mul_mat_vec_qIL9ggml_type39ELi6ELb0ELb0EEvPKvS2_PKi31ggml_cuda_mm_fusion_args_devicePfj15HIP_vector_typeIjLj3EEjjjS8_jjjS8_jjjj.has_indirect_call, 0
	.section	.AMDGPU.csdata,"",@progbits
; Kernel info:
; codeLenInByte = 2116
; TotalNumSgprs: 28
; NumVgprs: 62
; ScratchSize: 0
; MemoryBound: 0
; FloatMode: 240
; IeeeMode: 1
; LDSByteSize: 0 bytes/workgroup (compile time only)
; SGPRBlocks: 0
; VGPRBlocks: 7
; NumSGPRsForWavesPerEU: 28
; NumVGPRsForWavesPerEU: 62
; Occupancy: 16
; WaveLimiterHint : 0
; COMPUTE_PGM_RSRC2:SCRATCH_EN: 0
; COMPUTE_PGM_RSRC2:USER_SGPR: 6
; COMPUTE_PGM_RSRC2:TRAP_HANDLER: 0
; COMPUTE_PGM_RSRC2:TGID_X_EN: 1
; COMPUTE_PGM_RSRC2:TGID_Y_EN: 1
; COMPUTE_PGM_RSRC2:TGID_Z_EN: 1
; COMPUTE_PGM_RSRC2:TIDIG_COMP_CNT: 1
	.section	.text._ZL13mul_mat_vec_qIL9ggml_type39ELi7ELb0ELb0EEvPKvS2_PKi31ggml_cuda_mm_fusion_args_devicePfj15HIP_vector_typeIjLj3EEjjjS8_jjjS8_jjjj,"axG",@progbits,_ZL13mul_mat_vec_qIL9ggml_type39ELi7ELb0ELb0EEvPKvS2_PKi31ggml_cuda_mm_fusion_args_devicePfj15HIP_vector_typeIjLj3EEjjjS8_jjjS8_jjjj,comdat
	.globl	_ZL13mul_mat_vec_qIL9ggml_type39ELi7ELb0ELb0EEvPKvS2_PKi31ggml_cuda_mm_fusion_args_devicePfj15HIP_vector_typeIjLj3EEjjjS8_jjjS8_jjjj ; -- Begin function _ZL13mul_mat_vec_qIL9ggml_type39ELi7ELb0ELb0EEvPKvS2_PKi31ggml_cuda_mm_fusion_args_devicePfj15HIP_vector_typeIjLj3EEjjjS8_jjjS8_jjjj
	.p2align	8
	.type	_ZL13mul_mat_vec_qIL9ggml_type39ELi7ELb0ELb0EEvPKvS2_PKi31ggml_cuda_mm_fusion_args_devicePfj15HIP_vector_typeIjLj3EEjjjS8_jjjS8_jjjj,@function
_ZL13mul_mat_vec_qIL9ggml_type39ELi7ELb0ELb0EEvPKvS2_PKi31ggml_cuda_mm_fusion_args_devicePfj15HIP_vector_typeIjLj3EEjjjS8_jjjS8_jjjj: ; @_ZL13mul_mat_vec_qIL9ggml_type39ELi7ELb0ELb0EEvPKvS2_PKi31ggml_cuda_mm_fusion_args_devicePfj15HIP_vector_typeIjLj3EEjjjS8_jjjS8_jjjj
; %bb.0:
	s_clause 0x5
	s_load_dwordx4 s[16:19], s[4:5], 0x80
	s_load_dword s9, s[4:5], 0x40
	s_load_dwordx4 s[0:3], s[4:5], 0x50
	s_load_dword s24, s[4:5], 0x60
	;; [unrolled: 2-line block ×3, first 2 shown]
	v_lshl_or_b32 v2, v1, 5, v0
	v_mov_b32_e32 v4, 0
	v_mov_b32_e32 v5, 0
	;; [unrolled: 1-line block ×4, first 2 shown]
	v_lshrrev_b16 v3, 1, v2
	v_mov_b32_e32 v8, 0
	v_mov_b32_e32 v9, 0
	;; [unrolled: 1-line block ×3, first 2 shown]
	v_and_b32_e32 v10, 0xffff, v3
	s_waitcnt lgkmcnt(0)
	s_lshr_b32 s19, s9, 5
	s_mov_b32 s9, exec_lo
	v_cmpx_gt_u32_e64 s19, v10
	s_cbranch_execz .LBB82_4
; %bb.1:
	s_load_dwordx4 s[20:23], s[4:5], 0x0
	s_mul_i32 s10, s17, s8
	s_mul_i32 s11, s13, s7
	s_mul_hi_u32 s13, s15, s8
	v_lshlrev_b32_e32 v3, 1, v0
	s_mul_hi_u32 s15, s10, 36
	s_mul_i32 s10, s10, 36
	v_lshrrev_b32_e32 v2, 1, v2
	s_mul_hi_u32 s17, s11, 36
	s_mul_i32 s11, s11, 36
	s_mul_hi_u32 s3, s3, s7
	v_and_b32_e32 v5, 1, v0
	v_and_b32_e32 v6, 2, v3
	s_mul_i32 s0, s0, s6
	v_mov_b32_e32 v4, 0
	v_mov_b32_e32 v7, 0
	v_lshlrev_b32_e32 v12, 3, v5
	v_lshlrev_b32_e32 v13, 2, v6
	;; [unrolled: 1-line block ×3, first 2 shown]
	v_mov_b32_e32 v5, 0
	s_waitcnt lgkmcnt(0)
	s_add_u32 s10, s22, s10
	s_addc_u32 s15, s23, s15
	s_add_u32 s10, s10, s11
	s_addc_u32 s11, s15, s17
	s_add_i32 s15, s7, s3
	s_add_i32 s13, s8, s13
	s_lshr_b32 s15, s15, s24
	v_mad_u64_u32 v[2:3], null, v2, 36, s[10:11]
	s_lshr_b32 s13, s13, s25
	s_mul_i32 s12, s15, s12
	v_mov_b32_e32 v6, 0
	v_mov_b32_e32 v8, 0
	v_mov_b32_e32 v9, 0
	v_mov_b32_e32 v11, 0
	s_mul_i32 s13, s13, s16
	s_add_i32 s12, s12, s0
	s_lshl_b32 s3, s1, 1
	s_add_i32 s12, s13, s12
	s_mul_i32 s13, s1, 3
	s_lshl_b32 s15, s1, 2
	s_mul_i32 s16, s1, 5
	s_mul_i32 s22, s1, 6
	s_mov_b32 s17, 0
	s_mov_b32 s23, 0xc080604
	;; [unrolled: 1-line block ×4, first 2 shown]
.LBB82_2:                               ; =>This Inner Loop Header: Depth=1
	v_add_nc_u32_e32 v17, s12, v10
	v_add_nc_u32_e32 v21, s1, v10
	;; [unrolled: 1-line block ×5, first 2 shown]
	v_mad_i64_i32 v[17:18], null, v17, 17, s[20:21]
	v_mad_u64_u32 v[21:22], null, v21, 36, s[10:11]
	v_mad_u64_u32 v[23:24], null, v23, 36, s[10:11]
	v_add_nc_u32_e32 v29, s16, v10
	v_add_co_u32 v15, vcc_lo, v2, v12
	v_mad_u64_u32 v[25:26], null, v25, 36, s[10:11]
	v_add_nc_u32_e32 v31, s22, v10
	v_add_co_ci_u32_e64 v16, null, 0, v3, vcc_lo
	v_mad_u64_u32 v[27:28], null, v27, 36, s[10:11]
	v_add_co_u32 v33, vcc_lo, v17, v13
	v_mad_u64_u32 v[29:30], null, v29, 36, s[10:11]
	v_add_co_ci_u32_e64 v34, null, 0, v18, vcc_lo
	v_add_co_u32 v35, vcc_lo, v21, v14
	v_mad_u64_u32 v[31:32], null, v31, 36, s[10:11]
	v_add_co_ci_u32_e64 v36, null, 0, v22, vcc_lo
	v_add_co_u32 v37, vcc_lo, v23, v14
	v_add_co_ci_u32_e64 v38, null, 0, v24, vcc_lo
	v_add_co_u32 v39, vcc_lo, v25, v14
	;; [unrolled: 2-line block ×5, first 2 shown]
	v_add_co_ci_u32_e64 v46, null, 0, v32, vcc_lo
	s_clause 0x2
	global_load_dword v49, v[2:3], off
	global_load_dwordx2 v[19:20], v[15:16], off offset:4
	global_load_dwordx2 v[15:16], v[15:16], off offset:20
	s_clause 0x1
	global_load_dwordx2 v[33:34], v[33:34], off offset:1
	global_load_ubyte v50, v[17:18], off
	s_clause 0x11
	global_load_dwordx2 v[17:18], v[35:36], off offset:4
	global_load_dwordx2 v[35:36], v[35:36], off offset:20
	global_load_dword v51, v[23:24], off
	global_load_dword v52, v[21:22], off
	global_load_dwordx2 v[21:22], v[37:38], off offset:4
	global_load_dwordx2 v[23:24], v[37:38], off offset:20
	global_load_dwordx2 v[37:38], v[39:40], off offset:4
	global_load_dword v53, v[25:26], off
	global_load_dwordx2 v[25:26], v[39:40], off offset:20
	global_load_dwordx2 v[39:40], v[41:42], off offset:4
	global_load_dwordx2 v[41:42], v[41:42], off offset:20
	;; [unrolled: 4-line block ×3, first 2 shown]
	global_load_dwordx2 v[43:44], v[43:44], off offset:20
	global_load_dword v31, v[31:32], off
	global_load_dword v29, v[29:30], off
	v_mov_b32_e32 v30, 0
	v_mov_b32_e32 v32, 0
	;; [unrolled: 1-line block ×5, first 2 shown]
	v_add_nc_u32_e32 v10, 16, v10
	v_add_co_u32 v2, s0, 0x240, v2
	v_add_co_ci_u32_e64 v3, null, 0, v3, s0
	v_cmp_le_u32_e64 s0, s19, v10
	s_or_b32 s17, s0, s17
	s_waitcnt vmcnt(19)
	v_and_b32_e32 v58, 0x7070707, v33
	v_lshrrev_b32_e32 v59, 1, v33
	v_and_b32_e32 v60, 0x7070707, v34
	v_ashrrev_i32_e32 v33, 4, v33
	s_waitcnt vmcnt(18)
	v_cmp_ne_u32_e32 vcc_lo, 0, v50
	v_perm_b32 v61, s23, 0x3020100, v58
	v_perm_b32 v58, s24, 0xfdfeff00, v58
	v_and_or_b32 v59, v59, s25, 0x3020100
	s_waitcnt vmcnt(14)
	v_cvt_f32_f16_e32 v52, v52
	v_cvt_f32_f16_e32 v51, v51
	s_waitcnt vmcnt(10)
	v_cvt_f32_f16_e32 v53, v53
	v_perm_b32 v58, v58, v61, v59
	v_lshrrev_b32_e32 v59, 1, v34
	v_perm_b32 v61, s23, 0x3020100, v60
	v_perm_b32 v60, s24, 0xfdfeff00, v60
	v_ashrrev_i32_e32 v34, 4, v34
	v_dot4c_i32_i8 v30, v58, v19
	v_and_or_b32 v59, v59, s25, 0x3020100
	v_dot4c_i32_i8 v32, v58, v17
	v_dot4c_i32_i8 v55, v58, v21
	v_dot4c_i32_i8 v56, v58, v37
	s_waitcnt vmcnt(8)
	v_dot4c_i32_i8 v57, v58, v39
	v_perm_b32 v59, v60, v61, v59
	v_and_b32_e32 v60, 0x7070707, v33
	v_lshrrev_b32_e32 v33, 1, v33
	v_cvt_f32_f16_e32 v49, v49
	s_waitcnt vmcnt(6)
	v_cvt_f32_f16_e32 v54, v54
	s_waitcnt vmcnt(0)
	v_cvt_f32_f16_e32 v29, v29
	v_perm_b32 v61, s23, 0x3020100, v60
	v_perm_b32 v60, s24, 0xfdfeff00, v60
	v_and_or_b32 v33, v33, s25, 0x3020100
	v_cvt_f32_f16_e32 v31, v31
	v_perm_b32 v33, v60, v61, v33
	v_and_b32_e32 v60, 0x7070707, v34
	v_lshrrev_b32_e32 v34, 1, v34
	v_dot4c_i32_i8 v30, v33, v15
	v_perm_b32 v61, s23, 0x3020100, v60
	v_perm_b32 v60, s24, 0xfdfeff00, v60
	v_and_or_b32 v34, v34, s25, 0x3020100
	v_dot4c_i32_i8 v32, v33, v35
	v_dot4c_i32_i8 v55, v33, v23
	;; [unrolled: 1-line block ×4, first 2 shown]
	v_perm_b32 v34, v60, v61, v34
	v_mov_b32_e32 v60, 0
	v_lshlrev_b32_e32 v61, 23, v50
	v_mov_b32_e32 v50, 0
	v_dot4c_i32_i8 v30, v59, v20
	v_dot4c_i32_i8 v32, v59, v18
	;; [unrolled: 1-line block ×3, first 2 shown]
	v_mul_f32_e32 v61, 0.5, v61
	v_dot4c_i32_i8 v50, v58, v27
	v_dot4c_i32_i8 v55, v59, v22
	;; [unrolled: 1-line block ×6, first 2 shown]
	v_cndmask_b32_e32 v61, 0x200000, v61, vcc_lo
	v_dot4c_i32_i8 v30, v34, v16
	v_dot4c_i32_i8 v60, v59, v48
	;; [unrolled: 1-line block ×9, first 2 shown]
	v_mul_f32_e32 v19, v61, v49
	v_mul_f32_e32 v17, v61, v52
	;; [unrolled: 1-line block ×7, first 2 shown]
	v_cvt_f32_i32_e32 v15, v30
	v_cvt_f32_i32_e32 v16, v32
	;; [unrolled: 1-line block ×7, first 2 shown]
	v_fmac_f32_e32 v11, v19, v15
	v_fmac_f32_e32 v9, v17, v16
	v_fmac_f32_e32 v8, v21, v18
	v_fmac_f32_e32 v7, v37, v20
	v_fmac_f32_e32 v6, v39, v22
	v_fmac_f32_e32 v5, v29, v23
	v_fmac_f32_e32 v4, v27, v24
	s_andn2_b32 exec_lo, exec_lo, s17
	s_cbranch_execnz .LBB82_2
; %bb.3:
	s_or_b32 exec_lo, exec_lo, s17
.LBB82_4:
	s_or_b32 exec_lo, exec_lo, s9
	s_mov_b32 s1, 0
	; wave barrier
	buffer_gl0_inv
	s_mov_b32 s0, exec_lo
	v_cmpx_eq_u32_e32 0, v1
	s_cbranch_execz .LBB82_19
; %bb.5:
	v_mbcnt_lo_u32_b32 v12, -1, 0
	s_load_dwordx2 s[4:5], s[4:5], 0x38
	s_mul_i32 s0, s14, s7
	s_mul_i32 s3, s18, s8
	s_add_i32 s0, s0, s6
	v_xor_b32_e32 v1, 16, v12
	v_xor_b32_e32 v2, 8, v12
	s_add_i32 s0, s0, s3
	s_lshl_b64 s[0:1], s[0:1], 2
	v_cmp_gt_i32_e32 vcc_lo, 32, v1
	v_cndmask_b32_e32 v1, v12, v1, vcc_lo
	v_cmp_gt_i32_e32 vcc_lo, 32, v2
	v_lshlrev_b32_e32 v1, 2, v1
	v_cndmask_b32_e32 v2, v12, v2, vcc_lo
	s_waitcnt lgkmcnt(0)
	s_add_u32 s0, s4, s0
	s_addc_u32 s1, s5, s1
	ds_bpermute_b32 v3, v1, v11
	v_lshlrev_b32_e32 v2, 2, v2
	s_waitcnt lgkmcnt(0)
	v_add_f32_e32 v10, v11, v3
	v_xor_b32_e32 v3, 4, v12
	ds_bpermute_b32 v11, v2, v10
	v_cmp_gt_i32_e32 vcc_lo, 32, v3
	v_cndmask_b32_e32 v3, v12, v3, vcc_lo
	v_lshlrev_b32_e32 v3, 2, v3
	s_waitcnt lgkmcnt(0)
	v_add_f32_e32 v11, v10, v11
	v_xor_b32_e32 v10, 2, v12
	ds_bpermute_b32 v13, v3, v11
	v_cmp_gt_i32_e32 vcc_lo, 32, v10
	v_cndmask_b32_e32 v10, v12, v10, vcc_lo
	;; [unrolled: 7-line block ×3, first 2 shown]
	v_cmp_eq_u32_e32 vcc_lo, 0, v0
	v_lshlrev_b32_e32 v11, 2, v11
	s_waitcnt lgkmcnt(0)
	v_add_f32_e32 v12, v13, v14
	ds_bpermute_b32 v13, v11, v12
	s_and_saveexec_b32 s3, vcc_lo
	s_cbranch_execz .LBB82_7
; %bb.6:
	s_waitcnt lgkmcnt(0)
	v_add_f32_e32 v0, v12, v13
	v_mov_b32_e32 v12, 0
	global_store_dword v12, v0, s[0:1]
.LBB82_7:
	s_or_b32 exec_lo, exec_lo, s3
	ds_bpermute_b32 v0, v1, v9
	s_waitcnt lgkmcnt(0)
	v_add_f32_e32 v0, v9, v0
	ds_bpermute_b32 v9, v2, v0
	s_waitcnt lgkmcnt(0)
	v_add_f32_e32 v0, v0, v9
	;; [unrolled: 3-line block ×4, first 2 shown]
	ds_bpermute_b32 v9, v11, v0
	s_and_saveexec_b32 s4, vcc_lo
	s_cbranch_execz .LBB82_9
; %bb.8:
	s_mov_b32 s3, 0
	s_waitcnt lgkmcnt(0)
	v_add_f32_e32 v0, v0, v9
	s_lshl_b64 s[6:7], s[2:3], 2
	v_mov_b32_e32 v9, 0
	s_add_u32 s6, s0, s6
	s_addc_u32 s7, s1, s7
	global_store_dword v9, v0, s[6:7]
.LBB82_9:
	s_or_b32 exec_lo, exec_lo, s4
	ds_bpermute_b32 v0, v1, v8
	s_waitcnt lgkmcnt(0)
	v_add_f32_e32 v0, v8, v0
	ds_bpermute_b32 v8, v2, v0
	s_waitcnt lgkmcnt(0)
	v_add_f32_e32 v0, v0, v8
	;; [unrolled: 3-line block ×4, first 2 shown]
	ds_bpermute_b32 v8, v11, v0
	s_and_saveexec_b32 s3, vcc_lo
	s_cbranch_execz .LBB82_11
; %bb.10:
	s_lshl_b32 s4, s2, 1
	s_mov_b32 s5, 0
	s_waitcnt lgkmcnt(0)
	v_add_f32_e32 v0, v0, v8
	s_lshl_b64 s[4:5], s[4:5], 2
	v_mov_b32_e32 v8, 0
	s_add_u32 s4, s0, s4
	s_addc_u32 s5, s1, s5
	global_store_dword v8, v0, s[4:5]
.LBB82_11:
	s_or_b32 exec_lo, exec_lo, s3
	ds_bpermute_b32 v0, v1, v7
	s_waitcnt lgkmcnt(0)
	v_add_f32_e32 v0, v7, v0
	ds_bpermute_b32 v7, v2, v0
	s_waitcnt lgkmcnt(0)
	v_add_f32_e32 v0, v0, v7
	;; [unrolled: 3-line block ×4, first 2 shown]
	ds_bpermute_b32 v7, v11, v0
	s_and_saveexec_b32 s3, vcc_lo
	s_cbranch_execz .LBB82_13
; %bb.12:
	s_mul_i32 s4, s2, 3
	s_mov_b32 s5, 0
	s_waitcnt lgkmcnt(0)
	v_add_f32_e32 v0, v0, v7
	s_lshl_b64 s[4:5], s[4:5], 2
	v_mov_b32_e32 v7, 0
	s_add_u32 s4, s0, s4
	s_addc_u32 s5, s1, s5
	global_store_dword v7, v0, s[4:5]
.LBB82_13:
	s_or_b32 exec_lo, exec_lo, s3
	ds_bpermute_b32 v0, v1, v6
	s_waitcnt lgkmcnt(0)
	v_add_f32_e32 v0, v6, v0
	ds_bpermute_b32 v6, v2, v0
	s_waitcnt lgkmcnt(0)
	v_add_f32_e32 v0, v0, v6
	;; [unrolled: 3-line block ×4, first 2 shown]
	ds_bpermute_b32 v6, v11, v0
	s_and_saveexec_b32 s3, vcc_lo
	s_cbranch_execz .LBB82_15
; %bb.14:
	s_lshl_b32 s4, s2, 2
	s_mov_b32 s5, 0
	s_waitcnt lgkmcnt(0)
	v_add_f32_e32 v0, v0, v6
	s_lshl_b64 s[4:5], s[4:5], 2
	v_mov_b32_e32 v6, 0
	s_add_u32 s4, s0, s4
	s_addc_u32 s5, s1, s5
	global_store_dword v6, v0, s[4:5]
.LBB82_15:
	s_or_b32 exec_lo, exec_lo, s3
	ds_bpermute_b32 v0, v1, v5
	s_waitcnt lgkmcnt(0)
	v_add_f32_e32 v0, v5, v0
	ds_bpermute_b32 v5, v2, v0
	s_waitcnt lgkmcnt(0)
	v_add_f32_e32 v0, v0, v5
	;; [unrolled: 3-line block ×4, first 2 shown]
	ds_bpermute_b32 v5, v11, v0
	s_and_saveexec_b32 s3, vcc_lo
	s_cbranch_execz .LBB82_17
; %bb.16:
	s_mul_i32 s4, s2, 5
	s_mov_b32 s5, 0
	s_waitcnt lgkmcnt(0)
	v_add_f32_e32 v0, v0, v5
	s_lshl_b64 s[4:5], s[4:5], 2
	v_mov_b32_e32 v5, 0
	s_add_u32 s4, s0, s4
	s_addc_u32 s5, s1, s5
	global_store_dword v5, v0, s[4:5]
.LBB82_17:
	s_or_b32 exec_lo, exec_lo, s3
	ds_bpermute_b32 v0, v1, v4
	s_waitcnt lgkmcnt(0)
	v_add_f32_e32 v0, v4, v0
	ds_bpermute_b32 v1, v2, v0
	s_waitcnt lgkmcnt(0)
	v_add_f32_e32 v0, v0, v1
	;; [unrolled: 3-line block ×4, first 2 shown]
	ds_bpermute_b32 v1, v11, v0
	s_and_b32 exec_lo, exec_lo, vcc_lo
	s_cbranch_execz .LBB82_19
; %bb.18:
	s_mul_i32 s2, s2, 6
	s_mov_b32 s3, 0
	s_waitcnt lgkmcnt(0)
	v_add_f32_e32 v0, v0, v1
	s_lshl_b64 s[2:3], s[2:3], 2
	v_mov_b32_e32 v1, 0
	s_add_u32 s0, s0, s2
	s_addc_u32 s1, s1, s3
	global_store_dword v1, v0, s[0:1]
.LBB82_19:
	s_endpgm
	.section	.rodata,"a",@progbits
	.p2align	6, 0x0
	.amdhsa_kernel _ZL13mul_mat_vec_qIL9ggml_type39ELi7ELb0ELb0EEvPKvS2_PKi31ggml_cuda_mm_fusion_args_devicePfj15HIP_vector_typeIjLj3EEjjjS8_jjjS8_jjjj
		.amdhsa_group_segment_fixed_size 0
		.amdhsa_private_segment_fixed_size 0
		.amdhsa_kernarg_size 144
		.amdhsa_user_sgpr_count 6
		.amdhsa_user_sgpr_private_segment_buffer 1
		.amdhsa_user_sgpr_dispatch_ptr 0
		.amdhsa_user_sgpr_queue_ptr 0
		.amdhsa_user_sgpr_kernarg_segment_ptr 1
		.amdhsa_user_sgpr_dispatch_id 0
		.amdhsa_user_sgpr_flat_scratch_init 0
		.amdhsa_user_sgpr_private_segment_size 0
		.amdhsa_wavefront_size32 1
		.amdhsa_uses_dynamic_stack 0
		.amdhsa_system_sgpr_private_segment_wavefront_offset 0
		.amdhsa_system_sgpr_workgroup_id_x 1
		.amdhsa_system_sgpr_workgroup_id_y 1
		.amdhsa_system_sgpr_workgroup_id_z 1
		.amdhsa_system_sgpr_workgroup_info 0
		.amdhsa_system_vgpr_workitem_id 1
		.amdhsa_next_free_vgpr 62
		.amdhsa_next_free_sgpr 26
		.amdhsa_reserve_vcc 1
		.amdhsa_reserve_flat_scratch 0
		.amdhsa_float_round_mode_32 0
		.amdhsa_float_round_mode_16_64 0
		.amdhsa_float_denorm_mode_32 3
		.amdhsa_float_denorm_mode_16_64 3
		.amdhsa_dx10_clamp 1
		.amdhsa_ieee_mode 1
		.amdhsa_fp16_overflow 0
		.amdhsa_workgroup_processor_mode 1
		.amdhsa_memory_ordered 1
		.amdhsa_forward_progress 1
		.amdhsa_shared_vgpr_count 0
		.amdhsa_exception_fp_ieee_invalid_op 0
		.amdhsa_exception_fp_denorm_src 0
		.amdhsa_exception_fp_ieee_div_zero 0
		.amdhsa_exception_fp_ieee_overflow 0
		.amdhsa_exception_fp_ieee_underflow 0
		.amdhsa_exception_fp_ieee_inexact 0
		.amdhsa_exception_int_div_zero 0
	.end_amdhsa_kernel
	.section	.text._ZL13mul_mat_vec_qIL9ggml_type39ELi7ELb0ELb0EEvPKvS2_PKi31ggml_cuda_mm_fusion_args_devicePfj15HIP_vector_typeIjLj3EEjjjS8_jjjS8_jjjj,"axG",@progbits,_ZL13mul_mat_vec_qIL9ggml_type39ELi7ELb0ELb0EEvPKvS2_PKi31ggml_cuda_mm_fusion_args_devicePfj15HIP_vector_typeIjLj3EEjjjS8_jjjS8_jjjj,comdat
.Lfunc_end82:
	.size	_ZL13mul_mat_vec_qIL9ggml_type39ELi7ELb0ELb0EEvPKvS2_PKi31ggml_cuda_mm_fusion_args_devicePfj15HIP_vector_typeIjLj3EEjjjS8_jjjS8_jjjj, .Lfunc_end82-_ZL13mul_mat_vec_qIL9ggml_type39ELi7ELb0ELb0EEvPKvS2_PKi31ggml_cuda_mm_fusion_args_devicePfj15HIP_vector_typeIjLj3EEjjjS8_jjjS8_jjjj
                                        ; -- End function
	.set _ZL13mul_mat_vec_qIL9ggml_type39ELi7ELb0ELb0EEvPKvS2_PKi31ggml_cuda_mm_fusion_args_devicePfj15HIP_vector_typeIjLj3EEjjjS8_jjjS8_jjjj.num_vgpr, 62
	.set _ZL13mul_mat_vec_qIL9ggml_type39ELi7ELb0ELb0EEvPKvS2_PKi31ggml_cuda_mm_fusion_args_devicePfj15HIP_vector_typeIjLj3EEjjjS8_jjjS8_jjjj.num_agpr, 0
	.set _ZL13mul_mat_vec_qIL9ggml_type39ELi7ELb0ELb0EEvPKvS2_PKi31ggml_cuda_mm_fusion_args_devicePfj15HIP_vector_typeIjLj3EEjjjS8_jjjS8_jjjj.numbered_sgpr, 26
	.set _ZL13mul_mat_vec_qIL9ggml_type39ELi7ELb0ELb0EEvPKvS2_PKi31ggml_cuda_mm_fusion_args_devicePfj15HIP_vector_typeIjLj3EEjjjS8_jjjS8_jjjj.num_named_barrier, 0
	.set _ZL13mul_mat_vec_qIL9ggml_type39ELi7ELb0ELb0EEvPKvS2_PKi31ggml_cuda_mm_fusion_args_devicePfj15HIP_vector_typeIjLj3EEjjjS8_jjjS8_jjjj.private_seg_size, 0
	.set _ZL13mul_mat_vec_qIL9ggml_type39ELi7ELb0ELb0EEvPKvS2_PKi31ggml_cuda_mm_fusion_args_devicePfj15HIP_vector_typeIjLj3EEjjjS8_jjjS8_jjjj.uses_vcc, 1
	.set _ZL13mul_mat_vec_qIL9ggml_type39ELi7ELb0ELb0EEvPKvS2_PKi31ggml_cuda_mm_fusion_args_devicePfj15HIP_vector_typeIjLj3EEjjjS8_jjjS8_jjjj.uses_flat_scratch, 0
	.set _ZL13mul_mat_vec_qIL9ggml_type39ELi7ELb0ELb0EEvPKvS2_PKi31ggml_cuda_mm_fusion_args_devicePfj15HIP_vector_typeIjLj3EEjjjS8_jjjS8_jjjj.has_dyn_sized_stack, 0
	.set _ZL13mul_mat_vec_qIL9ggml_type39ELi7ELb0ELb0EEvPKvS2_PKi31ggml_cuda_mm_fusion_args_devicePfj15HIP_vector_typeIjLj3EEjjjS8_jjjS8_jjjj.has_recursion, 0
	.set _ZL13mul_mat_vec_qIL9ggml_type39ELi7ELb0ELb0EEvPKvS2_PKi31ggml_cuda_mm_fusion_args_devicePfj15HIP_vector_typeIjLj3EEjjjS8_jjjS8_jjjj.has_indirect_call, 0
	.section	.AMDGPU.csdata,"",@progbits
; Kernel info:
; codeLenInByte = 2328
; TotalNumSgprs: 28
; NumVgprs: 62
; ScratchSize: 0
; MemoryBound: 0
; FloatMode: 240
; IeeeMode: 1
; LDSByteSize: 0 bytes/workgroup (compile time only)
; SGPRBlocks: 0
; VGPRBlocks: 7
; NumSGPRsForWavesPerEU: 28
; NumVGPRsForWavesPerEU: 62
; Occupancy: 16
; WaveLimiterHint : 0
; COMPUTE_PGM_RSRC2:SCRATCH_EN: 0
; COMPUTE_PGM_RSRC2:USER_SGPR: 6
; COMPUTE_PGM_RSRC2:TRAP_HANDLER: 0
; COMPUTE_PGM_RSRC2:TGID_X_EN: 1
; COMPUTE_PGM_RSRC2:TGID_Y_EN: 1
; COMPUTE_PGM_RSRC2:TGID_Z_EN: 1
; COMPUTE_PGM_RSRC2:TIDIG_COMP_CNT: 1
	.section	.text._ZL13mul_mat_vec_qIL9ggml_type39ELi8ELb0ELb0EEvPKvS2_PKi31ggml_cuda_mm_fusion_args_devicePfj15HIP_vector_typeIjLj3EEjjjS8_jjjS8_jjjj,"axG",@progbits,_ZL13mul_mat_vec_qIL9ggml_type39ELi8ELb0ELb0EEvPKvS2_PKi31ggml_cuda_mm_fusion_args_devicePfj15HIP_vector_typeIjLj3EEjjjS8_jjjS8_jjjj,comdat
	.globl	_ZL13mul_mat_vec_qIL9ggml_type39ELi8ELb0ELb0EEvPKvS2_PKi31ggml_cuda_mm_fusion_args_devicePfj15HIP_vector_typeIjLj3EEjjjS8_jjjS8_jjjj ; -- Begin function _ZL13mul_mat_vec_qIL9ggml_type39ELi8ELb0ELb0EEvPKvS2_PKi31ggml_cuda_mm_fusion_args_devicePfj15HIP_vector_typeIjLj3EEjjjS8_jjjS8_jjjj
	.p2align	8
	.type	_ZL13mul_mat_vec_qIL9ggml_type39ELi8ELb0ELb0EEvPKvS2_PKi31ggml_cuda_mm_fusion_args_devicePfj15HIP_vector_typeIjLj3EEjjjS8_jjjS8_jjjj,@function
_ZL13mul_mat_vec_qIL9ggml_type39ELi8ELb0ELb0EEvPKvS2_PKi31ggml_cuda_mm_fusion_args_devicePfj15HIP_vector_typeIjLj3EEjjjS8_jjjS8_jjjj: ; @_ZL13mul_mat_vec_qIL9ggml_type39ELi8ELb0ELb0EEvPKvS2_PKi31ggml_cuda_mm_fusion_args_devicePfj15HIP_vector_typeIjLj3EEjjjS8_jjjS8_jjjj
; %bb.0:
	s_clause 0x5
	s_load_dwordx4 s[16:19], s[4:5], 0x80
	s_load_dword s9, s[4:5], 0x40
	s_load_dwordx4 s[0:3], s[4:5], 0x50
	s_load_dword s24, s[4:5], 0x60
	;; [unrolled: 2-line block ×3, first 2 shown]
	v_lshl_or_b32 v2, v1, 5, v0
	v_mov_b32_e32 v4, 0
	v_mov_b32_e32 v5, 0
	v_mov_b32_e32 v6, 0
	v_mov_b32_e32 v7, 0
	v_lshrrev_b16 v3, 1, v2
	v_mov_b32_e32 v8, 0
	v_mov_b32_e32 v9, 0
	;; [unrolled: 1-line block ×4, first 2 shown]
	v_and_b32_e32 v11, 0xffff, v3
	s_waitcnt lgkmcnt(0)
	s_lshr_b32 s19, s9, 5
	s_mov_b32 s9, exec_lo
	v_cmpx_gt_u32_e64 s19, v11
	s_cbranch_execz .LBB83_4
; %bb.1:
	s_load_dwordx4 s[20:23], s[4:5], 0x0
	s_mul_i32 s10, s17, s8
	s_mul_i32 s11, s13, s7
	;; [unrolled: 1-line block ×3, first 2 shown]
	s_mul_hi_u32 s0, s3, s7
	s_mul_hi_u32 s3, s15, s8
	v_lshlrev_b32_e32 v3, 1, v0
	s_mul_hi_u32 s15, s10, 36
	s_mul_i32 s10, s10, 36
	v_lshrrev_b32_e32 v2, 1, v2
	s_mul_hi_u32 s17, s11, 36
	s_mul_i32 s11, s11, 36
	v_and_b32_e32 v5, 1, v0
	v_and_b32_e32 v6, 2, v3
	v_mov_b32_e32 v4, 0
	v_mov_b32_e32 v7, 0
	;; [unrolled: 1-line block ×3, first 2 shown]
	v_lshlrev_b32_e32 v13, 3, v5
	v_lshlrev_b32_e32 v14, 2, v6
	;; [unrolled: 1-line block ×3, first 2 shown]
	s_waitcnt lgkmcnt(0)
	s_add_u32 s10, s22, s10
	s_addc_u32 s15, s23, s15
	s_add_u32 s10, s10, s11
	s_addc_u32 s11, s15, s17
	s_add_i32 s15, s7, s0
	s_add_i32 s3, s8, s3
	s_lshr_b32 s15, s15, s24
	v_mad_u64_u32 v[2:3], null, v2, 36, s[10:11]
	s_lshr_b32 s3, s3, s25
	s_mul_i32 s12, s15, s12
	v_mov_b32_e32 v5, 0
	v_mov_b32_e32 v6, 0
	;; [unrolled: 1-line block ×5, first 2 shown]
	s_mul_i32 s3, s3, s16
	s_add_i32 s12, s12, s13
	s_lshl_b32 s0, s1, 1
	s_add_i32 s3, s3, s12
	s_mul_i32 s12, s1, 3
	s_lshl_b32 s13, s1, 2
	s_mul_i32 s15, s1, 5
	s_mul_i32 s16, s1, 6
	;; [unrolled: 1-line block ×3, first 2 shown]
	s_mov_b32 s17, 0
	s_mov_b32 s23, 0xc080604
	;; [unrolled: 1-line block ×4, first 2 shown]
.LBB83_2:                               ; =>This Inner Loop Header: Depth=1
	v_add_nc_u32_e32 v18, s3, v11
	v_add_nc_u32_e32 v22, s1, v11
	;; [unrolled: 1-line block ×5, first 2 shown]
	v_mad_i64_i32 v[18:19], null, v18, 17, s[20:21]
	v_mad_u64_u32 v[22:23], null, v22, 36, s[10:11]
	v_mad_u64_u32 v[24:25], null, v24, 36, s[10:11]
	v_add_nc_u32_e32 v30, s15, v11
	v_add_co_u32 v16, vcc_lo, v2, v13
	v_mad_u64_u32 v[26:27], null, v26, 36, s[10:11]
	v_add_co_ci_u32_e64 v17, null, 0, v3, vcc_lo
	v_mad_u64_u32 v[28:29], null, v28, 36, s[10:11]
	v_add_co_u32 v36, vcc_lo, v18, v14
	v_mad_u64_u32 v[30:31], null, v30, 36, s[10:11]
	v_add_co_ci_u32_e64 v37, null, 0, v19, vcc_lo
	v_add_co_u32 v38, vcc_lo, v22, v15
	v_add_co_ci_u32_e64 v39, null, 0, v23, vcc_lo
	v_add_co_u32 v40, vcc_lo, v24, v15
	;; [unrolled: 2-line block ×3, first 2 shown]
	v_add_nc_u32_e32 v32, s16, v11
	v_add_nc_u32_e32 v34, s22, v11
	v_add_co_ci_u32_e64 v43, null, 0, v27, vcc_lo
	v_add_co_u32 v44, vcc_lo, v28, v15
	v_add_co_ci_u32_e64 v45, null, 0, v29, vcc_lo
	v_add_co_u32 v46, vcc_lo, v30, v15
	v_add_co_ci_u32_e64 v47, null, 0, v31, vcc_lo
	s_clause 0x1
	global_load_dwordx2 v[20:21], v[16:17], off offset:4
	global_load_dwordx2 v[16:17], v[16:17], off offset:20
	v_mad_u64_u32 v[32:33], null, v32, 36, s[10:11]
	v_mad_u64_u32 v[34:35], null, v34, 36, s[10:11]
	s_clause 0x1
	global_load_dwordx2 v[36:37], v[36:37], off offset:1
	global_load_ubyte v60, v[18:19], off
	s_clause 0xc
	global_load_dwordx2 v[18:19], v[38:39], off offset:4
	global_load_dwordx2 v[38:39], v[38:39], off offset:20
	global_load_dword v61, v[24:25], off
	global_load_dword v62, v[22:23], off
	;; [unrolled: 1-line block ×3, first 2 shown]
	global_load_dwordx2 v[22:23], v[44:45], off offset:4
	global_load_dwordx2 v[24:25], v[44:45], off offset:20
	global_load_dword v44, v[28:29], off
	global_load_dwordx2 v[26:27], v[46:47], off offset:4
	global_load_dwordx2 v[28:29], v[46:47], off offset:20
	global_load_dword v45, v[32:33], off
	global_load_dword v46, v[30:31], off
	;; [unrolled: 1-line block ×3, first 2 shown]
	v_mov_b32_e32 v52, 0
	v_mov_b32_e32 v53, 0
	;; [unrolled: 1-line block ×3, first 2 shown]
	v_add_co_u32 v48, vcc_lo, v32, v15
	v_add_co_ci_u32_e64 v49, null, 0, v33, vcc_lo
	v_add_co_u32 v50, vcc_lo, v34, v15
	v_add_co_ci_u32_e64 v51, null, 0, v35, vcc_lo
	v_mov_b32_e32 v55, 0
	v_mov_b32_e32 v56, 0
	;; [unrolled: 1-line block ×5, first 2 shown]
	v_add_nc_u32_e32 v11, 16, v11
	s_waitcnt vmcnt(14)
	v_and_b32_e32 v30, 0x7070707, v36
	v_lshrrev_b32_e32 v31, 1, v36
	v_and_b32_e32 v32, 0x7070707, v37
	s_waitcnt vmcnt(13)
	v_cmp_ne_u32_e32 vcc_lo, 0, v60
	v_perm_b32 v33, s23, 0x3020100, v30
	v_perm_b32 v30, s24, 0xfdfeff00, v30
	v_and_or_b32 v31, v31, s25, 0x3020100
	v_perm_b32 v34, s23, 0x3020100, v32
	v_perm_b32 v32, s24, 0xfdfeff00, v32
	;; [unrolled: 1-line block ×3, first 2 shown]
	v_lshrrev_b32_e32 v30, 1, v37
	v_ashrrev_i32_e32 v31, 4, v36
	v_ashrrev_i32_e32 v33, 4, v37
	v_dot4c_i32_i8 v52, v64, v20
	v_and_or_b32 v30, v30, s25, 0x3020100
	s_waitcnt vmcnt(12)
	v_dot4c_i32_i8 v53, v64, v18
	s_waitcnt vmcnt(7)
	v_dot4c_i32_i8 v56, v64, v22
	;; [unrolled: 2-line block ×3, first 2 shown]
	v_cvt_f32_f16_e32 v22, v63
	v_perm_b32 v65, v32, v34, v30
	v_and_b32_e32 v30, 0x7070707, v31
	v_lshrrev_b32_e32 v31, 1, v31
	v_cvt_f32_f16_e32 v26, v44
	v_perm_b32 v32, s23, 0x3020100, v30
	v_perm_b32 v30, s24, 0xfdfeff00, v30
	v_and_or_b32 v31, v31, s25, 0x3020100
	v_perm_b32 v66, v30, v32, v31
	v_lshlrev_b32_e32 v30, 23, v60
	v_and_b32_e32 v31, 0x7070707, v33
	v_lshrrev_b32_e32 v32, 1, v33
	v_dot4c_i32_i8 v52, v66, v16
	v_mul_f32_e32 v67, 0.5, v30
	v_perm_b32 v30, s23, 0x3020100, v31
	v_perm_b32 v31, s24, 0xfdfeff00, v31
	v_and_or_b32 v32, v32, s25, 0x3020100
	v_dot4c_i32_i8 v53, v66, v38
	v_dot4c_i32_i8 v52, v65, v21
	global_load_dwordx2 v[20:21], v[40:41], off offset:4
	s_waitcnt vmcnt(1)
	v_cvt_f32_f16_e32 v38, v47
	v_perm_b32 v60, v31, v30, v32
	global_load_dwordx2 v[30:31], v[42:43], off offset:4
	v_dot4c_i32_i8 v53, v65, v19
	s_clause 0x3
	global_load_dwordx2 v[18:19], v[48:49], off offset:4
	global_load_dwordx2 v[32:33], v[40:41], off offset:20
	;; [unrolled: 1-line block ×4, first 2 shown]
	global_load_dword v16, v[2:3], off
	v_cndmask_b32_e32 v40, 0x200000, v67, vcc_lo
	v_dot4c_i32_i8 v56, v66, v24
	v_dot4c_i32_i8 v57, v66, v28
	;; [unrolled: 1-line block ×4, first 2 shown]
	v_mul_f32_e32 v22, v40, v22
	v_mul_f32_e32 v26, v40, v26
	;; [unrolled: 1-line block ×3, first 2 shown]
	v_dot4c_i32_i8 v56, v65, v23
	v_dot4c_i32_i8 v57, v65, v27
	v_cvt_f32_i32_e32 v17, v52
	v_add_co_u32 v2, vcc_lo, 0x240, v2
	v_dot4c_i32_i8 v56, v60, v25
	v_dot4c_i32_i8 v57, v60, v29
	v_add_co_ci_u32_e64 v3, null, 0, v3, vcc_lo
	v_cmp_le_u32_e32 vcc_lo, s19, v11
	v_cvt_f32_i32_e32 v24, v56
	v_cvt_f32_i32_e32 v25, v57
	s_or_b32 s17, vcc_lo, s17
	v_fmac_f32_e32 v7, v26, v24
	s_waitcnt vmcnt(6)
	v_dot4c_i32_i8 v54, v64, v20
	v_cvt_f32_f16_e32 v20, v61
	s_waitcnt vmcnt(5)
	v_dot4c_i32_i8 v55, v64, v30
	s_waitcnt vmcnt(4)
	v_dot4c_i32_i8 v58, v64, v18
	v_cvt_f32_f16_e32 v18, v62
	s_waitcnt vmcnt(1)
	v_dot4c_i32_i8 v59, v64, v36
	s_waitcnt vmcnt(0)
	v_cvt_f32_f16_e32 v16, v16
	v_cvt_f32_f16_e32 v30, v46
	;; [unrolled: 1-line block ×3, first 2 shown]
	v_mul_f32_e32 v18, v40, v18
	v_mul_f32_e32 v20, v40, v20
	;; [unrolled: 1-line block ×5, first 2 shown]
	s_clause 0x1
	global_load_dwordx2 v[40:41], v[42:43], off offset:20
	global_load_dwordx2 v[42:43], v[50:51], off offset:20
	v_dot4c_i32_i8 v54, v66, v32
	v_dot4c_i32_i8 v58, v66, v34
	v_fmac_f32_e32 v12, v16, v17
	v_fmac_f32_e32 v6, v30, v25
	v_dot4c_i32_i8 v54, v65, v21
	v_dot4c_i32_i8 v58, v65, v19
	v_cvt_f32_i32_e32 v19, v53
	v_dot4c_i32_i8 v54, v60, v33
	v_dot4c_i32_i8 v58, v60, v35
	v_fmac_f32_e32 v10, v18, v19
	v_cvt_f32_i32_e32 v21, v54
	v_cvt_f32_i32_e32 v27, v58
	v_fmac_f32_e32 v9, v20, v21
	v_fmac_f32_e32 v5, v36, v27
	s_waitcnt vmcnt(1)
	v_dot4c_i32_i8 v55, v66, v40
	s_waitcnt vmcnt(0)
	v_dot4c_i32_i8 v59, v66, v42
	v_dot4c_i32_i8 v55, v65, v31
	;; [unrolled: 1-line block ×5, first 2 shown]
	v_cvt_f32_i32_e32 v23, v55
	v_cvt_f32_i32_e32 v28, v59
	v_fmac_f32_e32 v8, v22, v23
	v_fmac_f32_e32 v4, v38, v28
	s_andn2_b32 exec_lo, exec_lo, s17
	s_cbranch_execnz .LBB83_2
; %bb.3:
	s_or_b32 exec_lo, exec_lo, s17
.LBB83_4:
	s_or_b32 exec_lo, exec_lo, s9
	s_mov_b32 s1, 0
	; wave barrier
	buffer_gl0_inv
	s_mov_b32 s0, exec_lo
	v_cmpx_eq_u32_e32 0, v1
	s_cbranch_execz .LBB83_21
; %bb.5:
	v_mbcnt_lo_u32_b32 v13, -1, 0
	s_load_dwordx2 s[4:5], s[4:5], 0x38
	s_mul_i32 s0, s14, s7
	s_mul_i32 s3, s18, s8
	s_add_i32 s0, s0, s6
	v_xor_b32_e32 v1, 16, v13
	v_xor_b32_e32 v2, 8, v13
	s_add_i32 s0, s0, s3
	s_lshl_b64 s[0:1], s[0:1], 2
	v_cmp_gt_i32_e32 vcc_lo, 32, v1
	v_cndmask_b32_e32 v1, v13, v1, vcc_lo
	v_cmp_gt_i32_e32 vcc_lo, 32, v2
	v_lshlrev_b32_e32 v1, 2, v1
	v_cndmask_b32_e32 v2, v13, v2, vcc_lo
	s_waitcnt lgkmcnt(0)
	s_add_u32 s0, s4, s0
	s_addc_u32 s1, s5, s1
	ds_bpermute_b32 v3, v1, v12
	v_lshlrev_b32_e32 v2, 2, v2
	s_waitcnt lgkmcnt(0)
	v_add_f32_e32 v11, v12, v3
	v_xor_b32_e32 v3, 4, v13
	ds_bpermute_b32 v12, v2, v11
	v_cmp_gt_i32_e32 vcc_lo, 32, v3
	v_cndmask_b32_e32 v3, v13, v3, vcc_lo
	v_lshlrev_b32_e32 v3, 2, v3
	s_waitcnt lgkmcnt(0)
	v_add_f32_e32 v12, v11, v12
	v_xor_b32_e32 v11, 2, v13
	ds_bpermute_b32 v14, v3, v12
	v_cmp_gt_i32_e32 vcc_lo, 32, v11
	v_cndmask_b32_e32 v11, v13, v11, vcc_lo
	v_lshlrev_b32_e32 v11, 2, v11
	s_waitcnt lgkmcnt(0)
	v_add_f32_e32 v14, v12, v14
	v_xor_b32_e32 v12, 1, v13
	ds_bpermute_b32 v15, v11, v14
	v_cmp_gt_i32_e32 vcc_lo, 32, v12
	v_cndmask_b32_e32 v12, v13, v12, vcc_lo
	v_cmp_eq_u32_e32 vcc_lo, 0, v0
	v_lshlrev_b32_e32 v12, 2, v12
	s_waitcnt lgkmcnt(0)
	v_add_f32_e32 v13, v14, v15
	ds_bpermute_b32 v14, v12, v13
	s_and_saveexec_b32 s3, vcc_lo
	s_cbranch_execz .LBB83_7
; %bb.6:
	s_waitcnt lgkmcnt(0)
	v_add_f32_e32 v0, v13, v14
	v_mov_b32_e32 v13, 0
	global_store_dword v13, v0, s[0:1]
.LBB83_7:
	s_or_b32 exec_lo, exec_lo, s3
	ds_bpermute_b32 v0, v1, v10
	s_waitcnt lgkmcnt(0)
	v_add_f32_e32 v0, v10, v0
	ds_bpermute_b32 v10, v2, v0
	s_waitcnt lgkmcnt(0)
	v_add_f32_e32 v0, v0, v10
	;; [unrolled: 3-line block ×4, first 2 shown]
	ds_bpermute_b32 v10, v12, v0
	s_and_saveexec_b32 s4, vcc_lo
	s_cbranch_execz .LBB83_9
; %bb.8:
	s_mov_b32 s3, 0
	s_waitcnt lgkmcnt(0)
	v_add_f32_e32 v0, v0, v10
	s_lshl_b64 s[6:7], s[2:3], 2
	v_mov_b32_e32 v10, 0
	s_add_u32 s6, s0, s6
	s_addc_u32 s7, s1, s7
	global_store_dword v10, v0, s[6:7]
.LBB83_9:
	s_or_b32 exec_lo, exec_lo, s4
	ds_bpermute_b32 v0, v1, v9
	s_waitcnt lgkmcnt(0)
	v_add_f32_e32 v0, v9, v0
	ds_bpermute_b32 v9, v2, v0
	s_waitcnt lgkmcnt(0)
	v_add_f32_e32 v0, v0, v9
	;; [unrolled: 3-line block ×4, first 2 shown]
	ds_bpermute_b32 v9, v12, v0
	s_and_saveexec_b32 s3, vcc_lo
	s_cbranch_execz .LBB83_11
; %bb.10:
	s_lshl_b32 s4, s2, 1
	s_mov_b32 s5, 0
	s_waitcnt lgkmcnt(0)
	v_add_f32_e32 v0, v0, v9
	s_lshl_b64 s[4:5], s[4:5], 2
	v_mov_b32_e32 v9, 0
	s_add_u32 s4, s0, s4
	s_addc_u32 s5, s1, s5
	global_store_dword v9, v0, s[4:5]
.LBB83_11:
	s_or_b32 exec_lo, exec_lo, s3
	ds_bpermute_b32 v0, v1, v8
	s_waitcnt lgkmcnt(0)
	v_add_f32_e32 v0, v8, v0
	ds_bpermute_b32 v8, v2, v0
	s_waitcnt lgkmcnt(0)
	v_add_f32_e32 v0, v0, v8
	;; [unrolled: 3-line block ×4, first 2 shown]
	ds_bpermute_b32 v8, v12, v0
	s_and_saveexec_b32 s3, vcc_lo
	s_cbranch_execz .LBB83_13
; %bb.12:
	s_mul_i32 s4, s2, 3
	s_mov_b32 s5, 0
	s_waitcnt lgkmcnt(0)
	v_add_f32_e32 v0, v0, v8
	s_lshl_b64 s[4:5], s[4:5], 2
	v_mov_b32_e32 v8, 0
	s_add_u32 s4, s0, s4
	s_addc_u32 s5, s1, s5
	global_store_dword v8, v0, s[4:5]
.LBB83_13:
	s_or_b32 exec_lo, exec_lo, s3
	ds_bpermute_b32 v0, v1, v7
	s_waitcnt lgkmcnt(0)
	v_add_f32_e32 v0, v7, v0
	ds_bpermute_b32 v7, v2, v0
	s_waitcnt lgkmcnt(0)
	v_add_f32_e32 v0, v0, v7
	;; [unrolled: 3-line block ×4, first 2 shown]
	ds_bpermute_b32 v7, v12, v0
	s_and_saveexec_b32 s3, vcc_lo
	s_cbranch_execz .LBB83_15
; %bb.14:
	s_lshl_b32 s4, s2, 2
	s_mov_b32 s5, 0
	s_waitcnt lgkmcnt(0)
	v_add_f32_e32 v0, v0, v7
	s_lshl_b64 s[4:5], s[4:5], 2
	v_mov_b32_e32 v7, 0
	s_add_u32 s4, s0, s4
	s_addc_u32 s5, s1, s5
	global_store_dword v7, v0, s[4:5]
.LBB83_15:
	s_or_b32 exec_lo, exec_lo, s3
	ds_bpermute_b32 v0, v1, v6
	s_waitcnt lgkmcnt(0)
	v_add_f32_e32 v0, v6, v0
	ds_bpermute_b32 v6, v2, v0
	s_waitcnt lgkmcnt(0)
	v_add_f32_e32 v0, v0, v6
	;; [unrolled: 3-line block ×4, first 2 shown]
	ds_bpermute_b32 v6, v12, v0
	s_and_saveexec_b32 s3, vcc_lo
	s_cbranch_execz .LBB83_17
; %bb.16:
	s_mul_i32 s4, s2, 5
	s_mov_b32 s5, 0
	s_waitcnt lgkmcnt(0)
	v_add_f32_e32 v0, v0, v6
	s_lshl_b64 s[4:5], s[4:5], 2
	v_mov_b32_e32 v6, 0
	s_add_u32 s4, s0, s4
	s_addc_u32 s5, s1, s5
	global_store_dword v6, v0, s[4:5]
.LBB83_17:
	s_or_b32 exec_lo, exec_lo, s3
	ds_bpermute_b32 v0, v1, v5
	s_waitcnt lgkmcnt(0)
	v_add_f32_e32 v0, v5, v0
	ds_bpermute_b32 v5, v2, v0
	s_waitcnt lgkmcnt(0)
	v_add_f32_e32 v0, v0, v5
	;; [unrolled: 3-line block ×4, first 2 shown]
	ds_bpermute_b32 v5, v12, v0
	s_and_saveexec_b32 s3, vcc_lo
	s_cbranch_execz .LBB83_19
; %bb.18:
	s_mul_i32 s4, s2, 6
	s_mov_b32 s5, 0
	s_waitcnt lgkmcnt(0)
	v_add_f32_e32 v0, v0, v5
	s_lshl_b64 s[4:5], s[4:5], 2
	v_mov_b32_e32 v5, 0
	s_add_u32 s4, s0, s4
	s_addc_u32 s5, s1, s5
	global_store_dword v5, v0, s[4:5]
.LBB83_19:
	s_or_b32 exec_lo, exec_lo, s3
	ds_bpermute_b32 v0, v1, v4
	s_waitcnt lgkmcnt(0)
	v_add_f32_e32 v0, v4, v0
	ds_bpermute_b32 v1, v2, v0
	s_waitcnt lgkmcnt(0)
	v_add_f32_e32 v0, v0, v1
	ds_bpermute_b32 v1, v3, v0
	s_waitcnt lgkmcnt(0)
	v_add_f32_e32 v0, v0, v1
	ds_bpermute_b32 v1, v11, v0
	s_waitcnt lgkmcnt(0)
	v_add_f32_e32 v0, v0, v1
	ds_bpermute_b32 v1, v12, v0
	s_and_b32 exec_lo, exec_lo, vcc_lo
	s_cbranch_execz .LBB83_21
; %bb.20:
	s_mul_i32 s2, s2, 7
	s_mov_b32 s3, 0
	s_waitcnt lgkmcnt(0)
	v_add_f32_e32 v0, v0, v1
	s_lshl_b64 s[2:3], s[2:3], 2
	v_mov_b32_e32 v1, 0
	s_add_u32 s0, s0, s2
	s_addc_u32 s1, s1, s3
	global_store_dword v1, v0, s[0:1]
.LBB83_21:
	s_endpgm
	.section	.rodata,"a",@progbits
	.p2align	6, 0x0
	.amdhsa_kernel _ZL13mul_mat_vec_qIL9ggml_type39ELi8ELb0ELb0EEvPKvS2_PKi31ggml_cuda_mm_fusion_args_devicePfj15HIP_vector_typeIjLj3EEjjjS8_jjjS8_jjjj
		.amdhsa_group_segment_fixed_size 0
		.amdhsa_private_segment_fixed_size 0
		.amdhsa_kernarg_size 144
		.amdhsa_user_sgpr_count 6
		.amdhsa_user_sgpr_private_segment_buffer 1
		.amdhsa_user_sgpr_dispatch_ptr 0
		.amdhsa_user_sgpr_queue_ptr 0
		.amdhsa_user_sgpr_kernarg_segment_ptr 1
		.amdhsa_user_sgpr_dispatch_id 0
		.amdhsa_user_sgpr_flat_scratch_init 0
		.amdhsa_user_sgpr_private_segment_size 0
		.amdhsa_wavefront_size32 1
		.amdhsa_uses_dynamic_stack 0
		.amdhsa_system_sgpr_private_segment_wavefront_offset 0
		.amdhsa_system_sgpr_workgroup_id_x 1
		.amdhsa_system_sgpr_workgroup_id_y 1
		.amdhsa_system_sgpr_workgroup_id_z 1
		.amdhsa_system_sgpr_workgroup_info 0
		.amdhsa_system_vgpr_workitem_id 1
		.amdhsa_next_free_vgpr 68
		.amdhsa_next_free_sgpr 26
		.amdhsa_reserve_vcc 1
		.amdhsa_reserve_flat_scratch 0
		.amdhsa_float_round_mode_32 0
		.amdhsa_float_round_mode_16_64 0
		.amdhsa_float_denorm_mode_32 3
		.amdhsa_float_denorm_mode_16_64 3
		.amdhsa_dx10_clamp 1
		.amdhsa_ieee_mode 1
		.amdhsa_fp16_overflow 0
		.amdhsa_workgroup_processor_mode 1
		.amdhsa_memory_ordered 1
		.amdhsa_forward_progress 1
		.amdhsa_shared_vgpr_count 0
		.amdhsa_exception_fp_ieee_invalid_op 0
		.amdhsa_exception_fp_denorm_src 0
		.amdhsa_exception_fp_ieee_div_zero 0
		.amdhsa_exception_fp_ieee_overflow 0
		.amdhsa_exception_fp_ieee_underflow 0
		.amdhsa_exception_fp_ieee_inexact 0
		.amdhsa_exception_int_div_zero 0
	.end_amdhsa_kernel
	.section	.text._ZL13mul_mat_vec_qIL9ggml_type39ELi8ELb0ELb0EEvPKvS2_PKi31ggml_cuda_mm_fusion_args_devicePfj15HIP_vector_typeIjLj3EEjjjS8_jjjS8_jjjj,"axG",@progbits,_ZL13mul_mat_vec_qIL9ggml_type39ELi8ELb0ELb0EEvPKvS2_PKi31ggml_cuda_mm_fusion_args_devicePfj15HIP_vector_typeIjLj3EEjjjS8_jjjS8_jjjj,comdat
.Lfunc_end83:
	.size	_ZL13mul_mat_vec_qIL9ggml_type39ELi8ELb0ELb0EEvPKvS2_PKi31ggml_cuda_mm_fusion_args_devicePfj15HIP_vector_typeIjLj3EEjjjS8_jjjS8_jjjj, .Lfunc_end83-_ZL13mul_mat_vec_qIL9ggml_type39ELi8ELb0ELb0EEvPKvS2_PKi31ggml_cuda_mm_fusion_args_devicePfj15HIP_vector_typeIjLj3EEjjjS8_jjjS8_jjjj
                                        ; -- End function
	.set _ZL13mul_mat_vec_qIL9ggml_type39ELi8ELb0ELb0EEvPKvS2_PKi31ggml_cuda_mm_fusion_args_devicePfj15HIP_vector_typeIjLj3EEjjjS8_jjjS8_jjjj.num_vgpr, 68
	.set _ZL13mul_mat_vec_qIL9ggml_type39ELi8ELb0ELb0EEvPKvS2_PKi31ggml_cuda_mm_fusion_args_devicePfj15HIP_vector_typeIjLj3EEjjjS8_jjjS8_jjjj.num_agpr, 0
	.set _ZL13mul_mat_vec_qIL9ggml_type39ELi8ELb0ELb0EEvPKvS2_PKi31ggml_cuda_mm_fusion_args_devicePfj15HIP_vector_typeIjLj3EEjjjS8_jjjS8_jjjj.numbered_sgpr, 26
	.set _ZL13mul_mat_vec_qIL9ggml_type39ELi8ELb0ELb0EEvPKvS2_PKi31ggml_cuda_mm_fusion_args_devicePfj15HIP_vector_typeIjLj3EEjjjS8_jjjS8_jjjj.num_named_barrier, 0
	.set _ZL13mul_mat_vec_qIL9ggml_type39ELi8ELb0ELb0EEvPKvS2_PKi31ggml_cuda_mm_fusion_args_devicePfj15HIP_vector_typeIjLj3EEjjjS8_jjjS8_jjjj.private_seg_size, 0
	.set _ZL13mul_mat_vec_qIL9ggml_type39ELi8ELb0ELb0EEvPKvS2_PKi31ggml_cuda_mm_fusion_args_devicePfj15HIP_vector_typeIjLj3EEjjjS8_jjjS8_jjjj.uses_vcc, 1
	.set _ZL13mul_mat_vec_qIL9ggml_type39ELi8ELb0ELb0EEvPKvS2_PKi31ggml_cuda_mm_fusion_args_devicePfj15HIP_vector_typeIjLj3EEjjjS8_jjjS8_jjjj.uses_flat_scratch, 0
	.set _ZL13mul_mat_vec_qIL9ggml_type39ELi8ELb0ELb0EEvPKvS2_PKi31ggml_cuda_mm_fusion_args_devicePfj15HIP_vector_typeIjLj3EEjjjS8_jjjS8_jjjj.has_dyn_sized_stack, 0
	.set _ZL13mul_mat_vec_qIL9ggml_type39ELi8ELb0ELb0EEvPKvS2_PKi31ggml_cuda_mm_fusion_args_devicePfj15HIP_vector_typeIjLj3EEjjjS8_jjjS8_jjjj.has_recursion, 0
	.set _ZL13mul_mat_vec_qIL9ggml_type39ELi8ELb0ELb0EEvPKvS2_PKi31ggml_cuda_mm_fusion_args_devicePfj15HIP_vector_typeIjLj3EEjjjS8_jjjS8_jjjj.has_indirect_call, 0
	.section	.AMDGPU.csdata,"",@progbits
; Kernel info:
; codeLenInByte = 2580
; TotalNumSgprs: 28
; NumVgprs: 68
; ScratchSize: 0
; MemoryBound: 0
; FloatMode: 240
; IeeeMode: 1
; LDSByteSize: 0 bytes/workgroup (compile time only)
; SGPRBlocks: 0
; VGPRBlocks: 8
; NumSGPRsForWavesPerEU: 28
; NumVGPRsForWavesPerEU: 68
; Occupancy: 12
; WaveLimiterHint : 0
; COMPUTE_PGM_RSRC2:SCRATCH_EN: 0
; COMPUTE_PGM_RSRC2:USER_SGPR: 6
; COMPUTE_PGM_RSRC2:TRAP_HANDLER: 0
; COMPUTE_PGM_RSRC2:TGID_X_EN: 1
; COMPUTE_PGM_RSRC2:TGID_Y_EN: 1
; COMPUTE_PGM_RSRC2:TGID_Z_EN: 1
; COMPUTE_PGM_RSRC2:TIDIG_COMP_CNT: 1
	.section	.text._ZL17mul_mat_vec_q_moeIL9ggml_type40ELi2EEvPKvS2_PKiPfj15HIP_vector_typeIjLj3EEjjjjjjjjj,"axG",@progbits,_ZL17mul_mat_vec_q_moeIL9ggml_type40ELi2EEvPKvS2_PKiPfj15HIP_vector_typeIjLj3EEjjjjjjjjj,comdat
	.globl	_ZL17mul_mat_vec_q_moeIL9ggml_type40ELi2EEvPKvS2_PKiPfj15HIP_vector_typeIjLj3EEjjjjjjjjj ; -- Begin function _ZL17mul_mat_vec_q_moeIL9ggml_type40ELi2EEvPKvS2_PKiPfj15HIP_vector_typeIjLj3EEjjjjjjjjj
	.p2align	8
	.type	_ZL17mul_mat_vec_q_moeIL9ggml_type40ELi2EEvPKvS2_PKiPfj15HIP_vector_typeIjLj3EEjjjjjjjjj,@function
_ZL17mul_mat_vec_q_moeIL9ggml_type40ELi2EEvPKvS2_PKiPfj15HIP_vector_typeIjLj3EEjjjjjjjjj: ; @_ZL17mul_mat_vec_q_moeIL9ggml_type40ELi2EEvPKvS2_PKiPfj15HIP_vector_typeIjLj3EEjjjjjjjjj
; %bb.0:
	s_load_dwordx8 s[16:23], s[4:5], 0x30
	s_mov_b32 s0, exec_lo
	s_waitcnt lgkmcnt(0)
	v_cmpx_gt_u32_e64 s23, v1
	s_cbranch_execz .LBB84_31
; %bb.1:
	s_clause 0x2
	s_load_dword s1, s[4:5], 0x20
	s_load_dword s0, s[4:5], 0x50
	s_load_dwordx8 s[8:15], s[4:5], 0x0
	v_lshrrev_b32_e32 v25, 1, v0
	v_mov_b32_e32 v26, 0
	v_mov_b32_e32 v10, 0
	s_mov_b32 s2, s7
	s_waitcnt lgkmcnt(0)
	s_lshr_b32 s3, s1, 6
	s_lshl_b32 s1, s6, 1
	s_mov_b32 s6, exec_lo
	v_cmpx_gt_u32_e64 s3, v25
	s_cbranch_execz .LBB84_29
; %bb.2:
	v_mad_u64_u32 v[9:10], null, s0, v1, s[2:3]
	v_mov_b32_e32 v10, 0
	s_load_dwordx4 s[24:27], s[4:5], 0x24
	v_lshrrev_b32_e32 v5, 1, v0
	v_and_b32_e32 v6, 1, v0
	s_mov_b32 s4, 0
	v_mov_b32_e32 v26, v10
	v_lshlrev_b64 v[2:3], 2, v[9:10]
	s_mov_b32 s5, 0xf4f8fafc
	s_mov_b32 s7, 0xc080604
	v_add_co_u32 v2, vcc_lo, s12, v2
	v_add_co_ci_u32_e64 v3, null, s13, v3, vcc_lo
	global_load_dword v4, v[2:3], off
	v_mul_lo_u32 v2, s18, v1
	s_waitcnt lgkmcnt(0)
	s_mul_hi_u32 s0, s24, s2
	s_add_i32 s0, s2, s0
	s_lshr_b32 s0, s0, s25
	s_mul_i32 s0, s0, s26
	v_mad_u64_u32 v[2:3], null, v2, 36, 0
	s_sub_i32 s0, s2, s0
	s_mul_i32 s0, s0, s21
	v_mad_u64_u32 v[2:3], null, 0x48, v5, v[2:3]
	v_lshlrev_b32_e32 v5, 2, v0
	v_and_b32_e32 v5, 4, v5
	v_mad_u64_u32 v[2:3], null, s0, 36, v[2:3]
	s_add_i32 s0, s1, 1
	v_lshrrev_b32_e32 v27, 1, v5
	v_lshlrev_b32_e32 v29, 2, v5
	v_mad_u64_u32 v[2:3], null, v6, 36, v[2:3]
	v_or_b32_e32 v6, 2, v5
	v_lshrrev_b32_e32 v28, 1, v6
	v_add_co_u32 v2, vcc_lo, s10, v2
	v_add_co_ci_u32_e64 v3, null, s11, v3, vcc_lo
	s_mov_b32 s10, 0x4040404
	s_waitcnt vmcnt(0)
	v_mul_lo_u32 v4, v4, s20
	v_mad_u64_u32 v[11:12], null, s1, s17, v[4:5]
	v_mad_u64_u32 v[12:13], null, s17, s0, v[4:5]
	v_add_co_u32 v13, vcc_lo, v2, 16
	v_add_co_ci_u32_e64 v14, null, 0, v3, vcc_lo
	s_branch .LBB84_4
.LBB84_3:                               ;   in Loop: Header=BB84_4 Depth=1
	s_or_b32 exec_lo, exec_lo, s11
	v_ashrrev_i32_e32 v35, 4, v19
	v_and_b32_e32 v37, 0x7070707, v19
	v_lshrrev_b32_e32 v19, 1, v19
	v_ashrrev_i32_e32 v24, 4, v20
	v_and_b32_e32 v43, 0x7070707, v16
	v_and_b32_e32 v40, 0x7070707, v35
	v_lshrrev_b32_e32 v35, 1, v35
	v_perm_b32 v41, s5, 0xfdfeff00, v37
	v_perm_b32 v37, s7, 0x3020100, v37
	v_and_or_b32 v19, v19, s10, 0x3020100
	v_perm_b32 v42, s5, 0xfdfeff00, v40
	v_perm_b32 v40, s7, 0x3020100, v40
	v_and_or_b32 v35, v35, s10, 0x3020100
	v_and_b32_e32 v36, 0x7070707, v24
	v_perm_b32 v19, v41, v37, v19
	v_mov_b32_e32 v37, 0
	v_ashrrev_i32_e32 v41, 4, v16
	v_perm_b32 v35, v42, v40, v35
	v_ashrrev_i32_e32 v40, 4, v15
	v_and_b32_e32 v42, 0x7070707, v15
	v_lshrrev_b32_e32 v15, 1, v15
	v_lshrrev_b32_e32 v16, 1, v16
	;; [unrolled: 1-line block ×3, first 2 shown]
	v_and_b32_e32 v44, 0x7070707, v40
	v_lshrrev_b32_e32 v40, 1, v40
	v_perm_b32 v45, s5, 0xfdfeff00, v42
	v_perm_b32 v42, s7, 0x3020100, v42
	v_and_or_b32 v15, v15, s10, 0x3020100
	v_dot4c_i32_i8 v37, v19, v3
	v_and_b32_e32 v19, 0x7070707, v41
	v_lshrrev_b32_e32 v41, 1, v41
	v_perm_b32 v46, s5, 0xfdfeff00, v44
	v_perm_b32 v44, s7, 0x3020100, v44
	v_and_or_b32 v40, v40, s10, 0x3020100
	v_perm_b32 v15, v45, v42, v15
	v_mov_b32_e32 v42, 0
	v_perm_b32 v45, s5, 0xfdfeff00, v43
	v_perm_b32 v43, s7, 0x3020100, v43
	v_and_or_b32 v16, v16, s10, 0x3020100
	v_and_b32_e32 v34, 0x7070707, v20
	v_perm_b32 v39, s5, 0xfdfeff00, v36
	v_perm_b32 v36, s7, 0x3020100, v36
	v_and_or_b32 v24, v24, s10, 0x3020100
	v_lshrrev_b32_e32 v20, 1, v20
	v_perm_b32 v40, v46, v44, v40
	v_dot4c_i32_i8 v42, v15, v7
	v_perm_b32 v15, s5, 0xfdfeff00, v19
	v_perm_b32 v19, s7, 0x3020100, v19
	v_and_or_b32 v41, v41, s10, 0x3020100
	v_perm_b32 v16, v45, v43, v16
	v_ashrrev_i32_e32 v43, 4, v17
	v_and_b32_e32 v44, 0x7070707, v17
	v_lshrrev_b32_e32 v17, 1, v17
	v_perm_b32 v38, s5, 0xfdfeff00, v34
	v_perm_b32 v34, s7, 0x3020100, v34
	v_and_or_b32 v20, v20, s10, 0x3020100
	v_dot4c_i32_i8 v42, v40, v9
	v_dot4c_i32_i8 v37, v35, v5
	v_perm_b32 v15, v15, v19, v41
	v_perm_b32 v19, v39, v36, v24
	s_waitcnt vmcnt(0)
	v_ashrrev_i32_e32 v35, 4, v21
	v_and_b32_e32 v36, 0x7070707, v21
	v_lshrrev_b32_e32 v21, 1, v21
	v_and_b32_e32 v46, 0x7070707, v43
	v_lshrrev_b32_e32 v43, 1, v43
	v_perm_b32 v47, s5, 0xfdfeff00, v44
	v_perm_b32 v44, s7, 0x3020100, v44
	v_and_or_b32 v17, v17, s10, 0x3020100
	v_perm_b32 v20, v38, v34, v20
	v_dot4c_i32_i8 v42, v16, v8
	v_and_b32_e32 v38, 0x7070707, v35
	v_lshrrev_b32_e32 v35, 1, v35
	v_perm_b32 v39, s5, 0xfdfeff00, v36
	v_perm_b32 v36, s7, 0x3020100, v36
	v_and_or_b32 v21, v21, s10, 0x3020100
	v_ashrrev_i32_e32 v41, 4, v18
	v_and_b32_e32 v45, 0x7070707, v18
	v_lshrrev_b32_e32 v18, 1, v18
	v_perm_b32 v48, s5, 0xfdfeff00, v46
	v_perm_b32 v46, s7, 0x3020100, v46
	v_and_or_b32 v43, v43, s10, 0x3020100
	v_perm_b32 v17, v47, v44, v17
	v_mov_b32_e32 v44, 0
	v_ashrrev_i32_e32 v34, 4, v22
	v_dot4c_i32_i8 v42, v15, v2
	v_and_b32_e32 v15, 0x7070707, v22
	v_lshrrev_b32_e32 v22, 1, v22
	v_perm_b32 v40, s5, 0xfdfeff00, v38
	v_perm_b32 v38, s7, 0x3020100, v38
	v_and_or_b32 v35, v35, s10, 0x3020100
	v_perm_b32 v21, v39, v36, v21
	v_mov_b32_e32 v36, 0
	v_and_b32_e32 v39, 0x7070707, v41
	v_lshrrev_b32_e32 v41, 1, v41
	v_perm_b32 v47, s5, 0xfdfeff00, v45
	v_perm_b32 v45, s7, 0x3020100, v45
	v_and_or_b32 v18, v18, s10, 0x3020100
	v_perm_b32 v43, v48, v46, v43
	v_dot4c_i32_i8 v44, v17, v7
	v_and_b32_e32 v16, 0x7070707, v34
	v_lshrrev_b32_e32 v24, 1, v34
	v_perm_b32 v34, s5, 0xfdfeff00, v15
	v_perm_b32 v15, s7, 0x3020100, v15
	v_and_or_b32 v22, v22, s10, 0x3020100
	v_perm_b32 v7, s5, 0xfdfeff00, v39
	v_perm_b32 v17, s7, 0x3020100, v39
	v_and_or_b32 v39, v41, s10, 0x3020100
	v_perm_b32 v18, v47, v45, v18
	v_dot4c_i32_i8 v44, v43, v9
	v_perm_b32 v9, v40, v38, v35
	v_dot4c_i32_i8 v36, v21, v3
	v_dot4c_i32_i8 v37, v20, v4
	v_perm_b32 v20, s5, 0xfdfeff00, v16
	v_perm_b32 v16, s7, 0x3020100, v16
	v_and_or_b32 v3, v24, s10, 0x3020100
	v_perm_b32 v7, v7, v17, v39
	v_dot4c_i32_i8 v44, v18, v8
	v_perm_b32 v8, v34, v15, v22
	v_dot4c_i32_i8 v36, v9, v5
	v_cvt_f32_f16_e32 v6, v6
	v_cvt_f32_i32_e32 v9, v42
	v_dot4c_i32_i8 v44, v7, v2
	v_perm_b32 v2, v20, v16, v3
	v_dot4c_i32_i8 v36, v8, v4
	v_mul_f32_e32 v5, v31, v6
	v_dot4c_i32_i8 v37, v19, v30
	v_mul_f32_e32 v3, v33, v6
	v_cvt_f32_i32_e32 v4, v44
	v_dot4c_i32_i8 v36, v2, v30
	v_fma_f32 v5, v5, v9, 0
	v_mul_f32_e32 v2, v32, v6
	v_cvt_f32_i32_e32 v7, v37
	v_fma_f32 v3, v3, v4, 0
	v_mul_f32_e32 v4, v23, v6
	v_cvt_f32_i32_e32 v6, v36
	v_add_nc_u32_e32 v25, 16, v25
	v_fmac_f32_e32 v5, v2, v7
	v_add_co_u32 v13, s0, 0x480, v13
	v_fmac_f32_e32 v3, v4, v6
	v_cmp_le_u32_e32 vcc_lo, s3, v25
	v_add_f32_e32 v10, v10, v5
	v_add_co_ci_u32_e64 v14, null, 0, v14, s0
	v_add_f32_e32 v26, v26, v3
	s_or_b32 s4, vcc_lo, s4
	s_andn2_b32 exec_lo, exec_lo, s4
	s_cbranch_execz .LBB84_28
.LBB84_4:                               ; =>This Inner Loop Header: Depth=1
	v_add_nc_u32_e32 v2, v11, v25
	s_mov_b32 s0, 0
	s_mov_b32 s11, exec_lo
	v_mad_i64_i32 v[17:18], null, v2, 36, s[8:9]
	v_add_co_u32 v2, vcc_lo, v17, v27
	v_add_co_ci_u32_e64 v3, null, 0, v18, vcc_lo
	v_add_co_u32 v19, vcc_lo, v17, v29
	v_add_co_ci_u32_e64 v20, null, 0, v18, vcc_lo
	s_clause 0x1
	global_load_ubyte v21, v[2:3], off
	global_load_dwordx2 v[15:16], v[19:20], off offset:4
	s_clause 0x2
	global_load_dword v30, v[13:14], off offset:16
	global_load_dwordx4 v[2:5], v[13:14], off
	global_load_dwordx4 v[6:9], v[13:14], off offset:-16
	s_waitcnt vmcnt(4)
	v_cmpx_lt_i16_e32 0x7e, v21
	s_xor_b32 s11, exec_lo, s11
	s_cbranch_execnz .LBB84_19
; %bb.5:                                ;   in Loop: Header=BB84_4 Depth=1
	s_andn2_saveexec_b32 s11, s11
	s_cbranch_execnz .LBB84_20
.LBB84_6:                               ;   in Loop: Header=BB84_4 Depth=1
	s_or_b32 exec_lo, exec_lo, s11
	v_mov_b32_e32 v31, 0
	s_and_saveexec_b32 s11, s0
	s_cbranch_execz .LBB84_8
.LBB84_7:                               ;   in Loop: Header=BB84_4 Depth=1
	v_and_b32_e32 v21, 0xffff, v21
	v_and_b32_e32 v22, 7, v21
	v_bfe_u32 v21, v21, 3, 4
	v_cvt_f32_ubyte0_e32 v22, v22
	v_add_nc_u32_e32 v23, -7, v21
	v_cmp_eq_u32_e32 vcc_lo, 0, v21
	v_fma_f32 v24, 0x3e000000, v22, 1.0
	v_cndmask_b32_e32 v21, v24, v22, vcc_lo
	v_cndmask_b32_e64 v22, v23, -9, vcc_lo
	v_ldexp_f32 v21, v21, v22
	v_mul_f32_e32 v31, 0.5, v21
.LBB84_8:                               ;   in Loop: Header=BB84_4 Depth=1
	s_or_b32 exec_lo, exec_lo, s11
	v_add_co_u32 v17, vcc_lo, v17, v28
	v_add_co_ci_u32_e64 v18, null, 0, v18, vcc_lo
	s_mov_b32 s0, 0
	s_mov_b32 s11, exec_lo
	s_clause 0x1
	global_load_ubyte v17, v[17:18], off
	global_load_dwordx2 v[19:20], v[19:20], off offset:12
	s_waitcnt vmcnt(1)
	v_cmpx_lt_i16_e32 0x7e, v17
	s_xor_b32 s11, exec_lo, s11
	s_cbranch_execnz .LBB84_21
; %bb.9:                                ;   in Loop: Header=BB84_4 Depth=1
	s_andn2_saveexec_b32 s11, s11
	s_cbranch_execnz .LBB84_22
.LBB84_10:                              ;   in Loop: Header=BB84_4 Depth=1
	s_or_b32 exec_lo, exec_lo, s11
	v_mov_b32_e32 v32, 0
	s_and_saveexec_b32 s11, s0
	s_cbranch_execz .LBB84_12
.LBB84_11:                              ;   in Loop: Header=BB84_4 Depth=1
	v_and_b32_e32 v17, 0xffff, v17
	v_and_b32_e32 v18, 7, v17
	v_bfe_u32 v17, v17, 3, 4
	v_cvt_f32_ubyte0_e32 v18, v18
	v_add_nc_u32_e32 v21, -7, v17
	v_cmp_eq_u32_e32 vcc_lo, 0, v17
	v_fma_f32 v22, 0x3e000000, v18, 1.0
	v_cndmask_b32_e32 v17, v22, v18, vcc_lo
	v_cndmask_b32_e64 v18, v21, -9, vcc_lo
	v_ldexp_f32 v17, v17, v18
	v_mul_f32_e32 v32, 0.5, v17
.LBB84_12:                              ;   in Loop: Header=BB84_4 Depth=1
	s_or_b32 exec_lo, exec_lo, s11
	v_add_nc_u32_e32 v17, v12, v25
	s_mov_b32 s0, 0
	s_mov_b32 s11, exec_lo
	v_mad_i64_i32 v[21:22], null, v17, 36, s[8:9]
	v_add_co_u32 v17, vcc_lo, v21, v27
	v_add_co_ci_u32_e64 v18, null, 0, v22, vcc_lo
	v_add_co_u32 v23, vcc_lo, v21, v29
	v_add_co_ci_u32_e64 v24, null, 0, v22, vcc_lo
	s_clause 0x1
	global_load_ubyte v34, v[17:18], off
	global_load_dwordx2 v[17:18], v[23:24], off offset:4
	s_waitcnt vmcnt(1)
	v_cmpx_lt_i16_e32 0x7e, v34
	s_xor_b32 s11, exec_lo, s11
	s_cbranch_execnz .LBB84_23
; %bb.13:                               ;   in Loop: Header=BB84_4 Depth=1
	s_andn2_saveexec_b32 s11, s11
	s_cbranch_execnz .LBB84_24
.LBB84_14:                              ;   in Loop: Header=BB84_4 Depth=1
	s_or_b32 exec_lo, exec_lo, s11
	v_mov_b32_e32 v33, 0
	s_and_saveexec_b32 s11, s0
	s_cbranch_execz .LBB84_16
.LBB84_15:                              ;   in Loop: Header=BB84_4 Depth=1
	v_and_b32_e32 v33, 0xffff, v34
	v_and_b32_e32 v34, 7, v33
	v_bfe_u32 v33, v33, 3, 4
	v_cvt_f32_ubyte0_e32 v34, v34
	v_add_nc_u32_e32 v35, -7, v33
	v_cmp_eq_u32_e32 vcc_lo, 0, v33
	v_fma_f32 v36, 0x3e000000, v34, 1.0
	v_cndmask_b32_e32 v33, v36, v34, vcc_lo
	v_cndmask_b32_e64 v34, v35, -9, vcc_lo
	v_ldexp_f32 v33, v33, v34
	v_mul_f32_e32 v33, 0.5, v33
.LBB84_16:                              ;   in Loop: Header=BB84_4 Depth=1
	s_or_b32 exec_lo, exec_lo, s11
	v_add_co_u32 v21, vcc_lo, v21, v28
	v_add_co_ci_u32_e64 v22, null, 0, v22, vcc_lo
	s_mov_b32 s0, 0
	s_mov_b32 s11, exec_lo
	s_clause 0x1
	global_load_ubyte v34, v[21:22], off
	global_load_dwordx2 v[21:22], v[23:24], off offset:12
	s_waitcnt vmcnt(1)
	v_cmpx_lt_i16_e32 0x7e, v34
	s_xor_b32 s11, exec_lo, s11
	s_cbranch_execnz .LBB84_25
; %bb.17:                               ;   in Loop: Header=BB84_4 Depth=1
	s_andn2_saveexec_b32 s11, s11
	s_cbranch_execnz .LBB84_26
.LBB84_18:                              ;   in Loop: Header=BB84_4 Depth=1
	s_or_b32 exec_lo, exec_lo, s11
	v_mov_b32_e32 v23, 0
	s_and_saveexec_b32 s11, s0
	s_cbranch_execz .LBB84_3
	s_branch .LBB84_27
.LBB84_19:                              ;   in Loop: Header=BB84_4 Depth=1
	v_cmp_ne_u16_e32 vcc_lo, 0x7f, v21
	s_and_b32 s0, vcc_lo, exec_lo
	s_andn2_saveexec_b32 s11, s11
	s_cbranch_execz .LBB84_6
.LBB84_20:                              ;   in Loop: Header=BB84_4 Depth=1
	v_cmp_ne_u16_e32 vcc_lo, 0, v21
	s_andn2_b32 s0, s0, exec_lo
	s_and_b32 s12, vcc_lo, exec_lo
	s_or_b32 s0, s0, s12
	s_or_b32 exec_lo, exec_lo, s11
	v_mov_b32_e32 v31, 0
	s_and_saveexec_b32 s11, s0
	s_cbranch_execnz .LBB84_7
	s_branch .LBB84_8
.LBB84_21:                              ;   in Loop: Header=BB84_4 Depth=1
	v_cmp_ne_u16_e32 vcc_lo, 0x7f, v17
	s_and_b32 s0, vcc_lo, exec_lo
	s_andn2_saveexec_b32 s11, s11
	s_cbranch_execz .LBB84_10
.LBB84_22:                              ;   in Loop: Header=BB84_4 Depth=1
	v_cmp_ne_u16_e32 vcc_lo, 0, v17
	s_andn2_b32 s0, s0, exec_lo
	s_and_b32 s12, vcc_lo, exec_lo
	s_or_b32 s0, s0, s12
	s_or_b32 exec_lo, exec_lo, s11
	v_mov_b32_e32 v32, 0
	s_and_saveexec_b32 s11, s0
	s_cbranch_execnz .LBB84_11
	s_branch .LBB84_12
.LBB84_23:                              ;   in Loop: Header=BB84_4 Depth=1
	v_cmp_ne_u16_e32 vcc_lo, 0x7f, v34
	s_and_b32 s0, vcc_lo, exec_lo
	s_andn2_saveexec_b32 s11, s11
	s_cbranch_execz .LBB84_14
.LBB84_24:                              ;   in Loop: Header=BB84_4 Depth=1
	v_cmp_ne_u16_e32 vcc_lo, 0, v34
	s_andn2_b32 s0, s0, exec_lo
	s_and_b32 s12, vcc_lo, exec_lo
	s_or_b32 s0, s0, s12
	s_or_b32 exec_lo, exec_lo, s11
	v_mov_b32_e32 v33, 0
	s_and_saveexec_b32 s11, s0
	s_cbranch_execnz .LBB84_15
	s_branch .LBB84_16
.LBB84_25:                              ;   in Loop: Header=BB84_4 Depth=1
	v_cmp_ne_u16_e32 vcc_lo, 0x7f, v34
	s_and_b32 s0, vcc_lo, exec_lo
	s_andn2_saveexec_b32 s11, s11
	s_cbranch_execz .LBB84_18
.LBB84_26:                              ;   in Loop: Header=BB84_4 Depth=1
	v_cmp_ne_u16_e32 vcc_lo, 0, v34
	s_andn2_b32 s0, s0, exec_lo
	s_and_b32 s12, vcc_lo, exec_lo
	s_or_b32 s0, s0, s12
	s_or_b32 exec_lo, exec_lo, s11
	v_mov_b32_e32 v23, 0
	s_and_saveexec_b32 s11, s0
	s_cbranch_execz .LBB84_3
.LBB84_27:                              ;   in Loop: Header=BB84_4 Depth=1
	v_and_b32_e32 v23, 0xffff, v34
	v_and_b32_e32 v24, 7, v23
	v_bfe_u32 v23, v23, 3, 4
	v_cvt_f32_ubyte0_e32 v24, v24
	v_add_nc_u32_e32 v34, -7, v23
	v_cmp_eq_u32_e32 vcc_lo, 0, v23
	v_fma_f32 v35, 0x3e000000, v24, 1.0
	v_cndmask_b32_e32 v23, v35, v24, vcc_lo
	v_cndmask_b32_e64 v24, v34, -9, vcc_lo
	v_ldexp_f32 v23, v23, v24
	v_mul_f32_e32 v23, 0.5, v23
	s_branch .LBB84_3
.LBB84_28:
	s_or_b32 exec_lo, exec_lo, s4
.LBB84_29:
	s_or_b32 exec_lo, exec_lo, s6
	v_mbcnt_lo_u32_b32 v2, -1, 0
	v_xor_b32_e32 v3, 16, v2
	v_xor_b32_e32 v5, 8, v2
	;; [unrolled: 1-line block ×3, first 2 shown]
	v_cmp_gt_i32_e32 vcc_lo, 32, v3
	v_cndmask_b32_e32 v3, v2, v3, vcc_lo
	v_cmp_gt_i32_e32 vcc_lo, 32, v5
	v_lshlrev_b32_e32 v3, 2, v3
	v_cndmask_b32_e32 v5, v2, v5, vcc_lo
	v_cmp_gt_i32_e32 vcc_lo, 32, v7
	ds_bpermute_b32 v4, v3, v10
	ds_bpermute_b32 v3, v3, v26
	v_lshlrev_b32_e32 v5, 2, v5
	v_cndmask_b32_e32 v7, v2, v7, vcc_lo
	v_lshlrev_b32_e32 v7, 2, v7
	s_waitcnt lgkmcnt(1)
	v_add_f32_e32 v4, v10, v4
	s_waitcnt lgkmcnt(0)
	v_add_f32_e32 v3, v26, v3
	ds_bpermute_b32 v6, v5, v4
	ds_bpermute_b32 v5, v5, v3
	s_waitcnt lgkmcnt(1)
	v_add_f32_e32 v4, v4, v6
	s_waitcnt lgkmcnt(0)
	v_add_f32_e32 v3, v3, v5
	ds_bpermute_b32 v5, v7, v4
	ds_bpermute_b32 v6, v7, v3
	v_xor_b32_e32 v7, 2, v2
	v_cmp_gt_i32_e32 vcc_lo, 32, v7
	v_cndmask_b32_e32 v7, v2, v7, vcc_lo
	v_lshlrev_b32_e32 v7, 2, v7
	s_waitcnt lgkmcnt(1)
	v_add_f32_e32 v4, v4, v5
	s_waitcnt lgkmcnt(0)
	v_add_f32_e32 v3, v3, v6
	ds_bpermute_b32 v5, v7, v4
	ds_bpermute_b32 v6, v7, v3
	v_xor_b32_e32 v7, 1, v2
	v_cmp_gt_i32_e32 vcc_lo, 32, v7
	v_cndmask_b32_e32 v2, v2, v7, vcc_lo
	v_cmp_gt_u32_e32 vcc_lo, 2, v0
	v_lshlrev_b32_e32 v7, 2, v2
	s_waitcnt lgkmcnt(1)
	v_add_f32_e32 v2, v4, v5
	s_waitcnt lgkmcnt(0)
	v_add_f32_e32 v3, v3, v6
	v_add_nc_u32_e32 v6, s1, v0
	ds_bpermute_b32 v4, v7, v2
	ds_bpermute_b32 v5, v7, v3
	v_cmp_gt_u32_e64 s0, s16, v6
	s_and_b32 s0, vcc_lo, s0
	s_and_b32 exec_lo, exec_lo, s0
	s_cbranch_execz .LBB84_31
; %bb.30:
	v_mul_lo_u32 v1, s19, v1
	v_or_b32_e32 v6, s1, v0
	s_mul_i32 s0, s22, s2
	v_mov_b32_e32 v7, 0
	s_waitcnt lgkmcnt(1)
	v_add_f32_e32 v4, v2, v4
	s_waitcnt lgkmcnt(0)
	v_add_f32_e32 v3, v3, v5
	v_cmp_eq_u32_e32 vcc_lo, 1, v0
	v_add3_u32 v6, v6, v1, s0
	v_cndmask_b32_e32 v3, v4, v3, vcc_lo
	v_lshlrev_b64 v[1:2], 2, v[6:7]
	v_add_co_u32 v0, vcc_lo, s14, v1
	v_add_co_ci_u32_e64 v1, null, s15, v2, vcc_lo
	global_store_dword v[0:1], v3, off
.LBB84_31:
	s_endpgm
	.section	.rodata,"a",@progbits
	.p2align	6, 0x0
	.amdhsa_kernel _ZL17mul_mat_vec_q_moeIL9ggml_type40ELi2EEvPKvS2_PKiPfj15HIP_vector_typeIjLj3EEjjjjjjjjj
		.amdhsa_group_segment_fixed_size 0
		.amdhsa_private_segment_fixed_size 0
		.amdhsa_kernarg_size 84
		.amdhsa_user_sgpr_count 6
		.amdhsa_user_sgpr_private_segment_buffer 1
		.amdhsa_user_sgpr_dispatch_ptr 0
		.amdhsa_user_sgpr_queue_ptr 0
		.amdhsa_user_sgpr_kernarg_segment_ptr 1
		.amdhsa_user_sgpr_dispatch_id 0
		.amdhsa_user_sgpr_flat_scratch_init 0
		.amdhsa_user_sgpr_private_segment_size 0
		.amdhsa_wavefront_size32 1
		.amdhsa_uses_dynamic_stack 0
		.amdhsa_system_sgpr_private_segment_wavefront_offset 0
		.amdhsa_system_sgpr_workgroup_id_x 1
		.amdhsa_system_sgpr_workgroup_id_y 1
		.amdhsa_system_sgpr_workgroup_id_z 0
		.amdhsa_system_sgpr_workgroup_info 0
		.amdhsa_system_vgpr_workitem_id 1
		.amdhsa_next_free_vgpr 49
		.amdhsa_next_free_sgpr 28
		.amdhsa_reserve_vcc 1
		.amdhsa_reserve_flat_scratch 0
		.amdhsa_float_round_mode_32 0
		.amdhsa_float_round_mode_16_64 0
		.amdhsa_float_denorm_mode_32 3
		.amdhsa_float_denorm_mode_16_64 3
		.amdhsa_dx10_clamp 1
		.amdhsa_ieee_mode 1
		.amdhsa_fp16_overflow 0
		.amdhsa_workgroup_processor_mode 1
		.amdhsa_memory_ordered 1
		.amdhsa_forward_progress 1
		.amdhsa_shared_vgpr_count 0
		.amdhsa_exception_fp_ieee_invalid_op 0
		.amdhsa_exception_fp_denorm_src 0
		.amdhsa_exception_fp_ieee_div_zero 0
		.amdhsa_exception_fp_ieee_overflow 0
		.amdhsa_exception_fp_ieee_underflow 0
		.amdhsa_exception_fp_ieee_inexact 0
		.amdhsa_exception_int_div_zero 0
	.end_amdhsa_kernel
	.section	.text._ZL17mul_mat_vec_q_moeIL9ggml_type40ELi2EEvPKvS2_PKiPfj15HIP_vector_typeIjLj3EEjjjjjjjjj,"axG",@progbits,_ZL17mul_mat_vec_q_moeIL9ggml_type40ELi2EEvPKvS2_PKiPfj15HIP_vector_typeIjLj3EEjjjjjjjjj,comdat
.Lfunc_end84:
	.size	_ZL17mul_mat_vec_q_moeIL9ggml_type40ELi2EEvPKvS2_PKiPfj15HIP_vector_typeIjLj3EEjjjjjjjjj, .Lfunc_end84-_ZL17mul_mat_vec_q_moeIL9ggml_type40ELi2EEvPKvS2_PKiPfj15HIP_vector_typeIjLj3EEjjjjjjjjj
                                        ; -- End function
	.set _ZL17mul_mat_vec_q_moeIL9ggml_type40ELi2EEvPKvS2_PKiPfj15HIP_vector_typeIjLj3EEjjjjjjjjj.num_vgpr, 49
	.set _ZL17mul_mat_vec_q_moeIL9ggml_type40ELi2EEvPKvS2_PKiPfj15HIP_vector_typeIjLj3EEjjjjjjjjj.num_agpr, 0
	.set _ZL17mul_mat_vec_q_moeIL9ggml_type40ELi2EEvPKvS2_PKiPfj15HIP_vector_typeIjLj3EEjjjjjjjjj.numbered_sgpr, 28
	.set _ZL17mul_mat_vec_q_moeIL9ggml_type40ELi2EEvPKvS2_PKiPfj15HIP_vector_typeIjLj3EEjjjjjjjjj.num_named_barrier, 0
	.set _ZL17mul_mat_vec_q_moeIL9ggml_type40ELi2EEvPKvS2_PKiPfj15HIP_vector_typeIjLj3EEjjjjjjjjj.private_seg_size, 0
	.set _ZL17mul_mat_vec_q_moeIL9ggml_type40ELi2EEvPKvS2_PKiPfj15HIP_vector_typeIjLj3EEjjjjjjjjj.uses_vcc, 1
	.set _ZL17mul_mat_vec_q_moeIL9ggml_type40ELi2EEvPKvS2_PKiPfj15HIP_vector_typeIjLj3EEjjjjjjjjj.uses_flat_scratch, 0
	.set _ZL17mul_mat_vec_q_moeIL9ggml_type40ELi2EEvPKvS2_PKiPfj15HIP_vector_typeIjLj3EEjjjjjjjjj.has_dyn_sized_stack, 0
	.set _ZL17mul_mat_vec_q_moeIL9ggml_type40ELi2EEvPKvS2_PKiPfj15HIP_vector_typeIjLj3EEjjjjjjjjj.has_recursion, 0
	.set _ZL17mul_mat_vec_q_moeIL9ggml_type40ELi2EEvPKvS2_PKiPfj15HIP_vector_typeIjLj3EEjjjjjjjjj.has_indirect_call, 0
	.section	.AMDGPU.csdata,"",@progbits
; Kernel info:
; codeLenInByte = 2784
; TotalNumSgprs: 30
; NumVgprs: 49
; ScratchSize: 0
; MemoryBound: 0
; FloatMode: 240
; IeeeMode: 1
; LDSByteSize: 0 bytes/workgroup (compile time only)
; SGPRBlocks: 0
; VGPRBlocks: 6
; NumSGPRsForWavesPerEU: 30
; NumVGPRsForWavesPerEU: 49
; Occupancy: 16
; WaveLimiterHint : 1
; COMPUTE_PGM_RSRC2:SCRATCH_EN: 0
; COMPUTE_PGM_RSRC2:USER_SGPR: 6
; COMPUTE_PGM_RSRC2:TRAP_HANDLER: 0
; COMPUTE_PGM_RSRC2:TGID_X_EN: 1
; COMPUTE_PGM_RSRC2:TGID_Y_EN: 1
; COMPUTE_PGM_RSRC2:TGID_Z_EN: 0
; COMPUTE_PGM_RSRC2:TIDIG_COMP_CNT: 1
	.section	.text._ZL13mul_mat_vec_qIL9ggml_type40ELi1ELb1ELb1EEvPKvS2_PKi31ggml_cuda_mm_fusion_args_devicePfj15HIP_vector_typeIjLj3EEjjjS8_jjjS8_jjjj,"axG",@progbits,_ZL13mul_mat_vec_qIL9ggml_type40ELi1ELb1ELb1EEvPKvS2_PKi31ggml_cuda_mm_fusion_args_devicePfj15HIP_vector_typeIjLj3EEjjjS8_jjjS8_jjjj,comdat
	.globl	_ZL13mul_mat_vec_qIL9ggml_type40ELi1ELb1ELb1EEvPKvS2_PKi31ggml_cuda_mm_fusion_args_devicePfj15HIP_vector_typeIjLj3EEjjjS8_jjjS8_jjjj ; -- Begin function _ZL13mul_mat_vec_qIL9ggml_type40ELi1ELb1ELb1EEvPKvS2_PKi31ggml_cuda_mm_fusion_args_devicePfj15HIP_vector_typeIjLj3EEjjjS8_jjjS8_jjjj
	.p2align	8
	.type	_ZL13mul_mat_vec_qIL9ggml_type40ELi1ELb1ELb1EEvPKvS2_PKi31ggml_cuda_mm_fusion_args_devicePfj15HIP_vector_typeIjLj3EEjjjS8_jjjS8_jjjj,@function
_ZL13mul_mat_vec_qIL9ggml_type40ELi1ELb1ELb1EEvPKvS2_PKi31ggml_cuda_mm_fusion_args_devicePfj15HIP_vector_typeIjLj3EEjjjS8_jjjS8_jjjj: ; @_ZL13mul_mat_vec_qIL9ggml_type40ELi1ELb1ELb1EEvPKvS2_PKi31ggml_cuda_mm_fusion_args_devicePfj15HIP_vector_typeIjLj3EEjjjS8_jjjS8_jjjj
; %bb.0:
	s_clause 0x3
	s_load_dwordx8 s[12:19], s[4:5], 0x0
	s_load_dwordx4 s[28:31], s[4:5], 0x20
	s_load_dwordx4 s[36:39], s[4:5], 0x40
	;; [unrolled: 1-line block ×3, first 2 shown]
	s_mov_b32 s10, s7
	s_waitcnt lgkmcnt(0)
	s_cmp_lg_u64 s[16:17], 0
	s_cselect_b32 s0, -1, 0
	s_cmp_eq_u64 s[16:17], 0
	s_cbranch_scc1 .LBB85_5
; %bb.1:
	s_mov_b32 s11, 0
	s_lshl_b64 s[2:3], s[10:11], 2
	s_add_u32 s2, s16, s2
	s_addc_u32 s3, s17, s3
	s_load_dword s33, s[2:3], 0x0
	s_clause 0x1
	s_load_dword s35, s[4:5], 0x50
	s_load_dword s34, s[4:5], 0x78
	s_cbranch_execnz .LBB85_3
.LBB85_2:
	s_load_dwordx2 s[2:3], s[4:5], 0x5c
	s_waitcnt lgkmcnt(0)
	s_mul_hi_u32 s1, s2, s10
	s_add_i32 s1, s10, s1
	s_lshr_b32 s33, s1, s3
.LBB85_3:
	s_andn2_b32 vcc_lo, exec_lo, s0
	s_cbranch_vccnz .LBB85_6
; %bb.4:
	s_mul_hi_u32 s0, s37, s10
	s_waitcnt lgkmcnt(0)
	s_mov_b32 s1, s33
	s_add_i32 s0, s10, s0
	s_lshr_b32 s0, s0, s38
	s_mul_i32 s0, s0, s39
	s_sub_i32 s11, s10, s0
	s_branch .LBB85_7
.LBB85_5:
                                        ; implicit-def: $sgpr33
	s_clause 0x1
	s_load_dword s35, s[4:5], 0x50
	s_load_dword s34, s[4:5], 0x78
	s_branch .LBB85_2
.LBB85_6:
	s_mov_b32 s1, s10
	s_mov_b32 s11, s10
.LBB85_7:
	s_load_dwordx4 s[24:27], s[4:5], 0x80
	v_or_b32_e32 v2, v0, v1
	s_cmp_lg_u64 s[18:19], 0
	v_mov_b32_e32 v22, 0
	v_mov_b32_e32 v23, 0
	s_cselect_b32 s0, -1, 0
	v_cmp_eq_u32_e32 vcc_lo, 0, v2
	s_mov_b32 s17, 0
	s_mul_i32 s2, s1, s22
	s_and_b32 s3, s0, vcc_lo
	s_and_saveexec_b32 s1, s3
	s_cbranch_execz .LBB85_9
; %bb.8:
	s_waitcnt lgkmcnt(0)
	s_mul_i32 s16, s26, s8
	s_mov_b32 s3, s17
	s_lshl_b64 s[38:39], s[16:17], 2
	v_lshlrev_b32_e32 v2, 2, v0
	s_add_u32 s7, s18, s38
	s_addc_u32 s9, s19, s39
	s_lshl_b64 s[16:17], s[2:3], 2
	s_add_u32 s3, s7, s16
	s_addc_u32 s9, s9, s17
	s_ashr_i32 s7, s6, 31
	s_lshl_b64 s[16:17], s[6:7], 2
	s_add_u32 s16, s3, s16
	s_addc_u32 s17, s9, s17
	global_load_dword v23, v2, s[16:17]
.LBB85_9:
	s_or_b32 exec_lo, exec_lo, s1
	s_cmp_lg_u64 s[28:29], 0
	s_cselect_b32 s9, -1, 0
	s_cmp_lg_u64 s[30:31], 0
	s_cselect_b32 s1, -1, 0
	s_and_b32 s3, s1, s9
	s_and_b32 s3, s3, vcc_lo
	s_and_saveexec_b32 s16, s3
	s_cbranch_execz .LBB85_11
; %bb.10:
	s_waitcnt lgkmcnt(0)
	s_mul_i32 s18, s26, s8
	s_mov_b32 s19, 0
	v_lshlrev_b32_e32 v2, 2, v0
	s_lshl_b64 s[38:39], s[18:19], 2
	s_mov_b32 s3, s19
	s_add_u32 s7, s30, s38
	s_addc_u32 s17, s31, s39
	s_lshl_b64 s[2:3], s[2:3], 2
	s_add_u32 s18, s7, s2
	s_addc_u32 s17, s17, s3
	s_ashr_i32 s7, s6, 31
	s_lshl_b64 s[2:3], s[6:7], 2
	s_add_u32 s2, s18, s2
	s_addc_u32 s3, s17, s3
	global_load_dword v22, v2, s[2:3]
.LBB85_11:
	s_or_b32 exec_lo, exec_lo, s16
	v_lshl_or_b32 v2, v1, 5, v0
	v_mov_b32_e32 v27, 0
	v_cndmask_b32_e64 v24, 0, 1, s9
	v_mov_b32_e32 v25, 0
	s_lshr_b32 s3, s36, 6
	v_lshrrev_b16 v3, 1, v2
	s_mov_b32 s7, exec_lo
	v_and_b32_e32 v26, 0xffff, v3
	v_cmpx_gt_u32_e64 s3, v26
	s_cbranch_execz .LBB85_41
; %bb.12:
	v_lshrrev_b32_e32 v2, 1, v2
	s_mul_i32 s2, s11, s21
	s_waitcnt lgkmcnt(0)
	s_mul_i32 s11, s25, s8
	s_mul_hi_u32 s17, s2, 36
	s_mul_i32 s16, s2, 36
	v_and_b32_e32 v5, 1, v0
	v_mad_u64_u32 v[2:3], null, 0x48, v2, s[16:17]
	v_lshlrev_b32_e32 v4, 2, v0
	s_mul_hi_u32 s2, s23, s8
	s_mul_i32 s35, s35, s6
	s_add_i32 s2, s8, s2
	v_mov_b32_e32 v28, 0
	v_and_b32_e32 v4, 4, v4
	v_mad_u64_u32 v[2:3], null, s11, 36, v[2:3]
	s_lshr_b32 s2, s2, s34
	v_mov_b32_e32 v32, 0x7e
	s_mul_i32 s2, s2, s24
	v_lshrrev_b32_e32 v29, 1, v4
	v_lshlrev_b32_e32 v31, 2, v4
	v_mov_b32_e32 v33, 0x7f
	v_mad_u64_u32 v[2:3], null, v5, 36, v[2:3]
	v_or_b32_e32 v5, 2, v4
	v_mov_b32_e32 v34, 0xffff
	v_mov_b32_e32 v27, 0
	v_mov_b32_e32 v25, 0
	s_mul_i32 s16, s33, s20
	v_lshrrev_b32_e32 v30, 1, v5
	v_add_co_u32 v2, vcc_lo, s14, v2
	v_add_co_ci_u32_e64 v3, null, s15, v3, vcc_lo
	s_add_i32 s2, s2, s35
	v_add_co_u32 v14, vcc_lo, v2, 16
	v_add_co_ci_u32_e64 v15, null, 0, v3, vcc_lo
	s_mov_b32 s11, 0
	s_add_i32 s16, s16, s2
	s_mov_b32 s14, 0xf4f8fafc
	s_mov_b32 s15, 0xc080604
	;; [unrolled: 1-line block ×3, first 2 shown]
	s_branch .LBB85_15
.LBB85_13:                              ;   in Loop: Header=BB85_15 Depth=1
	s_or_b32 exec_lo, exec_lo, s18
	v_ashrrev_i32_e32 v49, 4, v16
	v_and_b32_e32 v50, 0x7070707, v16
	v_lshrrev_b32_e32 v16, 1, v16
	s_waitcnt vmcnt(0)
	v_ashrrev_i32_e32 v40, 4, v18
	v_and_b32_e32 v42, 0x7070707, v18
	v_lshrrev_b32_e32 v18, 1, v18
	v_and_b32_e32 v52, 0x7070707, v49
	v_lshrrev_b32_e32 v49, 1, v49
	v_perm_b32 v53, s14, 0xfdfeff00, v50
	v_perm_b32 v50, s15, 0x3020100, v50
	v_and_or_b32 v16, v16, s17, 0x3020100
	v_and_b32_e32 v45, 0x7070707, v40
	v_lshrrev_b32_e32 v40, 1, v40
	v_perm_b32 v46, s14, 0xfdfeff00, v42
	v_perm_b32 v42, s15, 0x3020100, v42
	v_and_or_b32 v18, v18, s17, 0x3020100
	v_ashrrev_i32_e32 v48, 4, v17
	v_and_b32_e32 v51, 0x7070707, v17
	v_lshrrev_b32_e32 v17, 1, v17
	v_perm_b32 v54, s14, 0xfdfeff00, v52
	v_perm_b32 v52, s15, 0x3020100, v52
	v_and_or_b32 v49, v49, s17, 0x3020100
	v_perm_b32 v16, v53, v50, v16
	v_mov_b32_e32 v50, 0
	v_ashrrev_i32_e32 v21, 4, v19
	v_and_b32_e32 v39, 0x7070707, v19
	v_lshrrev_b32_e32 v19, 1, v19
	v_perm_b32 v47, s14, 0xfdfeff00, v45
	v_perm_b32 v45, s15, 0x3020100, v45
	v_and_or_b32 v40, v40, s17, 0x3020100
	v_perm_b32 v18, v46, v42, v18
	v_mov_b32_e32 v42, 0
	v_and_b32_e32 v46, 0x7070707, v48
	v_lshrrev_b32_e32 v48, 1, v48
	v_perm_b32 v53, s14, 0xfdfeff00, v51
	v_perm_b32 v51, s15, 0x3020100, v51
	v_and_or_b32 v17, v17, s17, 0x3020100
	v_perm_b32 v49, v54, v52, v49
	v_dot4c_i32_i8 v50, v16, v7
	v_and_b32_e32 v41, 0x7070707, v21
	v_lshrrev_b32_e32 v21, 1, v21
	v_perm_b32 v43, s14, 0xfdfeff00, v39
	v_perm_b32 v39, s15, 0x3020100, v39
	v_and_or_b32 v19, v19, s17, 0x3020100
	v_perm_b32 v16, s14, 0xfdfeff00, v46
	v_perm_b32 v46, s15, 0x3020100, v46
	v_and_or_b32 v48, v48, s17, 0x3020100
	v_perm_b32 v17, v53, v51, v17
	v_dot4c_i32_i8 v50, v49, v9
	v_perm_b32 v40, v47, v45, v40
	v_dot4c_i32_i8 v42, v18, v3
	v_perm_b32 v44, s14, 0xfdfeff00, v41
	v_perm_b32 v41, s15, 0x3020100, v41
	v_and_or_b32 v18, v21, s17, 0x3020100
	v_perm_b32 v16, v16, v46, v48
	v_dot4c_i32_i8 v50, v17, v8
	v_perm_b32 v17, v43, v39, v19
	v_dot4c_i32_i8 v42, v40, v5
	v_dot4c_i32_i8 v50, v16, v2
	v_perm_b32 v16, v44, v41, v18
	v_dot4c_i32_i8 v42, v17, v4
	v_mul_f32_e32 v17, v38, v6
	v_cvt_f32_i32_e32 v18, v50
	v_dot4c_i32_i8 v42, v16, v35
	v_fma_f32 v16, v17, v18, 0
	v_mul_f32_e32 v17, v20, v6
	v_cvt_f32_i32_e32 v18, v42
	v_fmac_f32_e32 v16, v17, v18
	v_add_f32_e32 v25, v25, v16
.LBB85_14:                              ;   in Loop: Header=BB85_15 Depth=1
	v_ashrrev_i32_e32 v18, 4, v12
	v_and_b32_e32 v19, 0x7070707, v12
	v_lshrrev_b32_e32 v12, 1, v12
	v_ashrrev_i32_e32 v16, 4, v13
	v_and_b32_e32 v17, 0x7070707, v13
	v_and_b32_e32 v38, 0x7070707, v18
	v_lshrrev_b32_e32 v18, 1, v18
	v_perm_b32 v40, s14, 0xfdfeff00, v19
	v_perm_b32 v19, s15, 0x3020100, v19
	v_and_or_b32 v12, v12, s17, 0x3020100
	v_perm_b32 v41, s14, 0xfdfeff00, v38
	v_perm_b32 v38, s15, 0x3020100, v38
	v_and_or_b32 v18, v18, s17, 0x3020100
	v_lshrrev_b32_e32 v13, 1, v13
	v_perm_b32 v12, v40, v19, v12
	v_mov_b32_e32 v19, 0
	v_ashrrev_i32_e32 v40, 4, v11
	v_perm_b32 v18, v41, v38, v18
	v_and_b32_e32 v41, 0x7070707, v11
	v_lshrrev_b32_e32 v11, 1, v11
	v_dot4c_i32_i8 v19, v12, v3
	v_and_b32_e32 v3, 0x7070707, v40
	v_ashrrev_i32_e32 v12, 4, v10
	v_lshrrev_b32_e32 v38, 1, v40
	v_and_b32_e32 v40, 0x7070707, v10
	v_lshrrev_b32_e32 v10, 1, v10
	v_and_or_b32 v11, v11, s17, 0x3020100
	v_and_b32_e32 v42, 0x7070707, v12
	v_lshrrev_b32_e32 v12, 1, v12
	v_perm_b32 v43, s14, 0xfdfeff00, v40
	v_perm_b32 v40, s15, 0x3020100, v40
	v_and_or_b32 v10, v10, s17, 0x3020100
	v_perm_b32 v44, s14, 0xfdfeff00, v42
	v_perm_b32 v42, s15, 0x3020100, v42
	v_and_or_b32 v12, v12, s17, 0x3020100
	v_and_b32_e32 v20, 0x7070707, v16
	v_perm_b32 v10, v43, v40, v10
	v_mov_b32_e32 v40, 0
	v_perm_b32 v43, s14, 0xfdfeff00, v41
	v_perm_b32 v41, s15, 0x3020100, v41
	;; [unrolled: 1-line block ×3, first 2 shown]
	v_lshrrev_b32_e32 v16, 1, v16
	v_dot4c_i32_i8 v40, v10, v7
	v_perm_b32 v21, s14, 0xfdfeff00, v17
	v_perm_b32 v17, s15, 0x3020100, v17
	v_and_or_b32 v13, v13, s17, 0x3020100
	v_perm_b32 v7, s14, 0xfdfeff00, v3
	v_perm_b32 v3, s15, 0x3020100, v3
	v_and_or_b32 v10, v38, s17, 0x3020100
	v_perm_b32 v11, v43, v41, v11
	v_dot4c_i32_i8 v40, v12, v9
	v_perm_b32 v39, s14, 0xfdfeff00, v20
	v_perm_b32 v20, s15, 0x3020100, v20
	v_and_or_b32 v9, v16, s17, 0x3020100
	v_perm_b32 v12, v21, v17, v13
	v_dot4c_i32_i8 v19, v18, v5
	v_perm_b32 v3, v7, v3, v10
	v_dot4c_i32_i8 v40, v11, v8
	v_perm_b32 v5, v39, v20, v9
	v_add_nc_u32_e32 v26, 16, v26
	v_dot4c_i32_i8 v19, v12, v4
	v_add_co_u32 v14, s2, 0x480, v14
	v_dot4c_i32_i8 v40, v3, v2
	v_mul_f32_e32 v3, v36, v6
	v_dot4c_i32_i8 v19, v5, v35
	v_cmp_le_u32_e32 vcc_lo, s3, v26
	v_add_co_ci_u32_e64 v15, null, 0, v15, s2
	v_cvt_f32_i32_e32 v2, v40
	v_cvt_f32_i32_e32 v4, v19
	s_or_b32 s11, vcc_lo, s11
	v_fma_f32 v2, v3, v2, 0
	v_mul_f32_e32 v3, v37, v6
	v_fmac_f32_e32 v2, v3, v4
	v_add_f32_e32 v27, v27, v2
	s_andn2_b32 exec_lo, exec_lo, s11
	s_cbranch_execz .LBB85_40
.LBB85_15:                              ; =>This Inner Loop Header: Depth=1
	v_add_nc_u32_e32 v16, s16, v26
	s_mov_b32 s2, 0
	v_mad_i64_i32 v[2:3], null, v16, 36, s[12:13]
	v_add_co_u32 v4, vcc_lo, v2, v29
	v_add_co_ci_u32_e64 v5, null, 0, v3, vcc_lo
	v_add_co_u32 v2, vcc_lo, v2, v31
	v_add_co_ci_u32_e64 v3, null, 0, v3, vcc_lo
	s_clause 0x1
	global_load_ushort v17, v[4:5], off
	global_load_dwordx4 v[10:13], v[2:3], off offset:4
	s_clause 0x2
	global_load_dword v35, v[14:15], off offset:16
	global_load_dwordx4 v[2:5], v[14:15], off
	global_load_dwordx4 v[6:9], v[14:15], off offset:-16
	s_waitcnt vmcnt(4)
	v_cmp_gt_i16_sdwa s18, v17, v32 src0_sel:BYTE_0 src1_sel:DWORD
	s_and_saveexec_b32 s19, s18
	s_xor_b32 s18, exec_lo, s19
	s_cbranch_execnz .LBB85_23
; %bb.16:                               ;   in Loop: Header=BB85_15 Depth=1
	s_andn2_saveexec_b32 s18, s18
	s_cbranch_execnz .LBB85_24
.LBB85_17:                              ;   in Loop: Header=BB85_15 Depth=1
	s_or_b32 exec_lo, exec_lo, s18
	v_mov_b32_e32 v36, 0
	s_and_saveexec_b32 s18, s2
	s_cbranch_execz .LBB85_19
.LBB85_18:                              ;   in Loop: Header=BB85_15 Depth=1
	v_and_b32_e32 v18, 7, v17
	v_lshrrev_b16 v19, 3, v17
	v_cvt_f32_ubyte0_e32 v18, v18
	v_and_b32_e32 v19, 15, v19
	v_fma_f32 v20, 0x3e000000, v18, 1.0
	v_add_nc_u32_e32 v21, -7, v19
	v_cmp_eq_u32_e32 vcc_lo, 0, v19
	v_cndmask_b32_e32 v18, v20, v18, vcc_lo
	v_cndmask_b32_e64 v19, v21, -9, vcc_lo
	v_ldexp_f32 v18, v18, v19
	v_mul_f32_e32 v36, 0.5, v18
.LBB85_19:                              ;   in Loop: Header=BB85_15 Depth=1
	s_or_b32 exec_lo, exec_lo, s18
	v_cmp_gt_i16_sdwa s18, v17, v32 src0_sel:BYTE_1 src1_sel:DWORD
	s_mov_b32 s2, 0
	s_and_saveexec_b32 s19, s18
	s_xor_b32 s18, exec_lo, s19
	s_cbranch_execnz .LBB85_25
; %bb.20:                               ;   in Loop: Header=BB85_15 Depth=1
	s_andn2_saveexec_b32 s18, s18
	s_cbranch_execnz .LBB85_26
.LBB85_21:                              ;   in Loop: Header=BB85_15 Depth=1
	s_or_b32 exec_lo, exec_lo, s18
	v_mov_b32_e32 v37, 0
	s_and_saveexec_b32 s18, s2
	s_cbranch_execnz .LBB85_27
.LBB85_22:                              ;   in Loop: Header=BB85_15 Depth=1
	s_or_b32 exec_lo, exec_lo, s18
	s_waitcnt vmcnt(0)
	v_cvt_f32_f16_e32 v6, v6
	s_andn2_b32 vcc_lo, exec_lo, s9
	s_cbranch_vccz .LBB85_28
	s_branch .LBB85_14
.LBB85_23:                              ;   in Loop: Header=BB85_15 Depth=1
	v_cmp_ne_u16_sdwa s2, v17, v33 src0_sel:BYTE_0 src1_sel:DWORD
	s_and_b32 s2, s2, exec_lo
	s_andn2_saveexec_b32 s18, s18
	s_cbranch_execz .LBB85_17
.LBB85_24:                              ;   in Loop: Header=BB85_15 Depth=1
	v_cmp_ne_u16_sdwa s19, v17, v28 src0_sel:BYTE_0 src1_sel:DWORD
	s_andn2_b32 s2, s2, exec_lo
	s_and_b32 s19, s19, exec_lo
	s_or_b32 s2, s2, s19
	s_or_b32 exec_lo, exec_lo, s18
	v_mov_b32_e32 v36, 0
	s_and_saveexec_b32 s18, s2
	s_cbranch_execnz .LBB85_18
	s_branch .LBB85_19
.LBB85_25:                              ;   in Loop: Header=BB85_15 Depth=1
	v_cmp_ne_u16_sdwa s2, v17, v33 src0_sel:BYTE_1 src1_sel:DWORD
	s_and_b32 s2, s2, exec_lo
	s_andn2_saveexec_b32 s18, s18
	s_cbranch_execz .LBB85_21
.LBB85_26:                              ;   in Loop: Header=BB85_15 Depth=1
	v_cmp_ne_u16_sdwa s19, v17, v28 src0_sel:BYTE_1 src1_sel:DWORD
	s_andn2_b32 s2, s2, exec_lo
	s_and_b32 s19, s19, exec_lo
	s_or_b32 s2, s2, s19
	s_or_b32 exec_lo, exec_lo, s18
	v_mov_b32_e32 v37, 0
	s_and_saveexec_b32 s18, s2
	s_cbranch_execz .LBB85_22
.LBB85_27:                              ;   in Loop: Header=BB85_15 Depth=1
	v_and_b32_sdwa v17, v34, v17 dst_sel:DWORD dst_unused:UNUSED_PAD src0_sel:DWORD src1_sel:BYTE_1
	v_and_b32_e32 v18, 7, v17
	v_bfe_u32 v17, v17, 3, 4
	v_cvt_f32_ubyte0_e32 v18, v18
	v_add_nc_u32_e32 v19, -7, v17
	v_cmp_eq_u32_e32 vcc_lo, 0, v17
	v_fma_f32 v20, 0x3e000000, v18, 1.0
	v_cndmask_b32_e32 v17, v20, v18, vcc_lo
	v_cndmask_b32_e64 v18, v19, -9, vcc_lo
	v_ldexp_f32 v17, v17, v18
	v_mul_f32_e32 v37, 0.5, v17
	s_or_b32 exec_lo, exec_lo, s18
	s_waitcnt vmcnt(0)
	v_cvt_f32_f16_e32 v6, v6
	s_andn2_b32 vcc_lo, exec_lo, s9
	s_cbranch_vccnz .LBB85_14
.LBB85_28:                              ;   in Loop: Header=BB85_15 Depth=1
	v_mad_i64_i32 v[18:19], null, v16, 36, s[28:29]
	s_mov_b32 s2, 0
	s_mov_b32 s18, exec_lo
	v_add_co_u32 v16, vcc_lo, v18, v29
	v_add_co_ci_u32_e64 v17, null, 0, v19, vcc_lo
	v_add_co_u32 v20, vcc_lo, v18, v31
	v_add_co_ci_u32_e64 v21, null, 0, v19, vcc_lo
	s_clause 0x1
	global_load_ubyte v39, v[16:17], off
	global_load_dwordx2 v[16:17], v[20:21], off offset:4
	s_waitcnt vmcnt(1)
	v_cmpx_lt_i16_e32 0x7e, v39
	s_xor_b32 s18, exec_lo, s18
	s_cbranch_execnz .LBB85_35
; %bb.29:                               ;   in Loop: Header=BB85_15 Depth=1
	s_andn2_saveexec_b32 s18, s18
	s_cbranch_execnz .LBB85_36
.LBB85_30:                              ;   in Loop: Header=BB85_15 Depth=1
	s_or_b32 exec_lo, exec_lo, s18
	v_mov_b32_e32 v38, 0
	s_and_saveexec_b32 s18, s2
	s_cbranch_execz .LBB85_32
.LBB85_31:                              ;   in Loop: Header=BB85_15 Depth=1
	v_and_b32_e32 v38, 0xffff, v39
	v_and_b32_e32 v39, 7, v38
	v_bfe_u32 v38, v38, 3, 4
	v_cvt_f32_ubyte0_e32 v39, v39
	v_add_nc_u32_e32 v40, -7, v38
	v_cmp_eq_u32_e32 vcc_lo, 0, v38
	v_fma_f32 v41, 0x3e000000, v39, 1.0
	v_cndmask_b32_e32 v38, v41, v39, vcc_lo
	v_cndmask_b32_e64 v39, v40, -9, vcc_lo
	v_ldexp_f32 v38, v38, v39
	v_mul_f32_e32 v38, 0.5, v38
.LBB85_32:                              ;   in Loop: Header=BB85_15 Depth=1
	s_or_b32 exec_lo, exec_lo, s18
	v_add_co_u32 v18, vcc_lo, v18, v30
	v_add_co_ci_u32_e64 v19, null, 0, v19, vcc_lo
	s_mov_b32 s2, 0
	s_mov_b32 s18, exec_lo
	s_clause 0x1
	global_load_ubyte v39, v[18:19], off
	global_load_dwordx2 v[18:19], v[20:21], off offset:12
	s_waitcnt vmcnt(1)
	v_cmpx_lt_i16_e32 0x7e, v39
	s_xor_b32 s18, exec_lo, s18
	s_cbranch_execnz .LBB85_37
; %bb.33:                               ;   in Loop: Header=BB85_15 Depth=1
	s_andn2_saveexec_b32 s18, s18
	s_cbranch_execnz .LBB85_38
.LBB85_34:                              ;   in Loop: Header=BB85_15 Depth=1
	s_or_b32 exec_lo, exec_lo, s18
	v_mov_b32_e32 v20, 0
	s_and_saveexec_b32 s18, s2
	s_cbranch_execz .LBB85_13
	s_branch .LBB85_39
.LBB85_35:                              ;   in Loop: Header=BB85_15 Depth=1
	v_cmp_ne_u16_e32 vcc_lo, 0x7f, v39
	s_and_b32 s2, vcc_lo, exec_lo
	s_andn2_saveexec_b32 s18, s18
	s_cbranch_execz .LBB85_30
.LBB85_36:                              ;   in Loop: Header=BB85_15 Depth=1
	v_cmp_ne_u16_e32 vcc_lo, 0, v39
	s_andn2_b32 s2, s2, exec_lo
	s_and_b32 s19, vcc_lo, exec_lo
	s_or_b32 s2, s2, s19
	s_or_b32 exec_lo, exec_lo, s18
	v_mov_b32_e32 v38, 0
	s_and_saveexec_b32 s18, s2
	s_cbranch_execnz .LBB85_31
	s_branch .LBB85_32
.LBB85_37:                              ;   in Loop: Header=BB85_15 Depth=1
	v_cmp_ne_u16_e32 vcc_lo, 0x7f, v39
	s_and_b32 s2, vcc_lo, exec_lo
	s_andn2_saveexec_b32 s18, s18
	s_cbranch_execz .LBB85_34
.LBB85_38:                              ;   in Loop: Header=BB85_15 Depth=1
	v_cmp_ne_u16_e32 vcc_lo, 0, v39
	s_andn2_b32 s2, s2, exec_lo
	s_and_b32 s19, vcc_lo, exec_lo
	s_or_b32 s2, s2, s19
	s_or_b32 exec_lo, exec_lo, s18
	v_mov_b32_e32 v20, 0
	s_and_saveexec_b32 s18, s2
	s_cbranch_execz .LBB85_13
.LBB85_39:                              ;   in Loop: Header=BB85_15 Depth=1
	v_and_b32_e32 v20, 0xffff, v39
	v_and_b32_e32 v21, 7, v20
	v_bfe_u32 v20, v20, 3, 4
	v_cvt_f32_ubyte0_e32 v21, v21
	v_add_nc_u32_e32 v39, -7, v20
	v_cmp_eq_u32_e32 vcc_lo, 0, v20
	v_fma_f32 v40, 0x3e000000, v21, 1.0
	v_cndmask_b32_e32 v20, v40, v21, vcc_lo
	v_cndmask_b32_e64 v21, v39, -9, vcc_lo
	v_ldexp_f32 v20, v20, v21
	v_mul_f32_e32 v20, 0.5, v20
	s_branch .LBB85_13
.LBB85_40:
	s_or_b32 exec_lo, exec_lo, s11
.LBB85_41:
	s_or_b32 exec_lo, exec_lo, s7
	s_load_dword s2, s[4:5], 0x30
	s_waitcnt vmcnt(0) lgkmcnt(0)
	; wave barrier
	buffer_gl0_inv
	s_mov_b32 s3, exec_lo
	v_cmpx_eq_u32_e32 0, v1
	s_cbranch_execz .LBB85_68
; %bb.42:
	v_mbcnt_lo_u32_b32 v2, -1, 0
	v_xor_b32_e32 v1, 16, v2
	v_xor_b32_e32 v4, 8, v2
	;; [unrolled: 1-line block ×3, first 2 shown]
	v_cmp_gt_i32_e32 vcc_lo, 32, v1
	v_cndmask_b32_e32 v1, v2, v1, vcc_lo
	v_cmp_gt_i32_e32 vcc_lo, 32, v4
	v_lshlrev_b32_e32 v1, 2, v1
	v_cndmask_b32_e32 v4, v2, v4, vcc_lo
	v_cmp_gt_i32_e32 vcc_lo, 32, v5
	ds_bpermute_b32 v3, v1, v27
	v_lshlrev_b32_e32 v4, 2, v4
	v_cndmask_b32_e32 v5, v2, v5, vcc_lo
	v_lshlrev_b32_e32 v5, 2, v5
	s_waitcnt lgkmcnt(0)
	v_add_f32_e32 v3, v27, v3
	ds_bpermute_b32 v6, v4, v3
	s_waitcnt lgkmcnt(0)
	v_add_f32_e32 v3, v3, v6
	v_xor_b32_e32 v6, 2, v2
	ds_bpermute_b32 v7, v5, v3
	v_cmp_gt_i32_e32 vcc_lo, 32, v6
	v_cndmask_b32_e32 v6, v2, v6, vcc_lo
	v_lshlrev_b32_e32 v6, 2, v6
	s_waitcnt lgkmcnt(0)
	v_add_f32_e32 v3, v3, v7
	v_xor_b32_e32 v7, 1, v2
	ds_bpermute_b32 v8, v6, v3
	v_cmp_gt_i32_e32 vcc_lo, 32, v7
	v_cndmask_b32_e32 v2, v2, v7, vcc_lo
	v_cmp_ne_u32_e32 vcc_lo, 1, v24
	v_lshlrev_b32_e32 v7, 2, v2
	s_waitcnt lgkmcnt(0)
	v_add_f32_e32 v2, v3, v8
	ds_bpermute_b32 v3, v7, v2
	s_cbranch_vccnz .LBB85_44
; %bb.43:
	ds_bpermute_b32 v1, v1, v25
	s_waitcnt lgkmcnt(0)
	v_add_f32_e32 v1, v25, v1
	ds_bpermute_b32 v4, v4, v1
	s_waitcnt lgkmcnt(0)
	v_add_f32_e32 v1, v1, v4
	;; [unrolled: 3-line block ×5, first 2 shown]
.LBB85_44:
	v_cmp_eq_u32_e32 vcc_lo, 0, v0
	s_and_b32 exec_lo, exec_lo, vcc_lo
	s_cbranch_execz .LBB85_68
; %bb.45:
	s_waitcnt lgkmcnt(0)
	v_add_f32_e32 v1, v2, v3
	v_cmp_ne_u32_e32 vcc_lo, 1, v24
	v_add_f32_e32 v2, v23, v1
	v_cndmask_b32_e64 v1, v1, v2, s0
	s_cbranch_vccnz .LBB85_67
; %bb.46:
	v_add_f32_e32 v2, v22, v25
	s_cmp_lt_i32 s2, 2
	s_mov_b32 s0, 0
	v_cndmask_b32_e64 v2, v25, v2, s1
	s_cbranch_scc1 .LBB85_50
; %bb.47:
	s_cmp_gt_i32 s2, 2
	s_cbranch_scc0 .LBB85_51
; %bb.48:
	s_cmp_eq_u32 s2, 3
	s_cbranch_scc0 .LBB85_52
; %bb.49:
	v_max_f32_e32 v3, v2, v2
	s_mov_b32 s1, 0
	v_min_f32_e32 v3, 0x40e00000, v3
	v_mul_f32_e32 v4, 0xbfd9db23, v3
	v_mul_f32_e32 v5, 0x3fb8aa3b, v4
	v_cmp_ngt_f32_e32 vcc_lo, 0xc2ce8ed0, v4
	v_fma_f32 v6, 0x3fb8aa3b, v4, -v5
	v_rndne_f32_e32 v7, v5
	v_fmamk_f32 v6, v4, 0x32a5705f, v6
	v_sub_f32_e32 v5, v5, v7
	v_add_f32_e32 v5, v5, v6
	v_cvt_i32_f32_e32 v6, v7
	v_exp_f32_e32 v5, v5
	v_ldexp_f32 v5, v5, v6
	v_cndmask_b32_e32 v5, 0, v5, vcc_lo
	v_cmp_nlt_f32_e32 vcc_lo, 0x42b17218, v4
	v_cndmask_b32_e32 v4, 0x7f800000, v5, vcc_lo
	v_add_f32_e32 v4, 1.0, v4
	v_div_scale_f32 v5, null, v4, v4, v3
	v_div_scale_f32 v8, vcc_lo, v3, v4, v3
	v_rcp_f32_e32 v6, v5
	v_fma_f32 v7, -v5, v6, 1.0
	v_fmac_f32_e32 v6, v7, v6
	v_mul_f32_e32 v7, v8, v6
	v_fma_f32 v9, -v5, v7, v8
	v_fmac_f32_e32 v7, v9, v6
	v_max_f32_e32 v9, v1, v1
	v_fma_f32 v5, -v5, v7, v8
	v_min_f32_e32 v8, 0x40e00000, v9
	v_div_fmas_f32 v5, v5, v6, v7
	v_max_f32_e32 v6, 0xc0e00000, v8
	v_div_fixup_f32 v3, v5, v4, v3
	v_add_f32_e32 v4, 1.0, v6
	v_mul_f32_e32 v3, v4, v3
	s_branch .LBB85_53
.LBB85_50:
	s_mov_b32 s1, 0
                                        ; implicit-def: $vgpr3
	s_cbranch_execnz .LBB85_57
	s_branch .LBB85_58
.LBB85_51:
	s_mov_b32 s3, -1
	s_mov_b32 s1, 0
                                        ; implicit-def: $vgpr3
	s_branch .LBB85_54
.LBB85_52:
	s_mov_b32 s1, -1
                                        ; implicit-def: $vgpr3
.LBB85_53:
	s_mov_b32 s3, 0
.LBB85_54:
	s_and_b32 vcc_lo, exec_lo, s3
	s_cbranch_vccz .LBB85_56
; %bb.55:
	v_mul_f32_e32 v3, 0xbfb8aa3b, v2
	v_cmp_nlt_f32_e32 vcc_lo, 0x42ce8ed0, v2
	v_rndne_f32_e32 v4, v3
	v_fma_f32 v5, 0xbfb8aa3b, v2, -v3
	v_sub_f32_e32 v3, v3, v4
	v_fmamk_f32 v5, v2, 0xb2a5705f, v5
	v_cvt_i32_f32_e32 v4, v4
	v_add_f32_e32 v3, v3, v5
	v_exp_f32_e32 v3, v3
	v_ldexp_f32 v3, v3, v4
	v_cndmask_b32_e32 v3, 0, v3, vcc_lo
	v_cmp_ngt_f32_e32 vcc_lo, 0xc2b17218, v2
	v_cndmask_b32_e32 v3, 0x7f800000, v3, vcc_lo
	v_add_f32_e32 v3, 1.0, v3
	v_div_scale_f32 v4, null, v3, v3, v2
	v_rcp_f32_e32 v5, v4
	v_fma_f32 v6, -v4, v5, 1.0
	v_fmac_f32_e32 v5, v6, v5
	v_div_scale_f32 v6, vcc_lo, v2, v3, v2
	v_mul_f32_e32 v7, v6, v5
	v_fma_f32 v8, -v4, v7, v6
	v_fmac_f32_e32 v7, v8, v5
	v_fma_f32 v4, -v4, v7, v6
	v_div_fmas_f32 v4, v4, v5, v7
	v_div_fixup_f32 v3, v4, v3, v2
	v_mul_f32_e32 v3, v1, v3
.LBB85_56:
	s_branch .LBB85_58
.LBB85_57:
	s_cmp_lg_u32 s2, 1
	s_mov_b32 s0, -1
	s_cselect_b32 s1, -1, 0
.LBB85_58:
	s_andn2_b32 vcc_lo, exec_lo, s1
	s_cbranch_vccz .LBB85_60
; %bb.59:
	s_andn2_b32 vcc_lo, exec_lo, s0
	s_cbranch_vccz .LBB85_61
	s_branch .LBB85_66
.LBB85_60:
	v_mul_f32_e32 v3, v2, v1
	s_cbranch_execnz .LBB85_66
.LBB85_61:
	v_mul_f32_e32 v3, 0x3d372713, v2
	v_mul_f32_e32 v4, 0x3f4c422a, v2
	v_fma_f32 v3, v2, v3, 1.0
	v_mul_f32_e32 v3, v4, v3
                                        ; implicit-def: $vgpr4
	v_cmp_ngt_f32_e64 s0, 0x3f200000, |v3|
	s_and_saveexec_b32 s1, s0
	s_xor_b32 s0, exec_lo, s1
	s_cbranch_execz .LBB85_63
; %bb.62:
	v_add_f32_e64 v4, |v3|, |v3|
	v_mul_f32_e32 v5, 0x3fb8aa3b, v4
	v_cmp_ngt_f32_e32 vcc_lo, 0xc2ce8ed0, v4
	v_rndne_f32_e32 v6, v5
	v_fma_f32 v7, 0x3fb8aa3b, v4, -v5
	v_sub_f32_e32 v5, v5, v6
	v_fmamk_f32 v7, v4, 0x32a5705f, v7
	v_cvt_i32_f32_e32 v6, v6
	v_add_f32_e32 v5, v5, v7
	v_exp_f32_e32 v5, v5
	v_ldexp_f32 v5, v5, v6
	v_cndmask_b32_e32 v5, 0, v5, vcc_lo
	v_cmp_nlt_f32_e32 vcc_lo, 0x42b17218, v4
	v_cndmask_b32_e32 v4, 0x7f800000, v5, vcc_lo
	v_add_f32_e32 v4, 1.0, v4
	v_rcp_f32_e32 v4, v4
	v_fma_f32 v4, v4, -2.0, 1.0
.LBB85_63:
	s_andn2_saveexec_b32 s0, s0
	s_cbranch_execz .LBB85_65
; %bb.64:
	v_mul_f32_e32 v4, v3, v3
	s_mov_b32 s1, 0xbbbac73d
	v_fmaak_f32 v5, s1, v4, 0x3ca908c9
	v_fmaak_f32 v5, v4, v5, 0xbd5c1c4e
	v_fmaak_f32 v5, v4, v5, 0x3e088382
	v_fmaak_f32 v5, v4, v5, 0xbeaaaa99
	v_mul_f32_e64 v5, |v3|, v5
	v_fma_f32 v4, v4, v5, |v3|
.LBB85_65:
	s_or_b32 exec_lo, exec_lo, s0
	v_bfi_b32 v3, 0x7fffffff, v4, v3
	v_mul_f32_e32 v2, 0.5, v2
	v_add_f32_e32 v3, 1.0, v3
	v_mul_f32_e32 v2, v2, v3
	v_mul_f32_e32 v3, v1, v2
.LBB85_66:
	v_mov_b32_e32 v1, v3
.LBB85_67:
	s_load_dwordx2 s[0:1], s[4:5], 0x38
	s_mul_i32 s2, s22, s10
	s_mul_i32 s3, s26, s8
	s_add_i32 s2, s2, s6
	v_lshlrev_b32_e32 v0, 2, v0
	s_add_i32 s2, s2, s3
	s_mov_b32 s3, 0
	s_lshl_b64 s[2:3], s[2:3], 2
	s_waitcnt lgkmcnt(0)
	s_add_u32 s0, s0, s2
	s_addc_u32 s1, s1, s3
	global_store_dword v0, v1, s[0:1]
.LBB85_68:
	s_endpgm
	.section	.rodata,"a",@progbits
	.p2align	6, 0x0
	.amdhsa_kernel _ZL13mul_mat_vec_qIL9ggml_type40ELi1ELb1ELb1EEvPKvS2_PKi31ggml_cuda_mm_fusion_args_devicePfj15HIP_vector_typeIjLj3EEjjjS8_jjjS8_jjjj
		.amdhsa_group_segment_fixed_size 0
		.amdhsa_private_segment_fixed_size 0
		.amdhsa_kernarg_size 144
		.amdhsa_user_sgpr_count 6
		.amdhsa_user_sgpr_private_segment_buffer 1
		.amdhsa_user_sgpr_dispatch_ptr 0
		.amdhsa_user_sgpr_queue_ptr 0
		.amdhsa_user_sgpr_kernarg_segment_ptr 1
		.amdhsa_user_sgpr_dispatch_id 0
		.amdhsa_user_sgpr_flat_scratch_init 0
		.amdhsa_user_sgpr_private_segment_size 0
		.amdhsa_wavefront_size32 1
		.amdhsa_uses_dynamic_stack 0
		.amdhsa_system_sgpr_private_segment_wavefront_offset 0
		.amdhsa_system_sgpr_workgroup_id_x 1
		.amdhsa_system_sgpr_workgroup_id_y 1
		.amdhsa_system_sgpr_workgroup_id_z 1
		.amdhsa_system_sgpr_workgroup_info 0
		.amdhsa_system_vgpr_workitem_id 1
		.amdhsa_next_free_vgpr 55
		.amdhsa_next_free_sgpr 40
		.amdhsa_reserve_vcc 1
		.amdhsa_reserve_flat_scratch 0
		.amdhsa_float_round_mode_32 0
		.amdhsa_float_round_mode_16_64 0
		.amdhsa_float_denorm_mode_32 3
		.amdhsa_float_denorm_mode_16_64 3
		.amdhsa_dx10_clamp 1
		.amdhsa_ieee_mode 1
		.amdhsa_fp16_overflow 0
		.amdhsa_workgroup_processor_mode 1
		.amdhsa_memory_ordered 1
		.amdhsa_forward_progress 1
		.amdhsa_shared_vgpr_count 0
		.amdhsa_exception_fp_ieee_invalid_op 0
		.amdhsa_exception_fp_denorm_src 0
		.amdhsa_exception_fp_ieee_div_zero 0
		.amdhsa_exception_fp_ieee_overflow 0
		.amdhsa_exception_fp_ieee_underflow 0
		.amdhsa_exception_fp_ieee_inexact 0
		.amdhsa_exception_int_div_zero 0
	.end_amdhsa_kernel
	.section	.text._ZL13mul_mat_vec_qIL9ggml_type40ELi1ELb1ELb1EEvPKvS2_PKi31ggml_cuda_mm_fusion_args_devicePfj15HIP_vector_typeIjLj3EEjjjS8_jjjS8_jjjj,"axG",@progbits,_ZL13mul_mat_vec_qIL9ggml_type40ELi1ELb1ELb1EEvPKvS2_PKi31ggml_cuda_mm_fusion_args_devicePfj15HIP_vector_typeIjLj3EEjjjS8_jjjS8_jjjj,comdat
.Lfunc_end85:
	.size	_ZL13mul_mat_vec_qIL9ggml_type40ELi1ELb1ELb1EEvPKvS2_PKi31ggml_cuda_mm_fusion_args_devicePfj15HIP_vector_typeIjLj3EEjjjS8_jjjS8_jjjj, .Lfunc_end85-_ZL13mul_mat_vec_qIL9ggml_type40ELi1ELb1ELb1EEvPKvS2_PKi31ggml_cuda_mm_fusion_args_devicePfj15HIP_vector_typeIjLj3EEjjjS8_jjjS8_jjjj
                                        ; -- End function
	.set _ZL13mul_mat_vec_qIL9ggml_type40ELi1ELb1ELb1EEvPKvS2_PKi31ggml_cuda_mm_fusion_args_devicePfj15HIP_vector_typeIjLj3EEjjjS8_jjjS8_jjjj.num_vgpr, 55
	.set _ZL13mul_mat_vec_qIL9ggml_type40ELi1ELb1ELb1EEvPKvS2_PKi31ggml_cuda_mm_fusion_args_devicePfj15HIP_vector_typeIjLj3EEjjjS8_jjjS8_jjjj.num_agpr, 0
	.set _ZL13mul_mat_vec_qIL9ggml_type40ELi1ELb1ELb1EEvPKvS2_PKi31ggml_cuda_mm_fusion_args_devicePfj15HIP_vector_typeIjLj3EEjjjS8_jjjS8_jjjj.numbered_sgpr, 40
	.set _ZL13mul_mat_vec_qIL9ggml_type40ELi1ELb1ELb1EEvPKvS2_PKi31ggml_cuda_mm_fusion_args_devicePfj15HIP_vector_typeIjLj3EEjjjS8_jjjS8_jjjj.num_named_barrier, 0
	.set _ZL13mul_mat_vec_qIL9ggml_type40ELi1ELb1ELb1EEvPKvS2_PKi31ggml_cuda_mm_fusion_args_devicePfj15HIP_vector_typeIjLj3EEjjjS8_jjjS8_jjjj.private_seg_size, 0
	.set _ZL13mul_mat_vec_qIL9ggml_type40ELi1ELb1ELb1EEvPKvS2_PKi31ggml_cuda_mm_fusion_args_devicePfj15HIP_vector_typeIjLj3EEjjjS8_jjjS8_jjjj.uses_vcc, 1
	.set _ZL13mul_mat_vec_qIL9ggml_type40ELi1ELb1ELb1EEvPKvS2_PKi31ggml_cuda_mm_fusion_args_devicePfj15HIP_vector_typeIjLj3EEjjjS8_jjjS8_jjjj.uses_flat_scratch, 0
	.set _ZL13mul_mat_vec_qIL9ggml_type40ELi1ELb1ELb1EEvPKvS2_PKi31ggml_cuda_mm_fusion_args_devicePfj15HIP_vector_typeIjLj3EEjjjS8_jjjS8_jjjj.has_dyn_sized_stack, 0
	.set _ZL13mul_mat_vec_qIL9ggml_type40ELi1ELb1ELb1EEvPKvS2_PKi31ggml_cuda_mm_fusion_args_devicePfj15HIP_vector_typeIjLj3EEjjjS8_jjjS8_jjjj.has_recursion, 0
	.set _ZL13mul_mat_vec_qIL9ggml_type40ELi1ELb1ELb1EEvPKvS2_PKi31ggml_cuda_mm_fusion_args_devicePfj15HIP_vector_typeIjLj3EEjjjS8_jjjS8_jjjj.has_indirect_call, 0
	.section	.AMDGPU.csdata,"",@progbits
; Kernel info:
; codeLenInByte = 3920
; TotalNumSgprs: 42
; NumVgprs: 55
; ScratchSize: 0
; MemoryBound: 0
; FloatMode: 240
; IeeeMode: 1
; LDSByteSize: 0 bytes/workgroup (compile time only)
; SGPRBlocks: 0
; VGPRBlocks: 6
; NumSGPRsForWavesPerEU: 42
; NumVGPRsForWavesPerEU: 55
; Occupancy: 16
; WaveLimiterHint : 0
; COMPUTE_PGM_RSRC2:SCRATCH_EN: 0
; COMPUTE_PGM_RSRC2:USER_SGPR: 6
; COMPUTE_PGM_RSRC2:TRAP_HANDLER: 0
; COMPUTE_PGM_RSRC2:TGID_X_EN: 1
; COMPUTE_PGM_RSRC2:TGID_Y_EN: 1
; COMPUTE_PGM_RSRC2:TGID_Z_EN: 1
; COMPUTE_PGM_RSRC2:TIDIG_COMP_CNT: 1
	.section	.text._ZL13mul_mat_vec_qIL9ggml_type40ELi1ELb0ELb1EEvPKvS2_PKi31ggml_cuda_mm_fusion_args_devicePfj15HIP_vector_typeIjLj3EEjjjS8_jjjS8_jjjj,"axG",@progbits,_ZL13mul_mat_vec_qIL9ggml_type40ELi1ELb0ELb1EEvPKvS2_PKi31ggml_cuda_mm_fusion_args_devicePfj15HIP_vector_typeIjLj3EEjjjS8_jjjS8_jjjj,comdat
	.globl	_ZL13mul_mat_vec_qIL9ggml_type40ELi1ELb0ELb1EEvPKvS2_PKi31ggml_cuda_mm_fusion_args_devicePfj15HIP_vector_typeIjLj3EEjjjS8_jjjS8_jjjj ; -- Begin function _ZL13mul_mat_vec_qIL9ggml_type40ELi1ELb0ELb1EEvPKvS2_PKi31ggml_cuda_mm_fusion_args_devicePfj15HIP_vector_typeIjLj3EEjjjS8_jjjS8_jjjj
	.p2align	8
	.type	_ZL13mul_mat_vec_qIL9ggml_type40ELi1ELb0ELb1EEvPKvS2_PKi31ggml_cuda_mm_fusion_args_devicePfj15HIP_vector_typeIjLj3EEjjjS8_jjjS8_jjjj,@function
_ZL13mul_mat_vec_qIL9ggml_type40ELi1ELb0ELb1EEvPKvS2_PKi31ggml_cuda_mm_fusion_args_devicePfj15HIP_vector_typeIjLj3EEjjjS8_jjjS8_jjjj: ; @_ZL13mul_mat_vec_qIL9ggml_type40ELi1ELb0ELb1EEvPKvS2_PKi31ggml_cuda_mm_fusion_args_devicePfj15HIP_vector_typeIjLj3EEjjjS8_jjjS8_jjjj
; %bb.0:
	s_clause 0x1
	s_load_dwordx2 s[0:1], s[4:5], 0x10
	s_load_dwordx4 s[16:19], s[4:5], 0x40
	s_mov_b32 s10, s7
	s_waitcnt lgkmcnt(0)
	s_cmp_lg_u64 s[0:1], 0
	s_cselect_b32 s7, -1, 0
	s_cmp_eq_u64 s[0:1], 0
	s_cbranch_scc1 .LBB86_5
; %bb.1:
	s_mov_b32 s11, 0
	s_lshl_b64 s[2:3], s[10:11], 2
	s_add_u32 s0, s0, s2
	s_addc_u32 s1, s1, s3
	s_load_dword s20, s[0:1], 0x0
	s_clause 0x1
	s_load_dwordx4 s[0:3], s[4:5], 0x68
	s_load_dword s21, s[4:5], 0x50
	s_cbranch_execnz .LBB86_3
.LBB86_2:
	s_load_dwordx2 s[12:13], s[4:5], 0x5c
	s_waitcnt lgkmcnt(0)
	s_mul_hi_u32 s9, s12, s10
	s_add_i32 s9, s10, s9
	s_lshr_b32 s20, s9, s13
.LBB86_3:
	s_load_dword s11, s[4:5], 0x78
	s_andn2_b32 vcc_lo, exec_lo, s7
	s_cbranch_vccnz .LBB86_6
; %bb.4:
	s_mul_hi_u32 s7, s17, s10
	s_add_i32 s7, s10, s7
	s_lshr_b32 s7, s7, s18
	s_mul_i32 s7, s7, s19
	s_sub_i32 s17, s10, s7
	s_branch .LBB86_7
.LBB86_5:
                                        ; implicit-def: $sgpr20
	s_clause 0x1
	s_load_dwordx4 s[0:3], s[4:5], 0x68
	s_load_dword s21, s[4:5], 0x50
	s_branch .LBB86_2
.LBB86_6:
	s_mov_b32 s17, s10
.LBB86_7:
	s_load_dwordx4 s[12:15], s[4:5], 0x80
	v_lshl_or_b32 v2, v1, 5, v0
	v_mov_b32_e32 v17, 0
	s_lshr_b32 s9, s16, 6
	s_mov_b32 s7, exec_lo
	v_lshrrev_b16 v3, 1, v2
	v_and_b32_e32 v16, 0xffff, v3
	v_cmpx_gt_u32_e64 s9, v16
	s_cbranch_execz .LBB86_23
; %bb.8:
	v_lshrrev_b32_e32 v2, 1, v2
	s_waitcnt lgkmcnt(0)
	s_mul_i32 s1, s17, s1
	v_and_b32_e32 v5, 1, v0
	s_mul_hi_u32 s17, s1, 36
	s_mul_i32 s16, s1, 36
	s_mul_i32 s1, s13, s8
	v_mad_u64_u32 v[2:3], null, 0x48, v2, s[16:17]
	s_load_dwordx4 s[16:19], s[4:5], 0x0
	v_lshlrev_b32_e32 v4, 2, v0
	s_mul_hi_u32 s3, s3, s8
	s_mul_i32 s21, s21, s6
	v_mov_b32_e32 v18, 0
	v_mov_b32_e32 v21, 0x7e
	v_mad_u64_u32 v[2:3], null, s1, 36, v[2:3]
	s_add_i32 s1, s8, s3
	v_and_b32_e32 v4, 4, v4
	s_mul_i32 s3, s20, s0
	s_lshr_b32 s0, s1, s11
	v_mov_b32_e32 v22, 0x7f
	s_mul_i32 s0, s0, s12
	v_mad_u64_u32 v[2:3], null, v5, 36, v[2:3]
	v_lshrrev_b32_e32 v19, 1, v4
	v_lshlrev_b32_e32 v20, 2, v4
	v_mov_b32_e32 v23, 0xffff
	v_mov_b32_e32 v17, 0
	s_add_i32 s0, s0, s21
	s_mov_b32 s1, 0
	s_waitcnt lgkmcnt(0)
	v_add_co_u32 v2, vcc_lo, s18, v2
	v_add_co_ci_u32_e64 v3, null, s19, v3, vcc_lo
	s_add_i32 s3, s3, s0
	v_add_co_u32 v14, vcc_lo, v2, 16
	v_add_co_ci_u32_e64 v15, null, 0, v3, vcc_lo
	s_mov_b32 s11, 0xf4f8fafc
	s_mov_b32 s12, 0xc080604
	s_mov_b32 s13, 0x4040404
	s_branch .LBB86_10
.LBB86_9:                               ;   in Loop: Header=BB86_10 Depth=1
	s_or_b32 exec_lo, exec_lo, s15
	s_waitcnt vmcnt(3)
	v_ashrrev_i32_e32 v29, 4, v12
	v_and_b32_e32 v30, 0x7070707, v12
	v_lshrrev_b32_e32 v12, 1, v12
	v_ashrrev_i32_e32 v27, 4, v13
	v_and_b32_e32 v28, 0x7070707, v13
	v_and_b32_e32 v33, 0x7070707, v29
	v_lshrrev_b32_e32 v29, 1, v29
	v_perm_b32 v35, s11, 0xfdfeff00, v30
	v_perm_b32 v30, s12, 0x3020100, v30
	v_and_or_b32 v12, v12, s13, 0x3020100
	v_perm_b32 v36, s11, 0xfdfeff00, v33
	v_perm_b32 v33, s12, 0x3020100, v33
	v_and_or_b32 v29, v29, s13, 0x3020100
	v_lshrrev_b32_e32 v13, 1, v13
	v_perm_b32 v12, v35, v30, v12
	v_mov_b32_e32 v30, 0
	v_ashrrev_i32_e32 v35, 4, v11
	v_perm_b32 v29, v36, v33, v29
	v_and_b32_e32 v36, 0x7070707, v11
	v_lshrrev_b32_e32 v11, 1, v11
	s_waitcnt vmcnt(1)
	v_dot4c_i32_i8 v30, v12, v3
	v_and_b32_e32 v3, 0x7070707, v35
	v_ashrrev_i32_e32 v12, 4, v10
	v_lshrrev_b32_e32 v33, 1, v35
	v_and_b32_e32 v35, 0x7070707, v10
	v_lshrrev_b32_e32 v10, 1, v10
	v_and_or_b32 v11, v11, s13, 0x3020100
	v_and_b32_e32 v37, 0x7070707, v12
	v_lshrrev_b32_e32 v12, 1, v12
	v_perm_b32 v38, s11, 0xfdfeff00, v35
	v_perm_b32 v35, s12, 0x3020100, v35
	v_and_or_b32 v10, v10, s13, 0x3020100
	v_perm_b32 v39, s11, 0xfdfeff00, v37
	v_perm_b32 v37, s12, 0x3020100, v37
	v_and_or_b32 v12, v12, s13, 0x3020100
	v_and_b32_e32 v31, 0x7070707, v27
	v_perm_b32 v10, v38, v35, v10
	v_mov_b32_e32 v35, 0
	v_perm_b32 v38, s11, 0xfdfeff00, v36
	v_perm_b32 v36, s12, 0x3020100, v36
	;; [unrolled: 1-line block ×3, first 2 shown]
	v_lshrrev_b32_e32 v27, 1, v27
	s_waitcnt vmcnt(0)
	v_dot4c_i32_i8 v35, v10, v7
	v_perm_b32 v32, s11, 0xfdfeff00, v28
	v_perm_b32 v28, s12, 0x3020100, v28
	v_and_or_b32 v13, v13, s13, 0x3020100
	v_perm_b32 v7, s11, 0xfdfeff00, v3
	v_perm_b32 v3, s12, 0x3020100, v3
	v_and_or_b32 v10, v33, s13, 0x3020100
	v_perm_b32 v11, v38, v36, v11
	v_dot4c_i32_i8 v35, v12, v9
	v_perm_b32 v34, s11, 0xfdfeff00, v31
	v_perm_b32 v31, s12, 0x3020100, v31
	v_and_or_b32 v9, v27, s13, 0x3020100
	v_perm_b32 v12, v32, v28, v13
	v_dot4c_i32_i8 v30, v29, v5
	v_perm_b32 v3, v7, v3, v10
	v_dot4c_i32_i8 v35, v11, v8
	v_perm_b32 v5, v34, v31, v9
	v_add_nc_u32_e32 v16, 16, v16
	v_dot4c_i32_i8 v30, v12, v4
	v_add_co_u32 v14, s0, 0x480, v14
	v_dot4c_i32_i8 v35, v3, v2
	v_cvt_f32_f16_e32 v2, v6
	v_dot4c_i32_i8 v30, v5, v24
	v_cmp_le_u32_e32 vcc_lo, s9, v16
	v_add_co_ci_u32_e64 v15, null, 0, v15, s0
	v_cvt_f32_i32_e32 v3, v35
	v_mul_f32_e32 v4, v25, v2
	v_cvt_f32_i32_e32 v5, v30
	v_mul_f32_e32 v2, v26, v2
	s_or_b32 s1, vcc_lo, s1
	v_fma_f32 v3, v4, v3, 0
	v_fmac_f32_e32 v3, v2, v5
	v_add_f32_e32 v17, v17, v3
	s_andn2_b32 exec_lo, exec_lo, s1
	s_cbranch_execz .LBB86_22
.LBB86_10:                              ; =>This Inner Loop Header: Depth=1
	v_add_nc_u32_e32 v2, s3, v16
	s_mov_b32 s0, 0
	v_mad_i64_i32 v[2:3], null, v2, 36, s[16:17]
	v_add_co_u32 v4, vcc_lo, v2, v19
	v_add_co_ci_u32_e64 v5, null, 0, v3, vcc_lo
	v_add_co_u32 v2, vcc_lo, v2, v20
	v_add_co_ci_u32_e64 v3, null, 0, v3, vcc_lo
	s_clause 0x1
	global_load_ushort v27, v[4:5], off
	global_load_dwordx4 v[10:13], v[2:3], off offset:4
	s_clause 0x2
	global_load_dword v24, v[14:15], off offset:16
	global_load_dwordx4 v[2:5], v[14:15], off
	global_load_dwordx4 v[6:9], v[14:15], off offset:-16
	s_waitcnt vmcnt(4)
	v_cmp_gt_i16_sdwa s15, v27, v21 src0_sel:BYTE_0 src1_sel:DWORD
	s_and_saveexec_b32 s18, s15
	s_xor_b32 s15, exec_lo, s18
	s_cbranch_execnz .LBB86_17
; %bb.11:                               ;   in Loop: Header=BB86_10 Depth=1
	s_andn2_saveexec_b32 s15, s15
	s_cbranch_execnz .LBB86_18
.LBB86_12:                              ;   in Loop: Header=BB86_10 Depth=1
	s_or_b32 exec_lo, exec_lo, s15
	v_mov_b32_e32 v25, 0
	s_and_saveexec_b32 s15, s0
	s_cbranch_execz .LBB86_14
.LBB86_13:                              ;   in Loop: Header=BB86_10 Depth=1
	v_and_b32_e32 v25, 7, v27
	v_lshrrev_b16 v26, 3, v27
	v_cvt_f32_ubyte0_e32 v25, v25
	v_and_b32_e32 v26, 15, v26
	v_fma_f32 v28, 0x3e000000, v25, 1.0
	v_add_nc_u32_e32 v29, -7, v26
	v_cmp_eq_u32_e32 vcc_lo, 0, v26
	v_cndmask_b32_e32 v25, v28, v25, vcc_lo
	v_cndmask_b32_e64 v26, v29, -9, vcc_lo
	v_ldexp_f32 v25, v25, v26
	v_mul_f32_e32 v25, 0.5, v25
.LBB86_14:                              ;   in Loop: Header=BB86_10 Depth=1
	s_or_b32 exec_lo, exec_lo, s15
	v_cmp_gt_i16_sdwa s15, v27, v21 src0_sel:BYTE_1 src1_sel:DWORD
	s_mov_b32 s0, 0
	s_and_saveexec_b32 s18, s15
	s_xor_b32 s15, exec_lo, s18
	s_cbranch_execnz .LBB86_19
; %bb.15:                               ;   in Loop: Header=BB86_10 Depth=1
	s_andn2_saveexec_b32 s15, s15
	s_cbranch_execnz .LBB86_20
.LBB86_16:                              ;   in Loop: Header=BB86_10 Depth=1
	s_or_b32 exec_lo, exec_lo, s15
	v_mov_b32_e32 v26, 0
	s_and_saveexec_b32 s15, s0
	s_cbranch_execz .LBB86_9
	s_branch .LBB86_21
.LBB86_17:                              ;   in Loop: Header=BB86_10 Depth=1
	v_cmp_ne_u16_sdwa s0, v27, v22 src0_sel:BYTE_0 src1_sel:DWORD
	s_and_b32 s0, s0, exec_lo
	s_andn2_saveexec_b32 s15, s15
	s_cbranch_execz .LBB86_12
.LBB86_18:                              ;   in Loop: Header=BB86_10 Depth=1
	v_cmp_ne_u16_sdwa s18, v27, v18 src0_sel:BYTE_0 src1_sel:DWORD
	s_andn2_b32 s0, s0, exec_lo
	s_and_b32 s18, s18, exec_lo
	s_or_b32 s0, s0, s18
	s_or_b32 exec_lo, exec_lo, s15
	v_mov_b32_e32 v25, 0
	s_and_saveexec_b32 s15, s0
	s_cbranch_execnz .LBB86_13
	s_branch .LBB86_14
.LBB86_19:                              ;   in Loop: Header=BB86_10 Depth=1
	v_cmp_ne_u16_sdwa s0, v27, v22 src0_sel:BYTE_1 src1_sel:DWORD
	s_and_b32 s0, s0, exec_lo
	s_andn2_saveexec_b32 s15, s15
	s_cbranch_execz .LBB86_16
.LBB86_20:                              ;   in Loop: Header=BB86_10 Depth=1
	v_cmp_ne_u16_sdwa s18, v27, v18 src0_sel:BYTE_1 src1_sel:DWORD
	s_andn2_b32 s0, s0, exec_lo
	s_and_b32 s18, s18, exec_lo
	s_or_b32 s0, s0, s18
	s_or_b32 exec_lo, exec_lo, s15
	v_mov_b32_e32 v26, 0
	s_and_saveexec_b32 s15, s0
	s_cbranch_execz .LBB86_9
.LBB86_21:                              ;   in Loop: Header=BB86_10 Depth=1
	v_and_b32_sdwa v26, v23, v27 dst_sel:DWORD dst_unused:UNUSED_PAD src0_sel:DWORD src1_sel:BYTE_1
	v_and_b32_e32 v27, 7, v26
	v_bfe_u32 v26, v26, 3, 4
	v_cvt_f32_ubyte0_e32 v27, v27
	v_add_nc_u32_e32 v28, -7, v26
	v_cmp_eq_u32_e32 vcc_lo, 0, v26
	v_fma_f32 v29, 0x3e000000, v27, 1.0
	v_cndmask_b32_e32 v26, v29, v27, vcc_lo
	v_cndmask_b32_e64 v27, v28, -9, vcc_lo
	v_ldexp_f32 v26, v26, v27
	v_mul_f32_e32 v26, 0.5, v26
	s_branch .LBB86_9
.LBB86_22:
	s_or_b32 exec_lo, exec_lo, s1
.LBB86_23:
	s_or_b32 exec_lo, exec_lo, s7
	s_waitcnt lgkmcnt(0)
	; wave barrier
	buffer_gl0_inv
	s_mov_b32 s0, exec_lo
	v_cmpx_eq_u32_e32 0, v1
	s_cbranch_execz .LBB86_26
; %bb.24:
	v_mbcnt_lo_u32_b32 v1, -1, 0
	v_xor_b32_e32 v2, 16, v1
	v_xor_b32_e32 v3, 8, v1
	;; [unrolled: 1-line block ×3, first 2 shown]
	v_cmp_gt_i32_e32 vcc_lo, 32, v2
	v_cndmask_b32_e32 v2, v1, v2, vcc_lo
	v_cmp_gt_i32_e32 vcc_lo, 32, v3
	v_lshlrev_b32_e32 v2, 2, v2
	v_cndmask_b32_e32 v3, v1, v3, vcc_lo
	v_cmp_gt_i32_e32 vcc_lo, 32, v4
	ds_bpermute_b32 v2, v2, v17
	v_lshlrev_b32_e32 v3, 2, v3
	v_cndmask_b32_e32 v4, v1, v4, vcc_lo
	v_lshlrev_b32_e32 v4, 2, v4
	s_waitcnt lgkmcnt(0)
	v_add_f32_e32 v2, v17, v2
	ds_bpermute_b32 v3, v3, v2
	s_waitcnt lgkmcnt(0)
	v_add_f32_e32 v2, v2, v3
	ds_bpermute_b32 v3, v4, v2
	v_xor_b32_e32 v4, 2, v1
	v_cmp_gt_i32_e32 vcc_lo, 32, v4
	v_cndmask_b32_e32 v4, v1, v4, vcc_lo
	v_lshlrev_b32_e32 v4, 2, v4
	s_waitcnt lgkmcnt(0)
	v_add_f32_e32 v2, v2, v3
	ds_bpermute_b32 v3, v4, v2
	v_xor_b32_e32 v4, 1, v1
	v_cmp_gt_i32_e32 vcc_lo, 32, v4
	v_cndmask_b32_e32 v1, v1, v4, vcc_lo
	v_cmp_eq_u32_e32 vcc_lo, 0, v0
	v_lshlrev_b32_e32 v4, 2, v1
	s_waitcnt lgkmcnt(0)
	v_add_f32_e32 v1, v2, v3
	ds_bpermute_b32 v2, v4, v1
	s_and_b32 exec_lo, exec_lo, vcc_lo
	s_cbranch_execz .LBB86_26
; %bb.25:
	s_load_dwordx2 s[0:1], s[4:5], 0x38
	s_mul_i32 s2, s2, s10
	s_mul_i32 s3, s14, s8
	s_add_i32 s2, s2, s6
	s_waitcnt lgkmcnt(0)
	v_add_f32_e32 v0, v1, v2
	s_add_i32 s2, s2, s3
	s_mov_b32 s3, 0
	v_mov_b32_e32 v1, 0
	s_lshl_b64 s[2:3], s[2:3], 2
	s_add_u32 s0, s0, s2
	s_addc_u32 s1, s1, s3
	global_store_dword v1, v0, s[0:1]
.LBB86_26:
	s_endpgm
	.section	.rodata,"a",@progbits
	.p2align	6, 0x0
	.amdhsa_kernel _ZL13mul_mat_vec_qIL9ggml_type40ELi1ELb0ELb1EEvPKvS2_PKi31ggml_cuda_mm_fusion_args_devicePfj15HIP_vector_typeIjLj3EEjjjS8_jjjS8_jjjj
		.amdhsa_group_segment_fixed_size 0
		.amdhsa_private_segment_fixed_size 0
		.amdhsa_kernarg_size 144
		.amdhsa_user_sgpr_count 6
		.amdhsa_user_sgpr_private_segment_buffer 1
		.amdhsa_user_sgpr_dispatch_ptr 0
		.amdhsa_user_sgpr_queue_ptr 0
		.amdhsa_user_sgpr_kernarg_segment_ptr 1
		.amdhsa_user_sgpr_dispatch_id 0
		.amdhsa_user_sgpr_flat_scratch_init 0
		.amdhsa_user_sgpr_private_segment_size 0
		.amdhsa_wavefront_size32 1
		.amdhsa_uses_dynamic_stack 0
		.amdhsa_system_sgpr_private_segment_wavefront_offset 0
		.amdhsa_system_sgpr_workgroup_id_x 1
		.amdhsa_system_sgpr_workgroup_id_y 1
		.amdhsa_system_sgpr_workgroup_id_z 1
		.amdhsa_system_sgpr_workgroup_info 0
		.amdhsa_system_vgpr_workitem_id 1
		.amdhsa_next_free_vgpr 40
		.amdhsa_next_free_sgpr 22
		.amdhsa_reserve_vcc 1
		.amdhsa_reserve_flat_scratch 0
		.amdhsa_float_round_mode_32 0
		.amdhsa_float_round_mode_16_64 0
		.amdhsa_float_denorm_mode_32 3
		.amdhsa_float_denorm_mode_16_64 3
		.amdhsa_dx10_clamp 1
		.amdhsa_ieee_mode 1
		.amdhsa_fp16_overflow 0
		.amdhsa_workgroup_processor_mode 1
		.amdhsa_memory_ordered 1
		.amdhsa_forward_progress 1
		.amdhsa_shared_vgpr_count 0
		.amdhsa_exception_fp_ieee_invalid_op 0
		.amdhsa_exception_fp_denorm_src 0
		.amdhsa_exception_fp_ieee_div_zero 0
		.amdhsa_exception_fp_ieee_overflow 0
		.amdhsa_exception_fp_ieee_underflow 0
		.amdhsa_exception_fp_ieee_inexact 0
		.amdhsa_exception_int_div_zero 0
	.end_amdhsa_kernel
	.section	.text._ZL13mul_mat_vec_qIL9ggml_type40ELi1ELb0ELb1EEvPKvS2_PKi31ggml_cuda_mm_fusion_args_devicePfj15HIP_vector_typeIjLj3EEjjjS8_jjjS8_jjjj,"axG",@progbits,_ZL13mul_mat_vec_qIL9ggml_type40ELi1ELb0ELb1EEvPKvS2_PKi31ggml_cuda_mm_fusion_args_devicePfj15HIP_vector_typeIjLj3EEjjjS8_jjjS8_jjjj,comdat
.Lfunc_end86:
	.size	_ZL13mul_mat_vec_qIL9ggml_type40ELi1ELb0ELb1EEvPKvS2_PKi31ggml_cuda_mm_fusion_args_devicePfj15HIP_vector_typeIjLj3EEjjjS8_jjjS8_jjjj, .Lfunc_end86-_ZL13mul_mat_vec_qIL9ggml_type40ELi1ELb0ELb1EEvPKvS2_PKi31ggml_cuda_mm_fusion_args_devicePfj15HIP_vector_typeIjLj3EEjjjS8_jjjS8_jjjj
                                        ; -- End function
	.set _ZL13mul_mat_vec_qIL9ggml_type40ELi1ELb0ELb1EEvPKvS2_PKi31ggml_cuda_mm_fusion_args_devicePfj15HIP_vector_typeIjLj3EEjjjS8_jjjS8_jjjj.num_vgpr, 40
	.set _ZL13mul_mat_vec_qIL9ggml_type40ELi1ELb0ELb1EEvPKvS2_PKi31ggml_cuda_mm_fusion_args_devicePfj15HIP_vector_typeIjLj3EEjjjS8_jjjS8_jjjj.num_agpr, 0
	.set _ZL13mul_mat_vec_qIL9ggml_type40ELi1ELb0ELb1EEvPKvS2_PKi31ggml_cuda_mm_fusion_args_devicePfj15HIP_vector_typeIjLj3EEjjjS8_jjjS8_jjjj.numbered_sgpr, 22
	.set _ZL13mul_mat_vec_qIL9ggml_type40ELi1ELb0ELb1EEvPKvS2_PKi31ggml_cuda_mm_fusion_args_devicePfj15HIP_vector_typeIjLj3EEjjjS8_jjjS8_jjjj.num_named_barrier, 0
	.set _ZL13mul_mat_vec_qIL9ggml_type40ELi1ELb0ELb1EEvPKvS2_PKi31ggml_cuda_mm_fusion_args_devicePfj15HIP_vector_typeIjLj3EEjjjS8_jjjS8_jjjj.private_seg_size, 0
	.set _ZL13mul_mat_vec_qIL9ggml_type40ELi1ELb0ELb1EEvPKvS2_PKi31ggml_cuda_mm_fusion_args_devicePfj15HIP_vector_typeIjLj3EEjjjS8_jjjS8_jjjj.uses_vcc, 1
	.set _ZL13mul_mat_vec_qIL9ggml_type40ELi1ELb0ELb1EEvPKvS2_PKi31ggml_cuda_mm_fusion_args_devicePfj15HIP_vector_typeIjLj3EEjjjS8_jjjS8_jjjj.uses_flat_scratch, 0
	.set _ZL13mul_mat_vec_qIL9ggml_type40ELi1ELb0ELb1EEvPKvS2_PKi31ggml_cuda_mm_fusion_args_devicePfj15HIP_vector_typeIjLj3EEjjjS8_jjjS8_jjjj.has_dyn_sized_stack, 0
	.set _ZL13mul_mat_vec_qIL9ggml_type40ELi1ELb0ELb1EEvPKvS2_PKi31ggml_cuda_mm_fusion_args_devicePfj15HIP_vector_typeIjLj3EEjjjS8_jjjS8_jjjj.has_recursion, 0
	.set _ZL13mul_mat_vec_qIL9ggml_type40ELi1ELb0ELb1EEvPKvS2_PKi31ggml_cuda_mm_fusion_args_devicePfj15HIP_vector_typeIjLj3EEjjjS8_jjjS8_jjjj.has_indirect_call, 0
	.section	.AMDGPU.csdata,"",@progbits
; Kernel info:
; codeLenInByte = 1768
; TotalNumSgprs: 24
; NumVgprs: 40
; ScratchSize: 0
; MemoryBound: 0
; FloatMode: 240
; IeeeMode: 1
; LDSByteSize: 0 bytes/workgroup (compile time only)
; SGPRBlocks: 0
; VGPRBlocks: 4
; NumSGPRsForWavesPerEU: 24
; NumVGPRsForWavesPerEU: 40
; Occupancy: 16
; WaveLimiterHint : 0
; COMPUTE_PGM_RSRC2:SCRATCH_EN: 0
; COMPUTE_PGM_RSRC2:USER_SGPR: 6
; COMPUTE_PGM_RSRC2:TRAP_HANDLER: 0
; COMPUTE_PGM_RSRC2:TGID_X_EN: 1
; COMPUTE_PGM_RSRC2:TGID_Y_EN: 1
; COMPUTE_PGM_RSRC2:TGID_Z_EN: 1
; COMPUTE_PGM_RSRC2:TIDIG_COMP_CNT: 1
	.section	.text._ZL13mul_mat_vec_qIL9ggml_type40ELi1ELb1ELb0EEvPKvS2_PKi31ggml_cuda_mm_fusion_args_devicePfj15HIP_vector_typeIjLj3EEjjjS8_jjjS8_jjjj,"axG",@progbits,_ZL13mul_mat_vec_qIL9ggml_type40ELi1ELb1ELb0EEvPKvS2_PKi31ggml_cuda_mm_fusion_args_devicePfj15HIP_vector_typeIjLj3EEjjjS8_jjjS8_jjjj,comdat
	.globl	_ZL13mul_mat_vec_qIL9ggml_type40ELi1ELb1ELb0EEvPKvS2_PKi31ggml_cuda_mm_fusion_args_devicePfj15HIP_vector_typeIjLj3EEjjjS8_jjjS8_jjjj ; -- Begin function _ZL13mul_mat_vec_qIL9ggml_type40ELi1ELb1ELb0EEvPKvS2_PKi31ggml_cuda_mm_fusion_args_devicePfj15HIP_vector_typeIjLj3EEjjjS8_jjjS8_jjjj
	.p2align	8
	.type	_ZL13mul_mat_vec_qIL9ggml_type40ELi1ELb1ELb0EEvPKvS2_PKi31ggml_cuda_mm_fusion_args_devicePfj15HIP_vector_typeIjLj3EEjjjS8_jjjS8_jjjj,@function
_ZL13mul_mat_vec_qIL9ggml_type40ELi1ELb1ELb0EEvPKvS2_PKi31ggml_cuda_mm_fusion_args_devicePfj15HIP_vector_typeIjLj3EEjjjS8_jjjS8_jjjj: ; @_ZL13mul_mat_vec_qIL9ggml_type40ELi1ELb1ELb0EEvPKvS2_PKi31ggml_cuda_mm_fusion_args_devicePfj15HIP_vector_typeIjLj3EEjjjS8_jjjS8_jjjj
; %bb.0:
	s_clause 0x3
	s_load_dwordx8 s[12:19], s[4:5], 0x0
	s_load_dwordx4 s[28:31], s[4:5], 0x20
	s_load_dwordx4 s[36:39], s[4:5], 0x40
	;; [unrolled: 1-line block ×3, first 2 shown]
	s_mov_b32 s10, s7
	s_waitcnt lgkmcnt(0)
	s_cmp_lg_u64 s[16:17], 0
	s_cselect_b32 s0, -1, 0
	s_cmp_eq_u64 s[16:17], 0
	s_cbranch_scc1 .LBB87_5
; %bb.1:
	s_mov_b32 s11, 0
	s_lshl_b64 s[2:3], s[10:11], 2
	s_add_u32 s2, s16, s2
	s_addc_u32 s3, s17, s3
	s_load_dword s33, s[2:3], 0x0
	s_clause 0x1
	s_load_dword s35, s[4:5], 0x50
	s_load_dword s34, s[4:5], 0x78
	s_cbranch_execnz .LBB87_3
.LBB87_2:
	s_load_dwordx2 s[2:3], s[4:5], 0x5c
	s_waitcnt lgkmcnt(0)
	s_mul_hi_u32 s1, s2, s10
	s_add_i32 s1, s10, s1
	s_lshr_b32 s33, s1, s3
.LBB87_3:
	s_andn2_b32 vcc_lo, exec_lo, s0
	s_cbranch_vccnz .LBB87_6
; %bb.4:
	s_mul_hi_u32 s0, s37, s10
	s_waitcnt lgkmcnt(0)
	s_mov_b32 s1, s33
	s_add_i32 s0, s10, s0
	s_lshr_b32 s0, s0, s38
	s_mul_i32 s0, s0, s39
	s_sub_i32 s11, s10, s0
	s_branch .LBB87_7
.LBB87_5:
                                        ; implicit-def: $sgpr33
	s_clause 0x1
	s_load_dword s35, s[4:5], 0x50
	s_load_dword s34, s[4:5], 0x78
	s_branch .LBB87_2
.LBB87_6:
	s_mov_b32 s1, s10
	s_mov_b32 s11, s10
.LBB87_7:
	s_load_dwordx4 s[24:27], s[4:5], 0x80
	v_or_b32_e32 v2, v0, v1
	s_cmp_lg_u64 s[18:19], 0
	v_mov_b32_e32 v22, 0
	v_mov_b32_e32 v23, 0
	s_cselect_b32 s0, -1, 0
	v_cmp_eq_u32_e32 vcc_lo, 0, v2
	s_mov_b32 s17, 0
	s_mul_i32 s2, s1, s22
	s_and_b32 s3, s0, vcc_lo
	s_and_saveexec_b32 s1, s3
	s_cbranch_execz .LBB87_9
; %bb.8:
	s_waitcnt lgkmcnt(0)
	s_mul_i32 s16, s26, s8
	s_mov_b32 s3, s17
	s_lshl_b64 s[38:39], s[16:17], 2
	v_lshlrev_b32_e32 v2, 2, v0
	s_add_u32 s7, s18, s38
	s_addc_u32 s9, s19, s39
	s_lshl_b64 s[16:17], s[2:3], 2
	s_add_u32 s3, s7, s16
	s_addc_u32 s9, s9, s17
	s_ashr_i32 s7, s6, 31
	s_lshl_b64 s[16:17], s[6:7], 2
	s_add_u32 s16, s3, s16
	s_addc_u32 s17, s9, s17
	global_load_dword v23, v2, s[16:17]
.LBB87_9:
	s_or_b32 exec_lo, exec_lo, s1
	s_cmp_lg_u64 s[28:29], 0
	s_cselect_b32 s9, -1, 0
	s_cmp_lg_u64 s[30:31], 0
	s_cselect_b32 s1, -1, 0
	s_and_b32 s3, s1, s9
	s_and_b32 s3, s3, vcc_lo
	s_and_saveexec_b32 s16, s3
	s_cbranch_execz .LBB87_11
; %bb.10:
	s_waitcnt lgkmcnt(0)
	s_mul_i32 s18, s26, s8
	s_mov_b32 s19, 0
	v_lshlrev_b32_e32 v2, 2, v0
	s_lshl_b64 s[38:39], s[18:19], 2
	s_mov_b32 s3, s19
	s_add_u32 s7, s30, s38
	s_addc_u32 s17, s31, s39
	s_lshl_b64 s[2:3], s[2:3], 2
	s_add_u32 s18, s7, s2
	s_addc_u32 s17, s17, s3
	s_ashr_i32 s7, s6, 31
	s_lshl_b64 s[2:3], s[6:7], 2
	s_add_u32 s2, s18, s2
	s_addc_u32 s3, s17, s3
	global_load_dword v22, v2, s[2:3]
.LBB87_11:
	s_or_b32 exec_lo, exec_lo, s16
	v_lshl_or_b32 v2, v1, 5, v0
	v_mov_b32_e32 v27, 0
	v_cndmask_b32_e64 v24, 0, 1, s9
	v_mov_b32_e32 v25, 0
	s_lshr_b32 s3, s36, 6
	v_lshrrev_b16 v3, 1, v2
	s_mov_b32 s7, exec_lo
	v_and_b32_e32 v26, 0xffff, v3
	v_cmpx_gt_u32_e64 s3, v26
	s_cbranch_execz .LBB87_41
; %bb.12:
	v_lshrrev_b32_e32 v2, 1, v2
	s_mul_i32 s2, s11, s21
	s_waitcnt lgkmcnt(0)
	s_mul_i32 s11, s25, s8
	s_mul_hi_u32 s17, s2, 36
	s_mul_i32 s16, s2, 36
	v_and_b32_e32 v5, 1, v0
	v_mad_u64_u32 v[2:3], null, 0x48, v2, s[16:17]
	v_lshlrev_b32_e32 v4, 2, v0
	s_mul_hi_u32 s2, s23, s8
	s_mul_i32 s35, s35, s6
	s_add_i32 s2, s8, s2
	v_mov_b32_e32 v28, 0
	v_and_b32_e32 v4, 4, v4
	v_mad_u64_u32 v[2:3], null, s11, 36, v[2:3]
	s_lshr_b32 s2, s2, s34
	v_mov_b32_e32 v32, 0x7e
	s_mul_i32 s2, s2, s24
	v_lshrrev_b32_e32 v29, 1, v4
	v_lshlrev_b32_e32 v31, 2, v4
	v_mov_b32_e32 v33, 0x7f
	v_mad_u64_u32 v[2:3], null, v5, 36, v[2:3]
	v_or_b32_e32 v5, 2, v4
	v_mov_b32_e32 v34, 0xffff
	v_mov_b32_e32 v27, 0
	;; [unrolled: 1-line block ×3, first 2 shown]
	s_mul_i32 s16, s33, s20
	v_lshrrev_b32_e32 v30, 1, v5
	v_add_co_u32 v2, vcc_lo, s14, v2
	v_add_co_ci_u32_e64 v3, null, s15, v3, vcc_lo
	s_add_i32 s2, s2, s35
	v_add_co_u32 v14, vcc_lo, v2, 16
	v_add_co_ci_u32_e64 v15, null, 0, v3, vcc_lo
	s_mov_b32 s11, 0
	s_add_i32 s16, s16, s2
	s_mov_b32 s14, 0xf4f8fafc
	s_mov_b32 s15, 0xc080604
	;; [unrolled: 1-line block ×3, first 2 shown]
	s_branch .LBB87_15
.LBB87_13:                              ;   in Loop: Header=BB87_15 Depth=1
	s_or_b32 exec_lo, exec_lo, s18
	v_ashrrev_i32_e32 v49, 4, v16
	v_and_b32_e32 v50, 0x7070707, v16
	v_lshrrev_b32_e32 v16, 1, v16
	s_waitcnt vmcnt(0)
	v_ashrrev_i32_e32 v40, 4, v18
	v_and_b32_e32 v42, 0x7070707, v18
	v_lshrrev_b32_e32 v18, 1, v18
	v_and_b32_e32 v52, 0x7070707, v49
	v_lshrrev_b32_e32 v49, 1, v49
	v_perm_b32 v53, s14, 0xfdfeff00, v50
	v_perm_b32 v50, s15, 0x3020100, v50
	v_and_or_b32 v16, v16, s17, 0x3020100
	v_and_b32_e32 v45, 0x7070707, v40
	v_lshrrev_b32_e32 v40, 1, v40
	v_perm_b32 v46, s14, 0xfdfeff00, v42
	v_perm_b32 v42, s15, 0x3020100, v42
	v_and_or_b32 v18, v18, s17, 0x3020100
	v_ashrrev_i32_e32 v48, 4, v17
	v_and_b32_e32 v51, 0x7070707, v17
	v_lshrrev_b32_e32 v17, 1, v17
	v_perm_b32 v54, s14, 0xfdfeff00, v52
	v_perm_b32 v52, s15, 0x3020100, v52
	v_and_or_b32 v49, v49, s17, 0x3020100
	v_perm_b32 v16, v53, v50, v16
	v_mov_b32_e32 v50, 0
	v_ashrrev_i32_e32 v21, 4, v19
	v_and_b32_e32 v39, 0x7070707, v19
	v_lshrrev_b32_e32 v19, 1, v19
	v_perm_b32 v47, s14, 0xfdfeff00, v45
	v_perm_b32 v45, s15, 0x3020100, v45
	v_and_or_b32 v40, v40, s17, 0x3020100
	v_perm_b32 v18, v46, v42, v18
	v_mov_b32_e32 v42, 0
	v_and_b32_e32 v46, 0x7070707, v48
	v_lshrrev_b32_e32 v48, 1, v48
	v_perm_b32 v53, s14, 0xfdfeff00, v51
	v_perm_b32 v51, s15, 0x3020100, v51
	v_and_or_b32 v17, v17, s17, 0x3020100
	v_perm_b32 v49, v54, v52, v49
	v_dot4c_i32_i8 v50, v16, v7
	v_and_b32_e32 v41, 0x7070707, v21
	v_lshrrev_b32_e32 v21, 1, v21
	v_perm_b32 v43, s14, 0xfdfeff00, v39
	v_perm_b32 v39, s15, 0x3020100, v39
	v_and_or_b32 v19, v19, s17, 0x3020100
	v_perm_b32 v16, s14, 0xfdfeff00, v46
	v_perm_b32 v46, s15, 0x3020100, v46
	v_and_or_b32 v48, v48, s17, 0x3020100
	v_perm_b32 v17, v53, v51, v17
	v_dot4c_i32_i8 v50, v49, v9
	v_perm_b32 v40, v47, v45, v40
	v_dot4c_i32_i8 v42, v18, v3
	v_perm_b32 v44, s14, 0xfdfeff00, v41
	v_perm_b32 v41, s15, 0x3020100, v41
	v_and_or_b32 v18, v21, s17, 0x3020100
	v_perm_b32 v16, v16, v46, v48
	v_dot4c_i32_i8 v50, v17, v8
	v_perm_b32 v17, v43, v39, v19
	v_dot4c_i32_i8 v42, v40, v5
	v_dot4c_i32_i8 v50, v16, v2
	v_perm_b32 v16, v44, v41, v18
	v_dot4c_i32_i8 v42, v17, v4
	v_mul_f32_e32 v17, v38, v6
	v_cvt_f32_i32_e32 v18, v50
	v_dot4c_i32_i8 v42, v16, v35
	v_fma_f32 v16, v17, v18, 0
	v_mul_f32_e32 v17, v20, v6
	v_cvt_f32_i32_e32 v18, v42
	v_fmac_f32_e32 v16, v17, v18
	v_add_f32_e32 v25, v25, v16
.LBB87_14:                              ;   in Loop: Header=BB87_15 Depth=1
	v_ashrrev_i32_e32 v18, 4, v12
	v_and_b32_e32 v19, 0x7070707, v12
	v_lshrrev_b32_e32 v12, 1, v12
	v_ashrrev_i32_e32 v16, 4, v13
	v_and_b32_e32 v17, 0x7070707, v13
	v_and_b32_e32 v38, 0x7070707, v18
	v_lshrrev_b32_e32 v18, 1, v18
	v_perm_b32 v40, s14, 0xfdfeff00, v19
	v_perm_b32 v19, s15, 0x3020100, v19
	v_and_or_b32 v12, v12, s17, 0x3020100
	v_perm_b32 v41, s14, 0xfdfeff00, v38
	v_perm_b32 v38, s15, 0x3020100, v38
	v_and_or_b32 v18, v18, s17, 0x3020100
	v_lshrrev_b32_e32 v13, 1, v13
	v_perm_b32 v12, v40, v19, v12
	v_mov_b32_e32 v19, 0
	v_ashrrev_i32_e32 v40, 4, v11
	v_perm_b32 v18, v41, v38, v18
	v_and_b32_e32 v41, 0x7070707, v11
	v_lshrrev_b32_e32 v11, 1, v11
	v_dot4c_i32_i8 v19, v12, v3
	v_and_b32_e32 v3, 0x7070707, v40
	v_ashrrev_i32_e32 v12, 4, v10
	v_lshrrev_b32_e32 v38, 1, v40
	v_and_b32_e32 v40, 0x7070707, v10
	v_lshrrev_b32_e32 v10, 1, v10
	v_and_or_b32 v11, v11, s17, 0x3020100
	v_and_b32_e32 v42, 0x7070707, v12
	v_lshrrev_b32_e32 v12, 1, v12
	v_perm_b32 v43, s14, 0xfdfeff00, v40
	v_perm_b32 v40, s15, 0x3020100, v40
	v_and_or_b32 v10, v10, s17, 0x3020100
	v_perm_b32 v44, s14, 0xfdfeff00, v42
	v_perm_b32 v42, s15, 0x3020100, v42
	v_and_or_b32 v12, v12, s17, 0x3020100
	v_and_b32_e32 v20, 0x7070707, v16
	v_perm_b32 v10, v43, v40, v10
	v_mov_b32_e32 v40, 0
	v_perm_b32 v43, s14, 0xfdfeff00, v41
	v_perm_b32 v41, s15, 0x3020100, v41
	;; [unrolled: 1-line block ×3, first 2 shown]
	v_lshrrev_b32_e32 v16, 1, v16
	v_dot4c_i32_i8 v40, v10, v7
	v_perm_b32 v21, s14, 0xfdfeff00, v17
	v_perm_b32 v17, s15, 0x3020100, v17
	v_and_or_b32 v13, v13, s17, 0x3020100
	v_perm_b32 v7, s14, 0xfdfeff00, v3
	v_perm_b32 v3, s15, 0x3020100, v3
	v_and_or_b32 v10, v38, s17, 0x3020100
	v_perm_b32 v11, v43, v41, v11
	v_dot4c_i32_i8 v40, v12, v9
	v_perm_b32 v39, s14, 0xfdfeff00, v20
	v_perm_b32 v20, s15, 0x3020100, v20
	v_and_or_b32 v9, v16, s17, 0x3020100
	v_perm_b32 v12, v21, v17, v13
	v_dot4c_i32_i8 v19, v18, v5
	v_perm_b32 v3, v7, v3, v10
	v_dot4c_i32_i8 v40, v11, v8
	v_perm_b32 v5, v39, v20, v9
	v_add_nc_u32_e32 v26, 16, v26
	v_dot4c_i32_i8 v19, v12, v4
	v_add_co_u32 v14, s2, 0x480, v14
	v_dot4c_i32_i8 v40, v3, v2
	v_mul_f32_e32 v3, v36, v6
	v_dot4c_i32_i8 v19, v5, v35
	v_cmp_le_u32_e32 vcc_lo, s3, v26
	v_add_co_ci_u32_e64 v15, null, 0, v15, s2
	v_cvt_f32_i32_e32 v2, v40
	v_cvt_f32_i32_e32 v4, v19
	s_or_b32 s11, vcc_lo, s11
	v_fma_f32 v2, v3, v2, 0
	v_mul_f32_e32 v3, v37, v6
	v_fmac_f32_e32 v2, v3, v4
	v_add_f32_e32 v27, v27, v2
	s_andn2_b32 exec_lo, exec_lo, s11
	s_cbranch_execz .LBB87_40
.LBB87_15:                              ; =>This Inner Loop Header: Depth=1
	v_add_nc_u32_e32 v16, s16, v26
	s_mov_b32 s2, 0
	v_mad_i64_i32 v[2:3], null, v16, 36, s[12:13]
	v_add_co_u32 v4, vcc_lo, v2, v29
	v_add_co_ci_u32_e64 v5, null, 0, v3, vcc_lo
	v_add_co_u32 v2, vcc_lo, v2, v31
	v_add_co_ci_u32_e64 v3, null, 0, v3, vcc_lo
	s_clause 0x1
	global_load_ushort v17, v[4:5], off
	global_load_dwordx4 v[10:13], v[2:3], off offset:4
	s_clause 0x2
	global_load_dword v35, v[14:15], off offset:16
	global_load_dwordx4 v[2:5], v[14:15], off
	global_load_dwordx4 v[6:9], v[14:15], off offset:-16
	s_waitcnt vmcnt(4)
	v_cmp_gt_i16_sdwa s18, v17, v32 src0_sel:BYTE_0 src1_sel:DWORD
	s_and_saveexec_b32 s19, s18
	s_xor_b32 s18, exec_lo, s19
	s_cbranch_execnz .LBB87_23
; %bb.16:                               ;   in Loop: Header=BB87_15 Depth=1
	s_andn2_saveexec_b32 s18, s18
	s_cbranch_execnz .LBB87_24
.LBB87_17:                              ;   in Loop: Header=BB87_15 Depth=1
	s_or_b32 exec_lo, exec_lo, s18
	v_mov_b32_e32 v36, 0
	s_and_saveexec_b32 s18, s2
	s_cbranch_execz .LBB87_19
.LBB87_18:                              ;   in Loop: Header=BB87_15 Depth=1
	v_and_b32_e32 v18, 7, v17
	v_lshrrev_b16 v19, 3, v17
	v_cvt_f32_ubyte0_e32 v18, v18
	v_and_b32_e32 v19, 15, v19
	v_fma_f32 v20, 0x3e000000, v18, 1.0
	v_add_nc_u32_e32 v21, -7, v19
	v_cmp_eq_u32_e32 vcc_lo, 0, v19
	v_cndmask_b32_e32 v18, v20, v18, vcc_lo
	v_cndmask_b32_e64 v19, v21, -9, vcc_lo
	v_ldexp_f32 v18, v18, v19
	v_mul_f32_e32 v36, 0.5, v18
.LBB87_19:                              ;   in Loop: Header=BB87_15 Depth=1
	s_or_b32 exec_lo, exec_lo, s18
	v_cmp_gt_i16_sdwa s18, v17, v32 src0_sel:BYTE_1 src1_sel:DWORD
	s_mov_b32 s2, 0
	s_and_saveexec_b32 s19, s18
	s_xor_b32 s18, exec_lo, s19
	s_cbranch_execnz .LBB87_25
; %bb.20:                               ;   in Loop: Header=BB87_15 Depth=1
	s_andn2_saveexec_b32 s18, s18
	s_cbranch_execnz .LBB87_26
.LBB87_21:                              ;   in Loop: Header=BB87_15 Depth=1
	s_or_b32 exec_lo, exec_lo, s18
	v_mov_b32_e32 v37, 0
	s_and_saveexec_b32 s18, s2
	s_cbranch_execnz .LBB87_27
.LBB87_22:                              ;   in Loop: Header=BB87_15 Depth=1
	s_or_b32 exec_lo, exec_lo, s18
	s_waitcnt vmcnt(0)
	v_cvt_f32_f16_e32 v6, v6
	s_andn2_b32 vcc_lo, exec_lo, s9
	s_cbranch_vccz .LBB87_28
	s_branch .LBB87_14
.LBB87_23:                              ;   in Loop: Header=BB87_15 Depth=1
	v_cmp_ne_u16_sdwa s2, v17, v33 src0_sel:BYTE_0 src1_sel:DWORD
	s_and_b32 s2, s2, exec_lo
	s_andn2_saveexec_b32 s18, s18
	s_cbranch_execz .LBB87_17
.LBB87_24:                              ;   in Loop: Header=BB87_15 Depth=1
	v_cmp_ne_u16_sdwa s19, v17, v28 src0_sel:BYTE_0 src1_sel:DWORD
	s_andn2_b32 s2, s2, exec_lo
	s_and_b32 s19, s19, exec_lo
	s_or_b32 s2, s2, s19
	s_or_b32 exec_lo, exec_lo, s18
	v_mov_b32_e32 v36, 0
	s_and_saveexec_b32 s18, s2
	s_cbranch_execnz .LBB87_18
	s_branch .LBB87_19
.LBB87_25:                              ;   in Loop: Header=BB87_15 Depth=1
	v_cmp_ne_u16_sdwa s2, v17, v33 src0_sel:BYTE_1 src1_sel:DWORD
	s_and_b32 s2, s2, exec_lo
	s_andn2_saveexec_b32 s18, s18
	s_cbranch_execz .LBB87_21
.LBB87_26:                              ;   in Loop: Header=BB87_15 Depth=1
	v_cmp_ne_u16_sdwa s19, v17, v28 src0_sel:BYTE_1 src1_sel:DWORD
	s_andn2_b32 s2, s2, exec_lo
	s_and_b32 s19, s19, exec_lo
	s_or_b32 s2, s2, s19
	s_or_b32 exec_lo, exec_lo, s18
	v_mov_b32_e32 v37, 0
	s_and_saveexec_b32 s18, s2
	s_cbranch_execz .LBB87_22
.LBB87_27:                              ;   in Loop: Header=BB87_15 Depth=1
	v_and_b32_sdwa v17, v34, v17 dst_sel:DWORD dst_unused:UNUSED_PAD src0_sel:DWORD src1_sel:BYTE_1
	v_and_b32_e32 v18, 7, v17
	v_bfe_u32 v17, v17, 3, 4
	v_cvt_f32_ubyte0_e32 v18, v18
	v_add_nc_u32_e32 v19, -7, v17
	v_cmp_eq_u32_e32 vcc_lo, 0, v17
	v_fma_f32 v20, 0x3e000000, v18, 1.0
	v_cndmask_b32_e32 v17, v20, v18, vcc_lo
	v_cndmask_b32_e64 v18, v19, -9, vcc_lo
	v_ldexp_f32 v17, v17, v18
	v_mul_f32_e32 v37, 0.5, v17
	s_or_b32 exec_lo, exec_lo, s18
	s_waitcnt vmcnt(0)
	v_cvt_f32_f16_e32 v6, v6
	s_andn2_b32 vcc_lo, exec_lo, s9
	s_cbranch_vccnz .LBB87_14
.LBB87_28:                              ;   in Loop: Header=BB87_15 Depth=1
	v_mad_i64_i32 v[18:19], null, v16, 36, s[28:29]
	s_mov_b32 s2, 0
	s_mov_b32 s18, exec_lo
	v_add_co_u32 v16, vcc_lo, v18, v29
	v_add_co_ci_u32_e64 v17, null, 0, v19, vcc_lo
	v_add_co_u32 v20, vcc_lo, v18, v31
	v_add_co_ci_u32_e64 v21, null, 0, v19, vcc_lo
	s_clause 0x1
	global_load_ubyte v39, v[16:17], off
	global_load_dwordx2 v[16:17], v[20:21], off offset:4
	s_waitcnt vmcnt(1)
	v_cmpx_lt_i16_e32 0x7e, v39
	s_xor_b32 s18, exec_lo, s18
	s_cbranch_execnz .LBB87_35
; %bb.29:                               ;   in Loop: Header=BB87_15 Depth=1
	s_andn2_saveexec_b32 s18, s18
	s_cbranch_execnz .LBB87_36
.LBB87_30:                              ;   in Loop: Header=BB87_15 Depth=1
	s_or_b32 exec_lo, exec_lo, s18
	v_mov_b32_e32 v38, 0
	s_and_saveexec_b32 s18, s2
	s_cbranch_execz .LBB87_32
.LBB87_31:                              ;   in Loop: Header=BB87_15 Depth=1
	v_and_b32_e32 v38, 0xffff, v39
	v_and_b32_e32 v39, 7, v38
	v_bfe_u32 v38, v38, 3, 4
	v_cvt_f32_ubyte0_e32 v39, v39
	v_add_nc_u32_e32 v40, -7, v38
	v_cmp_eq_u32_e32 vcc_lo, 0, v38
	v_fma_f32 v41, 0x3e000000, v39, 1.0
	v_cndmask_b32_e32 v38, v41, v39, vcc_lo
	v_cndmask_b32_e64 v39, v40, -9, vcc_lo
	v_ldexp_f32 v38, v38, v39
	v_mul_f32_e32 v38, 0.5, v38
.LBB87_32:                              ;   in Loop: Header=BB87_15 Depth=1
	s_or_b32 exec_lo, exec_lo, s18
	v_add_co_u32 v18, vcc_lo, v18, v30
	v_add_co_ci_u32_e64 v19, null, 0, v19, vcc_lo
	s_mov_b32 s2, 0
	s_mov_b32 s18, exec_lo
	s_clause 0x1
	global_load_ubyte v39, v[18:19], off
	global_load_dwordx2 v[18:19], v[20:21], off offset:12
	s_waitcnt vmcnt(1)
	v_cmpx_lt_i16_e32 0x7e, v39
	s_xor_b32 s18, exec_lo, s18
	s_cbranch_execnz .LBB87_37
; %bb.33:                               ;   in Loop: Header=BB87_15 Depth=1
	s_andn2_saveexec_b32 s18, s18
	s_cbranch_execnz .LBB87_38
.LBB87_34:                              ;   in Loop: Header=BB87_15 Depth=1
	s_or_b32 exec_lo, exec_lo, s18
	v_mov_b32_e32 v20, 0
	s_and_saveexec_b32 s18, s2
	s_cbranch_execz .LBB87_13
	s_branch .LBB87_39
.LBB87_35:                              ;   in Loop: Header=BB87_15 Depth=1
	v_cmp_ne_u16_e32 vcc_lo, 0x7f, v39
	s_and_b32 s2, vcc_lo, exec_lo
	s_andn2_saveexec_b32 s18, s18
	s_cbranch_execz .LBB87_30
.LBB87_36:                              ;   in Loop: Header=BB87_15 Depth=1
	v_cmp_ne_u16_e32 vcc_lo, 0, v39
	s_andn2_b32 s2, s2, exec_lo
	s_and_b32 s19, vcc_lo, exec_lo
	s_or_b32 s2, s2, s19
	s_or_b32 exec_lo, exec_lo, s18
	v_mov_b32_e32 v38, 0
	s_and_saveexec_b32 s18, s2
	s_cbranch_execnz .LBB87_31
	s_branch .LBB87_32
.LBB87_37:                              ;   in Loop: Header=BB87_15 Depth=1
	v_cmp_ne_u16_e32 vcc_lo, 0x7f, v39
	s_and_b32 s2, vcc_lo, exec_lo
	s_andn2_saveexec_b32 s18, s18
	s_cbranch_execz .LBB87_34
.LBB87_38:                              ;   in Loop: Header=BB87_15 Depth=1
	v_cmp_ne_u16_e32 vcc_lo, 0, v39
	s_andn2_b32 s2, s2, exec_lo
	s_and_b32 s19, vcc_lo, exec_lo
	s_or_b32 s2, s2, s19
	s_or_b32 exec_lo, exec_lo, s18
	v_mov_b32_e32 v20, 0
	s_and_saveexec_b32 s18, s2
	s_cbranch_execz .LBB87_13
.LBB87_39:                              ;   in Loop: Header=BB87_15 Depth=1
	v_and_b32_e32 v20, 0xffff, v39
	v_and_b32_e32 v21, 7, v20
	v_bfe_u32 v20, v20, 3, 4
	v_cvt_f32_ubyte0_e32 v21, v21
	v_add_nc_u32_e32 v39, -7, v20
	v_cmp_eq_u32_e32 vcc_lo, 0, v20
	v_fma_f32 v40, 0x3e000000, v21, 1.0
	v_cndmask_b32_e32 v20, v40, v21, vcc_lo
	v_cndmask_b32_e64 v21, v39, -9, vcc_lo
	v_ldexp_f32 v20, v20, v21
	v_mul_f32_e32 v20, 0.5, v20
	s_branch .LBB87_13
.LBB87_40:
	s_or_b32 exec_lo, exec_lo, s11
.LBB87_41:
	s_or_b32 exec_lo, exec_lo, s7
	s_load_dword s2, s[4:5], 0x30
	s_waitcnt vmcnt(0) lgkmcnt(0)
	; wave barrier
	buffer_gl0_inv
	s_mov_b32 s3, exec_lo
	v_cmpx_eq_u32_e32 0, v1
	s_cbranch_execz .LBB87_68
; %bb.42:
	v_mbcnt_lo_u32_b32 v2, -1, 0
	v_xor_b32_e32 v1, 16, v2
	v_xor_b32_e32 v4, 8, v2
	;; [unrolled: 1-line block ×3, first 2 shown]
	v_cmp_gt_i32_e32 vcc_lo, 32, v1
	v_cndmask_b32_e32 v1, v2, v1, vcc_lo
	v_cmp_gt_i32_e32 vcc_lo, 32, v4
	v_lshlrev_b32_e32 v1, 2, v1
	v_cndmask_b32_e32 v4, v2, v4, vcc_lo
	v_cmp_gt_i32_e32 vcc_lo, 32, v5
	ds_bpermute_b32 v3, v1, v27
	v_lshlrev_b32_e32 v4, 2, v4
	v_cndmask_b32_e32 v5, v2, v5, vcc_lo
	v_lshlrev_b32_e32 v5, 2, v5
	s_waitcnt lgkmcnt(0)
	v_add_f32_e32 v3, v27, v3
	ds_bpermute_b32 v6, v4, v3
	s_waitcnt lgkmcnt(0)
	v_add_f32_e32 v3, v3, v6
	v_xor_b32_e32 v6, 2, v2
	ds_bpermute_b32 v7, v5, v3
	v_cmp_gt_i32_e32 vcc_lo, 32, v6
	v_cndmask_b32_e32 v6, v2, v6, vcc_lo
	v_lshlrev_b32_e32 v6, 2, v6
	s_waitcnt lgkmcnt(0)
	v_add_f32_e32 v3, v3, v7
	v_xor_b32_e32 v7, 1, v2
	ds_bpermute_b32 v8, v6, v3
	v_cmp_gt_i32_e32 vcc_lo, 32, v7
	v_cndmask_b32_e32 v2, v2, v7, vcc_lo
	v_cmp_ne_u32_e32 vcc_lo, 1, v24
	v_lshlrev_b32_e32 v7, 2, v2
	s_waitcnt lgkmcnt(0)
	v_add_f32_e32 v2, v3, v8
	ds_bpermute_b32 v3, v7, v2
	s_cbranch_vccnz .LBB87_44
; %bb.43:
	ds_bpermute_b32 v1, v1, v25
	s_waitcnt lgkmcnt(0)
	v_add_f32_e32 v1, v25, v1
	ds_bpermute_b32 v4, v4, v1
	s_waitcnt lgkmcnt(0)
	v_add_f32_e32 v1, v1, v4
	;; [unrolled: 3-line block ×5, first 2 shown]
.LBB87_44:
	v_cmp_eq_u32_e32 vcc_lo, 0, v0
	s_and_b32 exec_lo, exec_lo, vcc_lo
	s_cbranch_execz .LBB87_68
; %bb.45:
	s_waitcnt lgkmcnt(0)
	v_add_f32_e32 v1, v2, v3
	v_cmp_ne_u32_e32 vcc_lo, 1, v24
	v_add_f32_e32 v2, v23, v1
	v_cndmask_b32_e64 v1, v1, v2, s0
	s_cbranch_vccnz .LBB87_67
; %bb.46:
	v_add_f32_e32 v2, v22, v25
	s_cmp_lt_i32 s2, 2
	s_mov_b32 s0, 0
	v_cndmask_b32_e64 v2, v25, v2, s1
	s_cbranch_scc1 .LBB87_50
; %bb.47:
	s_cmp_gt_i32 s2, 2
	s_cbranch_scc0 .LBB87_51
; %bb.48:
	s_cmp_eq_u32 s2, 3
	s_cbranch_scc0 .LBB87_52
; %bb.49:
	v_max_f32_e32 v3, v2, v2
	s_mov_b32 s1, 0
	v_min_f32_e32 v3, 0x40e00000, v3
	v_mul_f32_e32 v4, 0xbfd9db23, v3
	v_mul_f32_e32 v5, 0x3fb8aa3b, v4
	v_cmp_ngt_f32_e32 vcc_lo, 0xc2ce8ed0, v4
	v_fma_f32 v6, 0x3fb8aa3b, v4, -v5
	v_rndne_f32_e32 v7, v5
	v_fmamk_f32 v6, v4, 0x32a5705f, v6
	v_sub_f32_e32 v5, v5, v7
	v_add_f32_e32 v5, v5, v6
	v_cvt_i32_f32_e32 v6, v7
	v_exp_f32_e32 v5, v5
	v_ldexp_f32 v5, v5, v6
	v_cndmask_b32_e32 v5, 0, v5, vcc_lo
	v_cmp_nlt_f32_e32 vcc_lo, 0x42b17218, v4
	v_cndmask_b32_e32 v4, 0x7f800000, v5, vcc_lo
	v_add_f32_e32 v4, 1.0, v4
	v_div_scale_f32 v5, null, v4, v4, v3
	v_div_scale_f32 v8, vcc_lo, v3, v4, v3
	v_rcp_f32_e32 v6, v5
	v_fma_f32 v7, -v5, v6, 1.0
	v_fmac_f32_e32 v6, v7, v6
	v_mul_f32_e32 v7, v8, v6
	v_fma_f32 v9, -v5, v7, v8
	v_fmac_f32_e32 v7, v9, v6
	v_max_f32_e32 v9, v1, v1
	v_fma_f32 v5, -v5, v7, v8
	v_min_f32_e32 v8, 0x40e00000, v9
	v_div_fmas_f32 v5, v5, v6, v7
	v_max_f32_e32 v6, 0xc0e00000, v8
	v_div_fixup_f32 v3, v5, v4, v3
	v_add_f32_e32 v4, 1.0, v6
	v_mul_f32_e32 v3, v4, v3
	s_branch .LBB87_53
.LBB87_50:
	s_mov_b32 s1, 0
                                        ; implicit-def: $vgpr3
	s_cbranch_execnz .LBB87_57
	s_branch .LBB87_58
.LBB87_51:
	s_mov_b32 s3, -1
	s_mov_b32 s1, 0
                                        ; implicit-def: $vgpr3
	s_branch .LBB87_54
.LBB87_52:
	s_mov_b32 s1, -1
                                        ; implicit-def: $vgpr3
.LBB87_53:
	s_mov_b32 s3, 0
.LBB87_54:
	s_and_b32 vcc_lo, exec_lo, s3
	s_cbranch_vccz .LBB87_56
; %bb.55:
	v_mul_f32_e32 v3, 0xbfb8aa3b, v2
	v_cmp_nlt_f32_e32 vcc_lo, 0x42ce8ed0, v2
	v_rndne_f32_e32 v4, v3
	v_fma_f32 v5, 0xbfb8aa3b, v2, -v3
	v_sub_f32_e32 v3, v3, v4
	v_fmamk_f32 v5, v2, 0xb2a5705f, v5
	v_cvt_i32_f32_e32 v4, v4
	v_add_f32_e32 v3, v3, v5
	v_exp_f32_e32 v3, v3
	v_ldexp_f32 v3, v3, v4
	v_cndmask_b32_e32 v3, 0, v3, vcc_lo
	v_cmp_ngt_f32_e32 vcc_lo, 0xc2b17218, v2
	v_cndmask_b32_e32 v3, 0x7f800000, v3, vcc_lo
	v_add_f32_e32 v3, 1.0, v3
	v_div_scale_f32 v4, null, v3, v3, v2
	v_rcp_f32_e32 v5, v4
	v_fma_f32 v6, -v4, v5, 1.0
	v_fmac_f32_e32 v5, v6, v5
	v_div_scale_f32 v6, vcc_lo, v2, v3, v2
	v_mul_f32_e32 v7, v6, v5
	v_fma_f32 v8, -v4, v7, v6
	v_fmac_f32_e32 v7, v8, v5
	v_fma_f32 v4, -v4, v7, v6
	v_div_fmas_f32 v4, v4, v5, v7
	v_div_fixup_f32 v3, v4, v3, v2
	v_mul_f32_e32 v3, v1, v3
.LBB87_56:
	s_branch .LBB87_58
.LBB87_57:
	s_cmp_lg_u32 s2, 1
	s_mov_b32 s0, -1
	s_cselect_b32 s1, -1, 0
.LBB87_58:
	s_andn2_b32 vcc_lo, exec_lo, s1
	s_cbranch_vccz .LBB87_60
; %bb.59:
	s_andn2_b32 vcc_lo, exec_lo, s0
	s_cbranch_vccz .LBB87_61
	s_branch .LBB87_66
.LBB87_60:
	v_mul_f32_e32 v3, v2, v1
	s_cbranch_execnz .LBB87_66
.LBB87_61:
	v_mul_f32_e32 v3, 0x3d372713, v2
	v_mul_f32_e32 v4, 0x3f4c422a, v2
	v_fma_f32 v3, v2, v3, 1.0
	v_mul_f32_e32 v3, v4, v3
                                        ; implicit-def: $vgpr4
	v_cmp_ngt_f32_e64 s0, 0x3f200000, |v3|
	s_and_saveexec_b32 s1, s0
	s_xor_b32 s0, exec_lo, s1
	s_cbranch_execz .LBB87_63
; %bb.62:
	v_add_f32_e64 v4, |v3|, |v3|
	v_mul_f32_e32 v5, 0x3fb8aa3b, v4
	v_cmp_ngt_f32_e32 vcc_lo, 0xc2ce8ed0, v4
	v_rndne_f32_e32 v6, v5
	v_fma_f32 v7, 0x3fb8aa3b, v4, -v5
	v_sub_f32_e32 v5, v5, v6
	v_fmamk_f32 v7, v4, 0x32a5705f, v7
	v_cvt_i32_f32_e32 v6, v6
	v_add_f32_e32 v5, v5, v7
	v_exp_f32_e32 v5, v5
	v_ldexp_f32 v5, v5, v6
	v_cndmask_b32_e32 v5, 0, v5, vcc_lo
	v_cmp_nlt_f32_e32 vcc_lo, 0x42b17218, v4
	v_cndmask_b32_e32 v4, 0x7f800000, v5, vcc_lo
	v_add_f32_e32 v4, 1.0, v4
	v_rcp_f32_e32 v4, v4
	v_fma_f32 v4, v4, -2.0, 1.0
.LBB87_63:
	s_andn2_saveexec_b32 s0, s0
	s_cbranch_execz .LBB87_65
; %bb.64:
	v_mul_f32_e32 v4, v3, v3
	s_mov_b32 s1, 0xbbbac73d
	v_fmaak_f32 v5, s1, v4, 0x3ca908c9
	v_fmaak_f32 v5, v4, v5, 0xbd5c1c4e
	;; [unrolled: 1-line block ×4, first 2 shown]
	v_mul_f32_e64 v5, |v3|, v5
	v_fma_f32 v4, v4, v5, |v3|
.LBB87_65:
	s_or_b32 exec_lo, exec_lo, s0
	v_bfi_b32 v3, 0x7fffffff, v4, v3
	v_mul_f32_e32 v2, 0.5, v2
	v_add_f32_e32 v3, 1.0, v3
	v_mul_f32_e32 v2, v2, v3
	v_mul_f32_e32 v3, v1, v2
.LBB87_66:
	v_mov_b32_e32 v1, v3
.LBB87_67:
	s_load_dwordx2 s[0:1], s[4:5], 0x38
	s_mul_i32 s2, s22, s10
	s_mul_i32 s3, s26, s8
	s_add_i32 s2, s2, s6
	v_lshlrev_b32_e32 v0, 2, v0
	s_add_i32 s2, s2, s3
	s_mov_b32 s3, 0
	s_lshl_b64 s[2:3], s[2:3], 2
	s_waitcnt lgkmcnt(0)
	s_add_u32 s0, s0, s2
	s_addc_u32 s1, s1, s3
	global_store_dword v0, v1, s[0:1]
.LBB87_68:
	s_endpgm
	.section	.rodata,"a",@progbits
	.p2align	6, 0x0
	.amdhsa_kernel _ZL13mul_mat_vec_qIL9ggml_type40ELi1ELb1ELb0EEvPKvS2_PKi31ggml_cuda_mm_fusion_args_devicePfj15HIP_vector_typeIjLj3EEjjjS8_jjjS8_jjjj
		.amdhsa_group_segment_fixed_size 0
		.amdhsa_private_segment_fixed_size 0
		.amdhsa_kernarg_size 144
		.amdhsa_user_sgpr_count 6
		.amdhsa_user_sgpr_private_segment_buffer 1
		.amdhsa_user_sgpr_dispatch_ptr 0
		.amdhsa_user_sgpr_queue_ptr 0
		.amdhsa_user_sgpr_kernarg_segment_ptr 1
		.amdhsa_user_sgpr_dispatch_id 0
		.amdhsa_user_sgpr_flat_scratch_init 0
		.amdhsa_user_sgpr_private_segment_size 0
		.amdhsa_wavefront_size32 1
		.amdhsa_uses_dynamic_stack 0
		.amdhsa_system_sgpr_private_segment_wavefront_offset 0
		.amdhsa_system_sgpr_workgroup_id_x 1
		.amdhsa_system_sgpr_workgroup_id_y 1
		.amdhsa_system_sgpr_workgroup_id_z 1
		.amdhsa_system_sgpr_workgroup_info 0
		.amdhsa_system_vgpr_workitem_id 1
		.amdhsa_next_free_vgpr 55
		.amdhsa_next_free_sgpr 40
		.amdhsa_reserve_vcc 1
		.amdhsa_reserve_flat_scratch 0
		.amdhsa_float_round_mode_32 0
		.amdhsa_float_round_mode_16_64 0
		.amdhsa_float_denorm_mode_32 3
		.amdhsa_float_denorm_mode_16_64 3
		.amdhsa_dx10_clamp 1
		.amdhsa_ieee_mode 1
		.amdhsa_fp16_overflow 0
		.amdhsa_workgroup_processor_mode 1
		.amdhsa_memory_ordered 1
		.amdhsa_forward_progress 1
		.amdhsa_shared_vgpr_count 0
		.amdhsa_exception_fp_ieee_invalid_op 0
		.amdhsa_exception_fp_denorm_src 0
		.amdhsa_exception_fp_ieee_div_zero 0
		.amdhsa_exception_fp_ieee_overflow 0
		.amdhsa_exception_fp_ieee_underflow 0
		.amdhsa_exception_fp_ieee_inexact 0
		.amdhsa_exception_int_div_zero 0
	.end_amdhsa_kernel
	.section	.text._ZL13mul_mat_vec_qIL9ggml_type40ELi1ELb1ELb0EEvPKvS2_PKi31ggml_cuda_mm_fusion_args_devicePfj15HIP_vector_typeIjLj3EEjjjS8_jjjS8_jjjj,"axG",@progbits,_ZL13mul_mat_vec_qIL9ggml_type40ELi1ELb1ELb0EEvPKvS2_PKi31ggml_cuda_mm_fusion_args_devicePfj15HIP_vector_typeIjLj3EEjjjS8_jjjS8_jjjj,comdat
.Lfunc_end87:
	.size	_ZL13mul_mat_vec_qIL9ggml_type40ELi1ELb1ELb0EEvPKvS2_PKi31ggml_cuda_mm_fusion_args_devicePfj15HIP_vector_typeIjLj3EEjjjS8_jjjS8_jjjj, .Lfunc_end87-_ZL13mul_mat_vec_qIL9ggml_type40ELi1ELb1ELb0EEvPKvS2_PKi31ggml_cuda_mm_fusion_args_devicePfj15HIP_vector_typeIjLj3EEjjjS8_jjjS8_jjjj
                                        ; -- End function
	.set _ZL13mul_mat_vec_qIL9ggml_type40ELi1ELb1ELb0EEvPKvS2_PKi31ggml_cuda_mm_fusion_args_devicePfj15HIP_vector_typeIjLj3EEjjjS8_jjjS8_jjjj.num_vgpr, 55
	.set _ZL13mul_mat_vec_qIL9ggml_type40ELi1ELb1ELb0EEvPKvS2_PKi31ggml_cuda_mm_fusion_args_devicePfj15HIP_vector_typeIjLj3EEjjjS8_jjjS8_jjjj.num_agpr, 0
	.set _ZL13mul_mat_vec_qIL9ggml_type40ELi1ELb1ELb0EEvPKvS2_PKi31ggml_cuda_mm_fusion_args_devicePfj15HIP_vector_typeIjLj3EEjjjS8_jjjS8_jjjj.numbered_sgpr, 40
	.set _ZL13mul_mat_vec_qIL9ggml_type40ELi1ELb1ELb0EEvPKvS2_PKi31ggml_cuda_mm_fusion_args_devicePfj15HIP_vector_typeIjLj3EEjjjS8_jjjS8_jjjj.num_named_barrier, 0
	.set _ZL13mul_mat_vec_qIL9ggml_type40ELi1ELb1ELb0EEvPKvS2_PKi31ggml_cuda_mm_fusion_args_devicePfj15HIP_vector_typeIjLj3EEjjjS8_jjjS8_jjjj.private_seg_size, 0
	.set _ZL13mul_mat_vec_qIL9ggml_type40ELi1ELb1ELb0EEvPKvS2_PKi31ggml_cuda_mm_fusion_args_devicePfj15HIP_vector_typeIjLj3EEjjjS8_jjjS8_jjjj.uses_vcc, 1
	.set _ZL13mul_mat_vec_qIL9ggml_type40ELi1ELb1ELb0EEvPKvS2_PKi31ggml_cuda_mm_fusion_args_devicePfj15HIP_vector_typeIjLj3EEjjjS8_jjjS8_jjjj.uses_flat_scratch, 0
	.set _ZL13mul_mat_vec_qIL9ggml_type40ELi1ELb1ELb0EEvPKvS2_PKi31ggml_cuda_mm_fusion_args_devicePfj15HIP_vector_typeIjLj3EEjjjS8_jjjS8_jjjj.has_dyn_sized_stack, 0
	.set _ZL13mul_mat_vec_qIL9ggml_type40ELi1ELb1ELb0EEvPKvS2_PKi31ggml_cuda_mm_fusion_args_devicePfj15HIP_vector_typeIjLj3EEjjjS8_jjjS8_jjjj.has_recursion, 0
	.set _ZL13mul_mat_vec_qIL9ggml_type40ELi1ELb1ELb0EEvPKvS2_PKi31ggml_cuda_mm_fusion_args_devicePfj15HIP_vector_typeIjLj3EEjjjS8_jjjS8_jjjj.has_indirect_call, 0
	.section	.AMDGPU.csdata,"",@progbits
; Kernel info:
; codeLenInByte = 3920
; TotalNumSgprs: 42
; NumVgprs: 55
; ScratchSize: 0
; MemoryBound: 0
; FloatMode: 240
; IeeeMode: 1
; LDSByteSize: 0 bytes/workgroup (compile time only)
; SGPRBlocks: 0
; VGPRBlocks: 6
; NumSGPRsForWavesPerEU: 42
; NumVGPRsForWavesPerEU: 55
; Occupancy: 16
; WaveLimiterHint : 0
; COMPUTE_PGM_RSRC2:SCRATCH_EN: 0
; COMPUTE_PGM_RSRC2:USER_SGPR: 6
; COMPUTE_PGM_RSRC2:TRAP_HANDLER: 0
; COMPUTE_PGM_RSRC2:TGID_X_EN: 1
; COMPUTE_PGM_RSRC2:TGID_Y_EN: 1
; COMPUTE_PGM_RSRC2:TGID_Z_EN: 1
; COMPUTE_PGM_RSRC2:TIDIG_COMP_CNT: 1
	.section	.text._ZL13mul_mat_vec_qIL9ggml_type40ELi1ELb0ELb0EEvPKvS2_PKi31ggml_cuda_mm_fusion_args_devicePfj15HIP_vector_typeIjLj3EEjjjS8_jjjS8_jjjj,"axG",@progbits,_ZL13mul_mat_vec_qIL9ggml_type40ELi1ELb0ELb0EEvPKvS2_PKi31ggml_cuda_mm_fusion_args_devicePfj15HIP_vector_typeIjLj3EEjjjS8_jjjS8_jjjj,comdat
	.globl	_ZL13mul_mat_vec_qIL9ggml_type40ELi1ELb0ELb0EEvPKvS2_PKi31ggml_cuda_mm_fusion_args_devicePfj15HIP_vector_typeIjLj3EEjjjS8_jjjS8_jjjj ; -- Begin function _ZL13mul_mat_vec_qIL9ggml_type40ELi1ELb0ELb0EEvPKvS2_PKi31ggml_cuda_mm_fusion_args_devicePfj15HIP_vector_typeIjLj3EEjjjS8_jjjS8_jjjj
	.p2align	8
	.type	_ZL13mul_mat_vec_qIL9ggml_type40ELi1ELb0ELb0EEvPKvS2_PKi31ggml_cuda_mm_fusion_args_devicePfj15HIP_vector_typeIjLj3EEjjjS8_jjjS8_jjjj,@function
_ZL13mul_mat_vec_qIL9ggml_type40ELi1ELb0ELb0EEvPKvS2_PKi31ggml_cuda_mm_fusion_args_devicePfj15HIP_vector_typeIjLj3EEjjjS8_jjjS8_jjjj: ; @_ZL13mul_mat_vec_qIL9ggml_type40ELi1ELb0ELb0EEvPKvS2_PKi31ggml_cuda_mm_fusion_args_devicePfj15HIP_vector_typeIjLj3EEjjjS8_jjjS8_jjjj
; %bb.0:
	s_clause 0x1
	s_load_dwordx2 s[0:1], s[4:5], 0x10
	s_load_dwordx4 s[16:19], s[4:5], 0x40
	s_mov_b32 s10, s7
	s_waitcnt lgkmcnt(0)
	s_cmp_lg_u64 s[0:1], 0
	s_cselect_b32 s7, -1, 0
	s_cmp_eq_u64 s[0:1], 0
	s_cbranch_scc1 .LBB88_5
; %bb.1:
	s_mov_b32 s11, 0
	s_lshl_b64 s[2:3], s[10:11], 2
	s_add_u32 s0, s0, s2
	s_addc_u32 s1, s1, s3
	s_load_dword s20, s[0:1], 0x0
	s_clause 0x1
	s_load_dwordx4 s[0:3], s[4:5], 0x68
	s_load_dword s21, s[4:5], 0x50
	s_cbranch_execnz .LBB88_3
.LBB88_2:
	s_load_dwordx2 s[12:13], s[4:5], 0x5c
	s_waitcnt lgkmcnt(0)
	s_mul_hi_u32 s9, s12, s10
	s_add_i32 s9, s10, s9
	s_lshr_b32 s20, s9, s13
.LBB88_3:
	s_load_dword s11, s[4:5], 0x78
	s_andn2_b32 vcc_lo, exec_lo, s7
	s_cbranch_vccnz .LBB88_6
; %bb.4:
	s_mul_hi_u32 s7, s17, s10
	s_add_i32 s7, s10, s7
	s_lshr_b32 s7, s7, s18
	s_mul_i32 s7, s7, s19
	s_sub_i32 s17, s10, s7
	s_branch .LBB88_7
.LBB88_5:
                                        ; implicit-def: $sgpr20
	s_clause 0x1
	s_load_dwordx4 s[0:3], s[4:5], 0x68
	s_load_dword s21, s[4:5], 0x50
	s_branch .LBB88_2
.LBB88_6:
	s_mov_b32 s17, s10
.LBB88_7:
	s_load_dwordx4 s[12:15], s[4:5], 0x80
	v_lshl_or_b32 v2, v1, 5, v0
	v_mov_b32_e32 v17, 0
	s_lshr_b32 s9, s16, 6
	s_mov_b32 s7, exec_lo
	v_lshrrev_b16 v3, 1, v2
	v_and_b32_e32 v16, 0xffff, v3
	v_cmpx_gt_u32_e64 s9, v16
	s_cbranch_execz .LBB88_23
; %bb.8:
	v_lshrrev_b32_e32 v2, 1, v2
	s_waitcnt lgkmcnt(0)
	s_mul_i32 s1, s17, s1
	v_and_b32_e32 v5, 1, v0
	s_mul_hi_u32 s17, s1, 36
	s_mul_i32 s16, s1, 36
	s_mul_i32 s1, s13, s8
	v_mad_u64_u32 v[2:3], null, 0x48, v2, s[16:17]
	s_load_dwordx4 s[16:19], s[4:5], 0x0
	v_lshlrev_b32_e32 v4, 2, v0
	s_mul_hi_u32 s3, s3, s8
	s_mul_i32 s21, s21, s6
	v_mov_b32_e32 v18, 0
	v_mov_b32_e32 v21, 0x7e
	v_mad_u64_u32 v[2:3], null, s1, 36, v[2:3]
	s_add_i32 s1, s8, s3
	v_and_b32_e32 v4, 4, v4
	s_mul_i32 s3, s20, s0
	s_lshr_b32 s0, s1, s11
	v_mov_b32_e32 v22, 0x7f
	s_mul_i32 s0, s0, s12
	v_mad_u64_u32 v[2:3], null, v5, 36, v[2:3]
	v_lshrrev_b32_e32 v19, 1, v4
	v_lshlrev_b32_e32 v20, 2, v4
	v_mov_b32_e32 v23, 0xffff
	v_mov_b32_e32 v17, 0
	s_add_i32 s0, s0, s21
	s_mov_b32 s1, 0
	s_waitcnt lgkmcnt(0)
	v_add_co_u32 v2, vcc_lo, s18, v2
	v_add_co_ci_u32_e64 v3, null, s19, v3, vcc_lo
	s_add_i32 s3, s3, s0
	v_add_co_u32 v14, vcc_lo, v2, 16
	v_add_co_ci_u32_e64 v15, null, 0, v3, vcc_lo
	s_mov_b32 s11, 0xf4f8fafc
	s_mov_b32 s12, 0xc080604
	;; [unrolled: 1-line block ×3, first 2 shown]
	s_branch .LBB88_10
.LBB88_9:                               ;   in Loop: Header=BB88_10 Depth=1
	s_or_b32 exec_lo, exec_lo, s15
	s_waitcnt vmcnt(3)
	v_ashrrev_i32_e32 v29, 4, v12
	v_and_b32_e32 v30, 0x7070707, v12
	v_lshrrev_b32_e32 v12, 1, v12
	v_ashrrev_i32_e32 v27, 4, v13
	v_and_b32_e32 v28, 0x7070707, v13
	v_and_b32_e32 v33, 0x7070707, v29
	v_lshrrev_b32_e32 v29, 1, v29
	v_perm_b32 v35, s11, 0xfdfeff00, v30
	v_perm_b32 v30, s12, 0x3020100, v30
	v_and_or_b32 v12, v12, s13, 0x3020100
	v_perm_b32 v36, s11, 0xfdfeff00, v33
	v_perm_b32 v33, s12, 0x3020100, v33
	v_and_or_b32 v29, v29, s13, 0x3020100
	v_lshrrev_b32_e32 v13, 1, v13
	v_perm_b32 v12, v35, v30, v12
	v_mov_b32_e32 v30, 0
	v_ashrrev_i32_e32 v35, 4, v11
	v_perm_b32 v29, v36, v33, v29
	v_and_b32_e32 v36, 0x7070707, v11
	v_lshrrev_b32_e32 v11, 1, v11
	s_waitcnt vmcnt(1)
	v_dot4c_i32_i8 v30, v12, v3
	v_and_b32_e32 v3, 0x7070707, v35
	v_ashrrev_i32_e32 v12, 4, v10
	v_lshrrev_b32_e32 v33, 1, v35
	v_and_b32_e32 v35, 0x7070707, v10
	v_lshrrev_b32_e32 v10, 1, v10
	v_and_or_b32 v11, v11, s13, 0x3020100
	v_and_b32_e32 v37, 0x7070707, v12
	v_lshrrev_b32_e32 v12, 1, v12
	v_perm_b32 v38, s11, 0xfdfeff00, v35
	v_perm_b32 v35, s12, 0x3020100, v35
	v_and_or_b32 v10, v10, s13, 0x3020100
	v_perm_b32 v39, s11, 0xfdfeff00, v37
	v_perm_b32 v37, s12, 0x3020100, v37
	v_and_or_b32 v12, v12, s13, 0x3020100
	v_and_b32_e32 v31, 0x7070707, v27
	v_perm_b32 v10, v38, v35, v10
	v_mov_b32_e32 v35, 0
	v_perm_b32 v38, s11, 0xfdfeff00, v36
	v_perm_b32 v36, s12, 0x3020100, v36
	;; [unrolled: 1-line block ×3, first 2 shown]
	v_lshrrev_b32_e32 v27, 1, v27
	s_waitcnt vmcnt(0)
	v_dot4c_i32_i8 v35, v10, v7
	v_perm_b32 v32, s11, 0xfdfeff00, v28
	v_perm_b32 v28, s12, 0x3020100, v28
	v_and_or_b32 v13, v13, s13, 0x3020100
	v_perm_b32 v7, s11, 0xfdfeff00, v3
	v_perm_b32 v3, s12, 0x3020100, v3
	v_and_or_b32 v10, v33, s13, 0x3020100
	v_perm_b32 v11, v38, v36, v11
	v_dot4c_i32_i8 v35, v12, v9
	v_perm_b32 v34, s11, 0xfdfeff00, v31
	v_perm_b32 v31, s12, 0x3020100, v31
	v_and_or_b32 v9, v27, s13, 0x3020100
	v_perm_b32 v12, v32, v28, v13
	v_dot4c_i32_i8 v30, v29, v5
	v_perm_b32 v3, v7, v3, v10
	v_dot4c_i32_i8 v35, v11, v8
	v_perm_b32 v5, v34, v31, v9
	v_add_nc_u32_e32 v16, 16, v16
	v_dot4c_i32_i8 v30, v12, v4
	v_add_co_u32 v14, s0, 0x480, v14
	v_dot4c_i32_i8 v35, v3, v2
	v_cvt_f32_f16_e32 v2, v6
	v_dot4c_i32_i8 v30, v5, v24
	v_cmp_le_u32_e32 vcc_lo, s9, v16
	v_add_co_ci_u32_e64 v15, null, 0, v15, s0
	v_cvt_f32_i32_e32 v3, v35
	v_mul_f32_e32 v4, v25, v2
	v_cvt_f32_i32_e32 v5, v30
	v_mul_f32_e32 v2, v26, v2
	s_or_b32 s1, vcc_lo, s1
	v_fma_f32 v3, v4, v3, 0
	v_fmac_f32_e32 v3, v2, v5
	v_add_f32_e32 v17, v17, v3
	s_andn2_b32 exec_lo, exec_lo, s1
	s_cbranch_execz .LBB88_22
.LBB88_10:                              ; =>This Inner Loop Header: Depth=1
	v_add_nc_u32_e32 v2, s3, v16
	s_mov_b32 s0, 0
	v_mad_i64_i32 v[2:3], null, v2, 36, s[16:17]
	v_add_co_u32 v4, vcc_lo, v2, v19
	v_add_co_ci_u32_e64 v5, null, 0, v3, vcc_lo
	v_add_co_u32 v2, vcc_lo, v2, v20
	v_add_co_ci_u32_e64 v3, null, 0, v3, vcc_lo
	s_clause 0x1
	global_load_ushort v27, v[4:5], off
	global_load_dwordx4 v[10:13], v[2:3], off offset:4
	s_clause 0x2
	global_load_dword v24, v[14:15], off offset:16
	global_load_dwordx4 v[2:5], v[14:15], off
	global_load_dwordx4 v[6:9], v[14:15], off offset:-16
	s_waitcnt vmcnt(4)
	v_cmp_gt_i16_sdwa s15, v27, v21 src0_sel:BYTE_0 src1_sel:DWORD
	s_and_saveexec_b32 s18, s15
	s_xor_b32 s15, exec_lo, s18
	s_cbranch_execnz .LBB88_17
; %bb.11:                               ;   in Loop: Header=BB88_10 Depth=1
	s_andn2_saveexec_b32 s15, s15
	s_cbranch_execnz .LBB88_18
.LBB88_12:                              ;   in Loop: Header=BB88_10 Depth=1
	s_or_b32 exec_lo, exec_lo, s15
	v_mov_b32_e32 v25, 0
	s_and_saveexec_b32 s15, s0
	s_cbranch_execz .LBB88_14
.LBB88_13:                              ;   in Loop: Header=BB88_10 Depth=1
	v_and_b32_e32 v25, 7, v27
	v_lshrrev_b16 v26, 3, v27
	v_cvt_f32_ubyte0_e32 v25, v25
	v_and_b32_e32 v26, 15, v26
	v_fma_f32 v28, 0x3e000000, v25, 1.0
	v_add_nc_u32_e32 v29, -7, v26
	v_cmp_eq_u32_e32 vcc_lo, 0, v26
	v_cndmask_b32_e32 v25, v28, v25, vcc_lo
	v_cndmask_b32_e64 v26, v29, -9, vcc_lo
	v_ldexp_f32 v25, v25, v26
	v_mul_f32_e32 v25, 0.5, v25
.LBB88_14:                              ;   in Loop: Header=BB88_10 Depth=1
	s_or_b32 exec_lo, exec_lo, s15
	v_cmp_gt_i16_sdwa s15, v27, v21 src0_sel:BYTE_1 src1_sel:DWORD
	s_mov_b32 s0, 0
	s_and_saveexec_b32 s18, s15
	s_xor_b32 s15, exec_lo, s18
	s_cbranch_execnz .LBB88_19
; %bb.15:                               ;   in Loop: Header=BB88_10 Depth=1
	s_andn2_saveexec_b32 s15, s15
	s_cbranch_execnz .LBB88_20
.LBB88_16:                              ;   in Loop: Header=BB88_10 Depth=1
	s_or_b32 exec_lo, exec_lo, s15
	v_mov_b32_e32 v26, 0
	s_and_saveexec_b32 s15, s0
	s_cbranch_execz .LBB88_9
	s_branch .LBB88_21
.LBB88_17:                              ;   in Loop: Header=BB88_10 Depth=1
	v_cmp_ne_u16_sdwa s0, v27, v22 src0_sel:BYTE_0 src1_sel:DWORD
	s_and_b32 s0, s0, exec_lo
	s_andn2_saveexec_b32 s15, s15
	s_cbranch_execz .LBB88_12
.LBB88_18:                              ;   in Loop: Header=BB88_10 Depth=1
	v_cmp_ne_u16_sdwa s18, v27, v18 src0_sel:BYTE_0 src1_sel:DWORD
	s_andn2_b32 s0, s0, exec_lo
	s_and_b32 s18, s18, exec_lo
	s_or_b32 s0, s0, s18
	s_or_b32 exec_lo, exec_lo, s15
	v_mov_b32_e32 v25, 0
	s_and_saveexec_b32 s15, s0
	s_cbranch_execnz .LBB88_13
	s_branch .LBB88_14
.LBB88_19:                              ;   in Loop: Header=BB88_10 Depth=1
	v_cmp_ne_u16_sdwa s0, v27, v22 src0_sel:BYTE_1 src1_sel:DWORD
	s_and_b32 s0, s0, exec_lo
	s_andn2_saveexec_b32 s15, s15
	s_cbranch_execz .LBB88_16
.LBB88_20:                              ;   in Loop: Header=BB88_10 Depth=1
	v_cmp_ne_u16_sdwa s18, v27, v18 src0_sel:BYTE_1 src1_sel:DWORD
	s_andn2_b32 s0, s0, exec_lo
	s_and_b32 s18, s18, exec_lo
	s_or_b32 s0, s0, s18
	s_or_b32 exec_lo, exec_lo, s15
	v_mov_b32_e32 v26, 0
	s_and_saveexec_b32 s15, s0
	s_cbranch_execz .LBB88_9
.LBB88_21:                              ;   in Loop: Header=BB88_10 Depth=1
	v_and_b32_sdwa v26, v23, v27 dst_sel:DWORD dst_unused:UNUSED_PAD src0_sel:DWORD src1_sel:BYTE_1
	v_and_b32_e32 v27, 7, v26
	v_bfe_u32 v26, v26, 3, 4
	v_cvt_f32_ubyte0_e32 v27, v27
	v_add_nc_u32_e32 v28, -7, v26
	v_cmp_eq_u32_e32 vcc_lo, 0, v26
	v_fma_f32 v29, 0x3e000000, v27, 1.0
	v_cndmask_b32_e32 v26, v29, v27, vcc_lo
	v_cndmask_b32_e64 v27, v28, -9, vcc_lo
	v_ldexp_f32 v26, v26, v27
	v_mul_f32_e32 v26, 0.5, v26
	s_branch .LBB88_9
.LBB88_22:
	s_or_b32 exec_lo, exec_lo, s1
.LBB88_23:
	s_or_b32 exec_lo, exec_lo, s7
	s_waitcnt lgkmcnt(0)
	; wave barrier
	buffer_gl0_inv
	s_mov_b32 s0, exec_lo
	v_cmpx_eq_u32_e32 0, v1
	s_cbranch_execz .LBB88_26
; %bb.24:
	v_mbcnt_lo_u32_b32 v1, -1, 0
	v_xor_b32_e32 v2, 16, v1
	v_xor_b32_e32 v3, 8, v1
	;; [unrolled: 1-line block ×3, first 2 shown]
	v_cmp_gt_i32_e32 vcc_lo, 32, v2
	v_cndmask_b32_e32 v2, v1, v2, vcc_lo
	v_cmp_gt_i32_e32 vcc_lo, 32, v3
	v_lshlrev_b32_e32 v2, 2, v2
	v_cndmask_b32_e32 v3, v1, v3, vcc_lo
	v_cmp_gt_i32_e32 vcc_lo, 32, v4
	ds_bpermute_b32 v2, v2, v17
	v_lshlrev_b32_e32 v3, 2, v3
	v_cndmask_b32_e32 v4, v1, v4, vcc_lo
	v_lshlrev_b32_e32 v4, 2, v4
	s_waitcnt lgkmcnt(0)
	v_add_f32_e32 v2, v17, v2
	ds_bpermute_b32 v3, v3, v2
	s_waitcnt lgkmcnt(0)
	v_add_f32_e32 v2, v2, v3
	ds_bpermute_b32 v3, v4, v2
	v_xor_b32_e32 v4, 2, v1
	v_cmp_gt_i32_e32 vcc_lo, 32, v4
	v_cndmask_b32_e32 v4, v1, v4, vcc_lo
	v_lshlrev_b32_e32 v4, 2, v4
	s_waitcnt lgkmcnt(0)
	v_add_f32_e32 v2, v2, v3
	ds_bpermute_b32 v3, v4, v2
	v_xor_b32_e32 v4, 1, v1
	v_cmp_gt_i32_e32 vcc_lo, 32, v4
	v_cndmask_b32_e32 v1, v1, v4, vcc_lo
	v_cmp_eq_u32_e32 vcc_lo, 0, v0
	v_lshlrev_b32_e32 v4, 2, v1
	s_waitcnt lgkmcnt(0)
	v_add_f32_e32 v1, v2, v3
	ds_bpermute_b32 v2, v4, v1
	s_and_b32 exec_lo, exec_lo, vcc_lo
	s_cbranch_execz .LBB88_26
; %bb.25:
	s_load_dwordx2 s[0:1], s[4:5], 0x38
	s_mul_i32 s2, s2, s10
	s_mul_i32 s3, s14, s8
	s_add_i32 s2, s2, s6
	s_waitcnt lgkmcnt(0)
	v_add_f32_e32 v0, v1, v2
	s_add_i32 s2, s2, s3
	s_mov_b32 s3, 0
	v_mov_b32_e32 v1, 0
	s_lshl_b64 s[2:3], s[2:3], 2
	s_add_u32 s0, s0, s2
	s_addc_u32 s1, s1, s3
	global_store_dword v1, v0, s[0:1]
.LBB88_26:
	s_endpgm
	.section	.rodata,"a",@progbits
	.p2align	6, 0x0
	.amdhsa_kernel _ZL13mul_mat_vec_qIL9ggml_type40ELi1ELb0ELb0EEvPKvS2_PKi31ggml_cuda_mm_fusion_args_devicePfj15HIP_vector_typeIjLj3EEjjjS8_jjjS8_jjjj
		.amdhsa_group_segment_fixed_size 0
		.amdhsa_private_segment_fixed_size 0
		.amdhsa_kernarg_size 144
		.amdhsa_user_sgpr_count 6
		.amdhsa_user_sgpr_private_segment_buffer 1
		.amdhsa_user_sgpr_dispatch_ptr 0
		.amdhsa_user_sgpr_queue_ptr 0
		.amdhsa_user_sgpr_kernarg_segment_ptr 1
		.amdhsa_user_sgpr_dispatch_id 0
		.amdhsa_user_sgpr_flat_scratch_init 0
		.amdhsa_user_sgpr_private_segment_size 0
		.amdhsa_wavefront_size32 1
		.amdhsa_uses_dynamic_stack 0
		.amdhsa_system_sgpr_private_segment_wavefront_offset 0
		.amdhsa_system_sgpr_workgroup_id_x 1
		.amdhsa_system_sgpr_workgroup_id_y 1
		.amdhsa_system_sgpr_workgroup_id_z 1
		.amdhsa_system_sgpr_workgroup_info 0
		.amdhsa_system_vgpr_workitem_id 1
		.amdhsa_next_free_vgpr 40
		.amdhsa_next_free_sgpr 22
		.amdhsa_reserve_vcc 1
		.amdhsa_reserve_flat_scratch 0
		.amdhsa_float_round_mode_32 0
		.amdhsa_float_round_mode_16_64 0
		.amdhsa_float_denorm_mode_32 3
		.amdhsa_float_denorm_mode_16_64 3
		.amdhsa_dx10_clamp 1
		.amdhsa_ieee_mode 1
		.amdhsa_fp16_overflow 0
		.amdhsa_workgroup_processor_mode 1
		.amdhsa_memory_ordered 1
		.amdhsa_forward_progress 1
		.amdhsa_shared_vgpr_count 0
		.amdhsa_exception_fp_ieee_invalid_op 0
		.amdhsa_exception_fp_denorm_src 0
		.amdhsa_exception_fp_ieee_div_zero 0
		.amdhsa_exception_fp_ieee_overflow 0
		.amdhsa_exception_fp_ieee_underflow 0
		.amdhsa_exception_fp_ieee_inexact 0
		.amdhsa_exception_int_div_zero 0
	.end_amdhsa_kernel
	.section	.text._ZL13mul_mat_vec_qIL9ggml_type40ELi1ELb0ELb0EEvPKvS2_PKi31ggml_cuda_mm_fusion_args_devicePfj15HIP_vector_typeIjLj3EEjjjS8_jjjS8_jjjj,"axG",@progbits,_ZL13mul_mat_vec_qIL9ggml_type40ELi1ELb0ELb0EEvPKvS2_PKi31ggml_cuda_mm_fusion_args_devicePfj15HIP_vector_typeIjLj3EEjjjS8_jjjS8_jjjj,comdat
.Lfunc_end88:
	.size	_ZL13mul_mat_vec_qIL9ggml_type40ELi1ELb0ELb0EEvPKvS2_PKi31ggml_cuda_mm_fusion_args_devicePfj15HIP_vector_typeIjLj3EEjjjS8_jjjS8_jjjj, .Lfunc_end88-_ZL13mul_mat_vec_qIL9ggml_type40ELi1ELb0ELb0EEvPKvS2_PKi31ggml_cuda_mm_fusion_args_devicePfj15HIP_vector_typeIjLj3EEjjjS8_jjjS8_jjjj
                                        ; -- End function
	.set _ZL13mul_mat_vec_qIL9ggml_type40ELi1ELb0ELb0EEvPKvS2_PKi31ggml_cuda_mm_fusion_args_devicePfj15HIP_vector_typeIjLj3EEjjjS8_jjjS8_jjjj.num_vgpr, 40
	.set _ZL13mul_mat_vec_qIL9ggml_type40ELi1ELb0ELb0EEvPKvS2_PKi31ggml_cuda_mm_fusion_args_devicePfj15HIP_vector_typeIjLj3EEjjjS8_jjjS8_jjjj.num_agpr, 0
	.set _ZL13mul_mat_vec_qIL9ggml_type40ELi1ELb0ELb0EEvPKvS2_PKi31ggml_cuda_mm_fusion_args_devicePfj15HIP_vector_typeIjLj3EEjjjS8_jjjS8_jjjj.numbered_sgpr, 22
	.set _ZL13mul_mat_vec_qIL9ggml_type40ELi1ELb0ELb0EEvPKvS2_PKi31ggml_cuda_mm_fusion_args_devicePfj15HIP_vector_typeIjLj3EEjjjS8_jjjS8_jjjj.num_named_barrier, 0
	.set _ZL13mul_mat_vec_qIL9ggml_type40ELi1ELb0ELb0EEvPKvS2_PKi31ggml_cuda_mm_fusion_args_devicePfj15HIP_vector_typeIjLj3EEjjjS8_jjjS8_jjjj.private_seg_size, 0
	.set _ZL13mul_mat_vec_qIL9ggml_type40ELi1ELb0ELb0EEvPKvS2_PKi31ggml_cuda_mm_fusion_args_devicePfj15HIP_vector_typeIjLj3EEjjjS8_jjjS8_jjjj.uses_vcc, 1
	.set _ZL13mul_mat_vec_qIL9ggml_type40ELi1ELb0ELb0EEvPKvS2_PKi31ggml_cuda_mm_fusion_args_devicePfj15HIP_vector_typeIjLj3EEjjjS8_jjjS8_jjjj.uses_flat_scratch, 0
	.set _ZL13mul_mat_vec_qIL9ggml_type40ELi1ELb0ELb0EEvPKvS2_PKi31ggml_cuda_mm_fusion_args_devicePfj15HIP_vector_typeIjLj3EEjjjS8_jjjS8_jjjj.has_dyn_sized_stack, 0
	.set _ZL13mul_mat_vec_qIL9ggml_type40ELi1ELb0ELb0EEvPKvS2_PKi31ggml_cuda_mm_fusion_args_devicePfj15HIP_vector_typeIjLj3EEjjjS8_jjjS8_jjjj.has_recursion, 0
	.set _ZL13mul_mat_vec_qIL9ggml_type40ELi1ELb0ELb0EEvPKvS2_PKi31ggml_cuda_mm_fusion_args_devicePfj15HIP_vector_typeIjLj3EEjjjS8_jjjS8_jjjj.has_indirect_call, 0
	.section	.AMDGPU.csdata,"",@progbits
; Kernel info:
; codeLenInByte = 1768
; TotalNumSgprs: 24
; NumVgprs: 40
; ScratchSize: 0
; MemoryBound: 0
; FloatMode: 240
; IeeeMode: 1
; LDSByteSize: 0 bytes/workgroup (compile time only)
; SGPRBlocks: 0
; VGPRBlocks: 4
; NumSGPRsForWavesPerEU: 24
; NumVGPRsForWavesPerEU: 40
; Occupancy: 16
; WaveLimiterHint : 0
; COMPUTE_PGM_RSRC2:SCRATCH_EN: 0
; COMPUTE_PGM_RSRC2:USER_SGPR: 6
; COMPUTE_PGM_RSRC2:TRAP_HANDLER: 0
; COMPUTE_PGM_RSRC2:TGID_X_EN: 1
; COMPUTE_PGM_RSRC2:TGID_Y_EN: 1
; COMPUTE_PGM_RSRC2:TGID_Z_EN: 1
; COMPUTE_PGM_RSRC2:TIDIG_COMP_CNT: 1
	.section	.text._ZL13mul_mat_vec_qIL9ggml_type40ELi2ELb0ELb0EEvPKvS2_PKi31ggml_cuda_mm_fusion_args_devicePfj15HIP_vector_typeIjLj3EEjjjS8_jjjS8_jjjj,"axG",@progbits,_ZL13mul_mat_vec_qIL9ggml_type40ELi2ELb0ELb0EEvPKvS2_PKi31ggml_cuda_mm_fusion_args_devicePfj15HIP_vector_typeIjLj3EEjjjS8_jjjS8_jjjj,comdat
	.globl	_ZL13mul_mat_vec_qIL9ggml_type40ELi2ELb0ELb0EEvPKvS2_PKi31ggml_cuda_mm_fusion_args_devicePfj15HIP_vector_typeIjLj3EEjjjS8_jjjS8_jjjj ; -- Begin function _ZL13mul_mat_vec_qIL9ggml_type40ELi2ELb0ELb0EEvPKvS2_PKi31ggml_cuda_mm_fusion_args_devicePfj15HIP_vector_typeIjLj3EEjjjS8_jjjS8_jjjj
	.p2align	8
	.type	_ZL13mul_mat_vec_qIL9ggml_type40ELi2ELb0ELb0EEvPKvS2_PKi31ggml_cuda_mm_fusion_args_devicePfj15HIP_vector_typeIjLj3EEjjjS8_jjjS8_jjjj,@function
_ZL13mul_mat_vec_qIL9ggml_type40ELi2ELb0ELb0EEvPKvS2_PKi31ggml_cuda_mm_fusion_args_devicePfj15HIP_vector_typeIjLj3EEjjjS8_jjjS8_jjjj: ; @_ZL13mul_mat_vec_qIL9ggml_type40ELi2ELb0ELb0EEvPKvS2_PKi31ggml_cuda_mm_fusion_args_devicePfj15HIP_vector_typeIjLj3EEjjjS8_jjjS8_jjjj
; %bb.0:
	s_clause 0x5
	s_load_dwordx4 s[16:19], s[4:5], 0x80
	s_load_dword s9, s[4:5], 0x40
	s_load_dwordx4 s[0:3], s[4:5], 0x50
	s_load_dword s11, s[4:5], 0x60
	;; [unrolled: 2-line block ×3, first 2 shown]
	v_lshl_or_b32 v2, v1, 5, v0
	v_mov_b32_e32 v26, 0
	v_mov_b32_e32 v28, 0
	v_lshrrev_b16 v3, 1, v2
	v_and_b32_e32 v27, 0xffff, v3
	s_waitcnt lgkmcnt(0)
	s_lshr_b32 s10, s9, 6
	s_mov_b32 s9, exec_lo
	v_cmpx_gt_u32_e64 s10, v27
	s_cbranch_execz .LBB89_28
; %bb.1:
	v_lshrrev_b32_e32 v2, 1, v2
	s_mul_i32 s13, s13, s7
	s_load_dwordx4 s[20:23], s[4:5], 0x0
	s_mul_hi_u32 s27, s13, 36
	s_mul_i32 s26, s13, 36
	s_mul_i32 s17, s17, s8
	v_mad_u64_u32 v[2:3], null, 0x48, v2, s[26:27]
	v_and_b32_e32 v5, 1, v0
	v_lshlrev_b32_e32 v4, 2, v0
	s_mul_i32 s19, s17, 36
	s_mul_hi_u32 s13, s15, s8
	s_mul_hi_u32 s15, s17, 36
	;; [unrolled: 1-line block ×3, first 2 shown]
	v_mad_u64_u32 v[2:3], null, s17, 36, v[2:3]
	v_and_b32_e32 v4, 4, v4
	s_mul_i32 s0, s0, s6
	v_mov_b32_e32 v30, 0
	v_lshl_add_u32 v31, v27, 1, s1
	v_mov_b32_e32 v33, 0x7e
	v_lshrrev_b32_e32 v29, 1, v4
	v_mad_u64_u32 v[2:3], null, v5, 36, v[2:3]
	s_waitcnt lgkmcnt(0)
	s_add_u32 s17, s22, s19
	s_addc_u32 s15, s23, s15
	s_add_u32 s26, s17, s26
	s_addc_u32 s27, s15, s27
	s_add_i32 s3, s7, s3
	s_add_i32 s13, s8, s13
	s_lshr_b32 s3, s3, s11
	v_mad_u64_u32 v[22:23], null, v5, 36, s[26:27]
	v_add_co_u32 v24, vcc_lo, s22, v2
	s_lshr_b32 s11, s13, s24
	s_mul_i32 s3, s3, s12
	v_add_co_ci_u32_e64 v25, null, s23, v3, vcc_lo
	v_lshlrev_b32_e32 v32, 2, v4
	v_mov_b32_e32 v34, 0x7f
	v_mov_b32_e32 v35, 0xffff
	;; [unrolled: 1-line block ×4, first 2 shown]
	s_mul_i32 s11, s11, s16
	s_add_i32 s3, s3, s0
	s_mov_b32 s1, 0
	s_add_i32 s3, s11, s3
	s_mov_b32 s11, 0xf4f8fafc
	s_mov_b32 s12, 0xc080604
	;; [unrolled: 1-line block ×3, first 2 shown]
	s_branch .LBB89_3
.LBB89_2:                               ;   in Loop: Header=BB89_3 Depth=1
	s_or_b32 exec_lo, exec_lo, s15
	s_waitcnt vmcnt(6)
	v_ashrrev_i32_e32 v42, 4, v13
	v_and_b32_e32 v43, 0x7070707, v13
	v_lshrrev_b32_e32 v13, 1, v13
	v_ashrrev_i32_e32 v44, 4, v12
	v_add_nc_u32_e32 v27, 16, v27
	v_and_b32_e32 v45, 0x7070707, v42
	v_lshrrev_b32_e32 v42, 1, v42
	v_perm_b32 v46, s11, 0xfdfeff00, v43
	v_perm_b32 v43, s12, 0x3020100, v43
	v_and_or_b32 v13, v13, s13, 0x3020100
	v_perm_b32 v48, s11, 0xfdfeff00, v45
	v_perm_b32 v45, s12, 0x3020100, v45
	v_and_or_b32 v42, v42, s13, 0x3020100
	v_and_b32_e32 v47, 0x7070707, v44
	v_perm_b32 v13, v46, v43, v13
	v_lshrrev_b32_e32 v44, 1, v44
	v_cmp_le_u32_e32 vcc_lo, s10, v27
	v_perm_b32 v42, v48, v45, v42
	v_and_b32_e32 v45, 0x7070707, v12
	v_lshrrev_b32_e32 v12, 1, v12
	v_ashrrev_i32_e32 v48, 4, v11
	v_perm_b32 v49, s11, 0xfdfeff00, v47
	v_perm_b32 v47, s12, 0x3020100, v47
	;; [unrolled: 1-line block ×4, first 2 shown]
	v_and_or_b32 v12, v12, s13, 0x3020100
	v_and_b32_e32 v43, 0x7070707, v48
	v_lshrrev_b32_e32 v46, 1, v48
	v_ashrrev_i32_e32 v48, 4, v10
	v_and_or_b32 v44, v44, s13, 0x3020100
	v_perm_b32 v12, v50, v45, v12
	v_and_b32_e32 v50, 0x7070707, v10
	v_lshrrev_b32_e32 v10, 1, v10
	v_and_b32_e32 v51, 0x7070707, v48
	v_lshrrev_b32_e32 v48, 1, v48
	v_and_b32_e32 v45, 0x7070707, v11
	v_perm_b32 v52, s11, 0xfdfeff00, v50
	v_perm_b32 v50, s12, 0x3020100, v50
	v_and_or_b32 v10, v10, s13, 0x3020100
	v_perm_b32 v53, s11, 0xfdfeff00, v51
	v_perm_b32 v51, s12, 0x3020100, v51
	v_and_or_b32 v48, v48, s13, 0x3020100
	v_lshrrev_b32_e32 v11, 1, v11
	v_perm_b32 v10, v52, v50, v10
	v_mov_b32_e32 v52, 0
	v_perm_b32 v44, v49, v47, v44
	v_perm_b32 v48, v53, v51, v48
	v_mov_b32_e32 v51, 0
	v_perm_b32 v49, s11, 0xfdfeff00, v45
	v_perm_b32 v45, s12, 0x3020100, v45
	v_mov_b32_e32 v50, 0
	v_and_or_b32 v11, v11, s13, 0x3020100
	s_waitcnt vmcnt(3)
	v_dot4c_i32_i8 v52, v10, v7
	v_mov_b32_e32 v7, 0
	s_waitcnt vmcnt(0)
	v_dot4c_i32_i8 v51, v10, v19
	v_perm_b32 v47, s11, 0xfdfeff00, v43
	v_perm_b32 v43, s12, 0x3020100, v43
	v_and_or_b32 v46, v46, s13, 0x3020100
	v_dot4c_i32_i8 v50, v12, v3
	v_perm_b32 v3, v49, v45, v11
	v_dot4c_i32_i8 v52, v48, v9
	v_dot4c_i32_i8 v7, v12, v15
	v_dot4c_i32_i8 v51, v48, v21
	v_dot4c_i32_i8 v50, v44, v5
	v_perm_b32 v5, v47, v43, v46
	v_dot4c_i32_i8 v52, v3, v8
	v_dot4c_i32_i8 v7, v44, v17
	;; [unrolled: 1-line block ×4, first 2 shown]
	v_cvt_f32_f16_e32 v3, v18
	v_dot4c_i32_i8 v52, v5, v2
	v_cvt_f32_f16_e32 v2, v6
	v_dot4c_i32_i8 v7, v13, v16
	v_dot4c_i32_i8 v51, v5, v14
	;; [unrolled: 1-line block ×3, first 2 shown]
	v_cvt_f32_i32_e32 v4, v52
	v_mul_f32_e32 v5, v37, v2
	v_dot4c_i32_i8 v7, v42, v39
	v_cvt_f32_i32_e32 v6, v51
	v_mul_f32_e32 v8, v40, v3
	v_cvt_f32_i32_e32 v9, v50
	v_fma_f32 v4, v5, v4, 0
	v_mul_f32_e32 v2, v38, v2
	v_cvt_f32_i32_e32 v5, v7
	v_fma_f32 v6, v8, v6, 0
	v_mul_f32_e32 v3, v41, v3
	v_add_co_u32 v24, s0, 0x480, v24
	v_fmac_f32_e32 v4, v2, v9
	v_add_co_ci_u32_e64 v25, null, 0, v25, s0
	v_fmac_f32_e32 v6, v3, v5
	v_add_nc_u32_e32 v31, 32, v31
	v_add_f32_e32 v28, v28, v4
	s_or_b32 s1, vcc_lo, s1
	v_add_f32_e32 v26, v26, v6
	s_andn2_b32 exec_lo, exec_lo, s1
	s_cbranch_execz .LBB89_27
.LBB89_3:                               ; =>This Inner Loop Header: Depth=1
	v_add_nc_u32_e32 v2, s3, v27
	s_mov_b32 s0, 0
	v_mad_i64_i32 v[2:3], null, v2, 36, s[20:21]
	v_add_co_u32 v4, vcc_lo, v2, v29
	v_add_co_ci_u32_e64 v5, null, 0, v3, vcc_lo
	v_add_co_u32 v2, vcc_lo, v2, v32
	v_add_co_ci_u32_e64 v3, null, 0, v3, vcc_lo
	s_clause 0x1
	global_load_ushort v41, v[4:5], off
	global_load_dwordx4 v[10:13], v[2:3], off offset:4
	s_clause 0x2
	global_load_dword v36, v[24:25], off offset:32
	global_load_dwordx4 v[2:5], v[24:25], off offset:16
	global_load_dwordx4 v[6:9], v[24:25], off
	s_waitcnt vmcnt(4)
	v_bfe_u32 v14, v41, 3, 4
	v_cmp_gt_i16_sdwa s15, v41, v33 src0_sel:BYTE_0 src1_sel:DWORD
	v_cmp_eq_u32_e32 vcc_lo, 0, v14
	s_and_saveexec_b32 s16, s15
	s_xor_b32 s15, exec_lo, s16
; %bb.4:                                ;   in Loop: Header=BB89_3 Depth=1
	v_cmp_ne_u16_sdwa s0, v41, v34 src0_sel:BYTE_0 src1_sel:DWORD
	s_and_b32 s0, s0, exec_lo
; %bb.5:                                ;   in Loop: Header=BB89_3 Depth=1
	s_andn2_saveexec_b32 s15, s15
; %bb.6:                                ;   in Loop: Header=BB89_3 Depth=1
	v_cmp_ne_u16_sdwa s16, v41, v30 src0_sel:BYTE_0 src1_sel:DWORD
	s_andn2_b32 s0, s0, exec_lo
	s_and_b32 s16, s16, exec_lo
	s_or_b32 s0, s0, s16
; %bb.7:                                ;   in Loop: Header=BB89_3 Depth=1
	s_or_b32 exec_lo, exec_lo, s15
	v_and_b32_e32 v15, 7, v41
	v_add_nc_u32_e32 v14, -7, v14
	v_mov_b32_e32 v37, 0
	v_cvt_f32_ubyte0_e32 v15, v15
	v_cndmask_b32_e64 v14, v14, -9, vcc_lo
	v_fma_f32 v16, 0x3e000000, v15, 1.0
	v_cndmask_b32_e32 v15, v16, v15, vcc_lo
	v_ldexp_f32 v14, v15, v14
	v_mul_f32_e32 v42, 0.5, v14
	s_and_saveexec_b32 s15, s0
; %bb.8:                                ;   in Loop: Header=BB89_3 Depth=1
	v_mov_b32_e32 v37, v42
; %bb.9:                                ;   in Loop: Header=BB89_3 Depth=1
	s_or_b32 exec_lo, exec_lo, s15
	v_and_b32_sdwa v15, v35, v41 dst_sel:DWORD dst_unused:UNUSED_PAD src0_sel:DWORD src1_sel:BYTE_1
	v_cmp_gt_i16_sdwa s15, v41, v33 src0_sel:BYTE_1 src1_sel:DWORD
	s_mov_b32 s0, 0
	v_bfe_u32 v14, v15, 3, 4
	v_cmp_eq_u32_e32 vcc_lo, 0, v14
	s_and_saveexec_b32 s16, s15
	s_xor_b32 s15, exec_lo, s16
; %bb.10:                               ;   in Loop: Header=BB89_3 Depth=1
	v_cmp_ne_u16_sdwa s0, v41, v34 src0_sel:BYTE_1 src1_sel:DWORD
	s_and_b32 s0, s0, exec_lo
; %bb.11:                               ;   in Loop: Header=BB89_3 Depth=1
	s_andn2_saveexec_b32 s15, s15
; %bb.12:                               ;   in Loop: Header=BB89_3 Depth=1
	v_cmp_ne_u16_sdwa s16, v41, v30 src0_sel:BYTE_1 src1_sel:DWORD
	s_andn2_b32 s0, s0, exec_lo
	s_and_b32 s16, s16, exec_lo
	s_or_b32 s0, s0, s16
; %bb.13:                               ;   in Loop: Header=BB89_3 Depth=1
	s_or_b32 exec_lo, exec_lo, s15
	v_and_b32_e32 v15, 7, v15
	v_add_nc_u32_e32 v14, -7, v14
	v_mov_b32_e32 v38, 0
	v_cvt_f32_ubyte0_e32 v15, v15
	v_cndmask_b32_e64 v14, v14, -9, vcc_lo
	v_fma_f32 v16, 0x3e000000, v15, 1.0
	v_cndmask_b32_e32 v15, v16, v15, vcc_lo
	v_ldexp_f32 v14, v15, v14
	v_mul_f32_e32 v43, 0.5, v14
	s_and_saveexec_b32 s15, s0
; %bb.14:                               ;   in Loop: Header=BB89_3 Depth=1
	v_mov_b32_e32 v38, v43
; %bb.15:                               ;   in Loop: Header=BB89_3 Depth=1
	s_or_b32 exec_lo, exec_lo, s15
	v_mad_u64_u32 v[18:19], null, v31, 36, v[22:23]
	v_cmp_gt_i16_sdwa s15, v41, v33 src0_sel:BYTE_0 src1_sel:DWORD
	s_mov_b32 s0, 0
	s_clause 0x2
	global_load_dword v39, v[18:19], off offset:32
	global_load_dwordx4 v[14:17], v[18:19], off offset:16
	global_load_dwordx4 v[18:21], v[18:19], off
	s_and_saveexec_b32 s16, s15
	s_xor_b32 s15, exec_lo, s16
	s_cbranch_execnz .LBB89_22
; %bb.16:                               ;   in Loop: Header=BB89_3 Depth=1
	s_andn2_saveexec_b32 s15, s15
	s_cbranch_execnz .LBB89_23
.LBB89_17:                              ;   in Loop: Header=BB89_3 Depth=1
	s_or_b32 exec_lo, exec_lo, s15
	v_mov_b32_e32 v40, 0
	s_and_saveexec_b32 s15, s0
.LBB89_18:                              ;   in Loop: Header=BB89_3 Depth=1
	v_mov_b32_e32 v40, v42
.LBB89_19:                              ;   in Loop: Header=BB89_3 Depth=1
	s_or_b32 exec_lo, exec_lo, s15
	v_cmp_gt_i16_sdwa s15, v41, v33 src0_sel:BYTE_1 src1_sel:DWORD
	s_mov_b32 s0, 0
	s_and_saveexec_b32 s16, s15
	s_xor_b32 s15, exec_lo, s16
	s_cbranch_execnz .LBB89_24
; %bb.20:                               ;   in Loop: Header=BB89_3 Depth=1
	s_andn2_saveexec_b32 s15, s15
	s_cbranch_execnz .LBB89_25
.LBB89_21:                              ;   in Loop: Header=BB89_3 Depth=1
	s_or_b32 exec_lo, exec_lo, s15
	v_mov_b32_e32 v41, 0
	s_and_saveexec_b32 s15, s0
	s_cbranch_execz .LBB89_2
	s_branch .LBB89_26
.LBB89_22:                              ;   in Loop: Header=BB89_3 Depth=1
	v_cmp_ne_u16_sdwa s0, v41, v34 src0_sel:BYTE_0 src1_sel:DWORD
	s_and_b32 s0, s0, exec_lo
	s_andn2_saveexec_b32 s15, s15
	s_cbranch_execz .LBB89_17
.LBB89_23:                              ;   in Loop: Header=BB89_3 Depth=1
	v_cmp_ne_u16_sdwa s16, v41, v30 src0_sel:BYTE_0 src1_sel:DWORD
	s_andn2_b32 s0, s0, exec_lo
	s_and_b32 s16, s16, exec_lo
	s_or_b32 s0, s0, s16
	s_or_b32 exec_lo, exec_lo, s15
	v_mov_b32_e32 v40, 0
	s_and_saveexec_b32 s15, s0
	s_cbranch_execnz .LBB89_18
	s_branch .LBB89_19
.LBB89_24:                              ;   in Loop: Header=BB89_3 Depth=1
	v_cmp_ne_u16_sdwa s0, v41, v34 src0_sel:BYTE_1 src1_sel:DWORD
                                        ; implicit-def: $vgpr41
	s_and_b32 s0, s0, exec_lo
	s_andn2_saveexec_b32 s15, s15
	s_cbranch_execz .LBB89_21
.LBB89_25:                              ;   in Loop: Header=BB89_3 Depth=1
	v_cmp_ne_u16_sdwa s16, v41, v30 src0_sel:BYTE_1 src1_sel:DWORD
	s_andn2_b32 s0, s0, exec_lo
	s_and_b32 s16, s16, exec_lo
	s_or_b32 s0, s0, s16
	s_or_b32 exec_lo, exec_lo, s15
	v_mov_b32_e32 v41, 0
	s_and_saveexec_b32 s15, s0
	s_cbranch_execz .LBB89_2
.LBB89_26:                              ;   in Loop: Header=BB89_3 Depth=1
	v_mov_b32_e32 v41, v43
	s_branch .LBB89_2
.LBB89_27:
	s_or_b32 exec_lo, exec_lo, s1
.LBB89_28:
	s_or_b32 exec_lo, exec_lo, s9
	s_mov_b32 s1, 0
	; wave barrier
	buffer_gl0_inv
	s_mov_b32 s0, exec_lo
	v_cmpx_eq_u32_e32 0, v1
	s_cbranch_execz .LBB89_33
; %bb.29:
	v_mbcnt_lo_u32_b32 v5, -1, 0
	s_load_dwordx2 s[4:5], s[4:5], 0x38
	s_mul_i32 s0, s14, s7
	s_mul_i32 s3, s18, s8
	s_add_i32 s0, s0, s6
	v_xor_b32_e32 v1, 16, v5
	v_xor_b32_e32 v2, 8, v5
	;; [unrolled: 1-line block ×3, first 2 shown]
	s_add_i32 s0, s0, s3
	s_lshl_b64 s[0:1], s[0:1], 2
	v_cmp_gt_i32_e32 vcc_lo, 32, v1
	v_cndmask_b32_e32 v1, v5, v1, vcc_lo
	v_cmp_gt_i32_e32 vcc_lo, 32, v2
	v_lshlrev_b32_e32 v1, 2, v1
	v_cndmask_b32_e32 v2, v5, v2, vcc_lo
	s_waitcnt lgkmcnt(0)
	s_add_u32 s0, s4, s0
	s_addc_u32 s1, s5, s1
	ds_bpermute_b32 v3, v1, v28
	v_lshlrev_b32_e32 v2, 2, v2
	s_waitcnt lgkmcnt(0)
	v_add_f32_e32 v4, v28, v3
	v_xor_b32_e32 v3, 4, v5
	ds_bpermute_b32 v6, v2, v4
	v_cmp_gt_i32_e32 vcc_lo, 32, v3
	v_cndmask_b32_e32 v3, v5, v3, vcc_lo
	v_lshlrev_b32_e32 v3, 2, v3
	s_waitcnt lgkmcnt(0)
	v_add_f32_e32 v6, v4, v6
	v_xor_b32_e32 v4, 2, v5
	ds_bpermute_b32 v7, v3, v6
	v_cmp_gt_i32_e32 vcc_lo, 32, v4
	v_cndmask_b32_e32 v4, v5, v4, vcc_lo
	v_cmp_gt_i32_e32 vcc_lo, 32, v8
	v_lshlrev_b32_e32 v4, 2, v4
	v_cndmask_b32_e32 v5, v5, v8, vcc_lo
	v_cmp_eq_u32_e32 vcc_lo, 0, v0
	v_lshlrev_b32_e32 v5, 2, v5
	s_waitcnt lgkmcnt(0)
	v_add_f32_e32 v6, v6, v7
	ds_bpermute_b32 v7, v4, v6
	s_waitcnt lgkmcnt(0)
	v_add_f32_e32 v6, v6, v7
	ds_bpermute_b32 v7, v5, v6
	s_and_saveexec_b32 s3, vcc_lo
	s_cbranch_execz .LBB89_31
; %bb.30:
	s_waitcnt lgkmcnt(0)
	v_add_f32_e32 v0, v6, v7
	v_mov_b32_e32 v6, 0
	global_store_dword v6, v0, s[0:1]
.LBB89_31:
	s_or_b32 exec_lo, exec_lo, s3
	ds_bpermute_b32 v0, v1, v26
	s_waitcnt lgkmcnt(0)
	v_add_f32_e32 v0, v26, v0
	ds_bpermute_b32 v1, v2, v0
	s_waitcnt lgkmcnt(0)
	v_add_f32_e32 v0, v0, v1
	;; [unrolled: 3-line block ×4, first 2 shown]
	ds_bpermute_b32 v1, v5, v0
	s_and_b32 exec_lo, exec_lo, vcc_lo
	s_cbranch_execz .LBB89_33
; %bb.32:
	s_mov_b32 s3, 0
	s_waitcnt lgkmcnt(0)
	v_add_f32_e32 v0, v0, v1
	s_lshl_b64 s[2:3], s[2:3], 2
	v_mov_b32_e32 v1, 0
	s_add_u32 s0, s0, s2
	s_addc_u32 s1, s1, s3
	global_store_dword v1, v0, s[0:1]
.LBB89_33:
	s_endpgm
	.section	.rodata,"a",@progbits
	.p2align	6, 0x0
	.amdhsa_kernel _ZL13mul_mat_vec_qIL9ggml_type40ELi2ELb0ELb0EEvPKvS2_PKi31ggml_cuda_mm_fusion_args_devicePfj15HIP_vector_typeIjLj3EEjjjS8_jjjS8_jjjj
		.amdhsa_group_segment_fixed_size 0
		.amdhsa_private_segment_fixed_size 0
		.amdhsa_kernarg_size 144
		.amdhsa_user_sgpr_count 6
		.amdhsa_user_sgpr_private_segment_buffer 1
		.amdhsa_user_sgpr_dispatch_ptr 0
		.amdhsa_user_sgpr_queue_ptr 0
		.amdhsa_user_sgpr_kernarg_segment_ptr 1
		.amdhsa_user_sgpr_dispatch_id 0
		.amdhsa_user_sgpr_flat_scratch_init 0
		.amdhsa_user_sgpr_private_segment_size 0
		.amdhsa_wavefront_size32 1
		.amdhsa_uses_dynamic_stack 0
		.amdhsa_system_sgpr_private_segment_wavefront_offset 0
		.amdhsa_system_sgpr_workgroup_id_x 1
		.amdhsa_system_sgpr_workgroup_id_y 1
		.amdhsa_system_sgpr_workgroup_id_z 1
		.amdhsa_system_sgpr_workgroup_info 0
		.amdhsa_system_vgpr_workitem_id 1
		.amdhsa_next_free_vgpr 54
		.amdhsa_next_free_sgpr 28
		.amdhsa_reserve_vcc 1
		.amdhsa_reserve_flat_scratch 0
		.amdhsa_float_round_mode_32 0
		.amdhsa_float_round_mode_16_64 0
		.amdhsa_float_denorm_mode_32 3
		.amdhsa_float_denorm_mode_16_64 3
		.amdhsa_dx10_clamp 1
		.amdhsa_ieee_mode 1
		.amdhsa_fp16_overflow 0
		.amdhsa_workgroup_processor_mode 1
		.amdhsa_memory_ordered 1
		.amdhsa_forward_progress 1
		.amdhsa_shared_vgpr_count 0
		.amdhsa_exception_fp_ieee_invalid_op 0
		.amdhsa_exception_fp_denorm_src 0
		.amdhsa_exception_fp_ieee_div_zero 0
		.amdhsa_exception_fp_ieee_overflow 0
		.amdhsa_exception_fp_ieee_underflow 0
		.amdhsa_exception_fp_ieee_inexact 0
		.amdhsa_exception_int_div_zero 0
	.end_amdhsa_kernel
	.section	.text._ZL13mul_mat_vec_qIL9ggml_type40ELi2ELb0ELb0EEvPKvS2_PKi31ggml_cuda_mm_fusion_args_devicePfj15HIP_vector_typeIjLj3EEjjjS8_jjjS8_jjjj,"axG",@progbits,_ZL13mul_mat_vec_qIL9ggml_type40ELi2ELb0ELb0EEvPKvS2_PKi31ggml_cuda_mm_fusion_args_devicePfj15HIP_vector_typeIjLj3EEjjjS8_jjjS8_jjjj,comdat
.Lfunc_end89:
	.size	_ZL13mul_mat_vec_qIL9ggml_type40ELi2ELb0ELb0EEvPKvS2_PKi31ggml_cuda_mm_fusion_args_devicePfj15HIP_vector_typeIjLj3EEjjjS8_jjjS8_jjjj, .Lfunc_end89-_ZL13mul_mat_vec_qIL9ggml_type40ELi2ELb0ELb0EEvPKvS2_PKi31ggml_cuda_mm_fusion_args_devicePfj15HIP_vector_typeIjLj3EEjjjS8_jjjS8_jjjj
                                        ; -- End function
	.set _ZL13mul_mat_vec_qIL9ggml_type40ELi2ELb0ELb0EEvPKvS2_PKi31ggml_cuda_mm_fusion_args_devicePfj15HIP_vector_typeIjLj3EEjjjS8_jjjS8_jjjj.num_vgpr, 54
	.set _ZL13mul_mat_vec_qIL9ggml_type40ELi2ELb0ELb0EEvPKvS2_PKi31ggml_cuda_mm_fusion_args_devicePfj15HIP_vector_typeIjLj3EEjjjS8_jjjS8_jjjj.num_agpr, 0
	.set _ZL13mul_mat_vec_qIL9ggml_type40ELi2ELb0ELb0EEvPKvS2_PKi31ggml_cuda_mm_fusion_args_devicePfj15HIP_vector_typeIjLj3EEjjjS8_jjjS8_jjjj.numbered_sgpr, 28
	.set _ZL13mul_mat_vec_qIL9ggml_type40ELi2ELb0ELb0EEvPKvS2_PKi31ggml_cuda_mm_fusion_args_devicePfj15HIP_vector_typeIjLj3EEjjjS8_jjjS8_jjjj.num_named_barrier, 0
	.set _ZL13mul_mat_vec_qIL9ggml_type40ELi2ELb0ELb0EEvPKvS2_PKi31ggml_cuda_mm_fusion_args_devicePfj15HIP_vector_typeIjLj3EEjjjS8_jjjS8_jjjj.private_seg_size, 0
	.set _ZL13mul_mat_vec_qIL9ggml_type40ELi2ELb0ELb0EEvPKvS2_PKi31ggml_cuda_mm_fusion_args_devicePfj15HIP_vector_typeIjLj3EEjjjS8_jjjS8_jjjj.uses_vcc, 1
	.set _ZL13mul_mat_vec_qIL9ggml_type40ELi2ELb0ELb0EEvPKvS2_PKi31ggml_cuda_mm_fusion_args_devicePfj15HIP_vector_typeIjLj3EEjjjS8_jjjS8_jjjj.uses_flat_scratch, 0
	.set _ZL13mul_mat_vec_qIL9ggml_type40ELi2ELb0ELb0EEvPKvS2_PKi31ggml_cuda_mm_fusion_args_devicePfj15HIP_vector_typeIjLj3EEjjjS8_jjjS8_jjjj.has_dyn_sized_stack, 0
	.set _ZL13mul_mat_vec_qIL9ggml_type40ELi2ELb0ELb0EEvPKvS2_PKi31ggml_cuda_mm_fusion_args_devicePfj15HIP_vector_typeIjLj3EEjjjS8_jjjS8_jjjj.has_recursion, 0
	.set _ZL13mul_mat_vec_qIL9ggml_type40ELi2ELb0ELb0EEvPKvS2_PKi31ggml_cuda_mm_fusion_args_devicePfj15HIP_vector_typeIjLj3EEjjjS8_jjjS8_jjjj.has_indirect_call, 0
	.section	.AMDGPU.csdata,"",@progbits
; Kernel info:
; codeLenInByte = 2060
; TotalNumSgprs: 30
; NumVgprs: 54
; ScratchSize: 0
; MemoryBound: 0
; FloatMode: 240
; IeeeMode: 1
; LDSByteSize: 0 bytes/workgroup (compile time only)
; SGPRBlocks: 0
; VGPRBlocks: 6
; NumSGPRsForWavesPerEU: 30
; NumVGPRsForWavesPerEU: 54
; Occupancy: 16
; WaveLimiterHint : 0
; COMPUTE_PGM_RSRC2:SCRATCH_EN: 0
; COMPUTE_PGM_RSRC2:USER_SGPR: 6
; COMPUTE_PGM_RSRC2:TRAP_HANDLER: 0
; COMPUTE_PGM_RSRC2:TGID_X_EN: 1
; COMPUTE_PGM_RSRC2:TGID_Y_EN: 1
; COMPUTE_PGM_RSRC2:TGID_Z_EN: 1
; COMPUTE_PGM_RSRC2:TIDIG_COMP_CNT: 1
	.section	.text._ZL13mul_mat_vec_qIL9ggml_type40ELi3ELb0ELb0EEvPKvS2_PKi31ggml_cuda_mm_fusion_args_devicePfj15HIP_vector_typeIjLj3EEjjjS8_jjjS8_jjjj,"axG",@progbits,_ZL13mul_mat_vec_qIL9ggml_type40ELi3ELb0ELb0EEvPKvS2_PKi31ggml_cuda_mm_fusion_args_devicePfj15HIP_vector_typeIjLj3EEjjjS8_jjjS8_jjjj,comdat
	.globl	_ZL13mul_mat_vec_qIL9ggml_type40ELi3ELb0ELb0EEvPKvS2_PKi31ggml_cuda_mm_fusion_args_devicePfj15HIP_vector_typeIjLj3EEjjjS8_jjjS8_jjjj ; -- Begin function _ZL13mul_mat_vec_qIL9ggml_type40ELi3ELb0ELb0EEvPKvS2_PKi31ggml_cuda_mm_fusion_args_devicePfj15HIP_vector_typeIjLj3EEjjjS8_jjjS8_jjjj
	.p2align	8
	.type	_ZL13mul_mat_vec_qIL9ggml_type40ELi3ELb0ELb0EEvPKvS2_PKi31ggml_cuda_mm_fusion_args_devicePfj15HIP_vector_typeIjLj3EEjjjS8_jjjS8_jjjj,@function
_ZL13mul_mat_vec_qIL9ggml_type40ELi3ELb0ELb0EEvPKvS2_PKi31ggml_cuda_mm_fusion_args_devicePfj15HIP_vector_typeIjLj3EEjjjS8_jjjS8_jjjj: ; @_ZL13mul_mat_vec_qIL9ggml_type40ELi3ELb0ELb0EEvPKvS2_PKi31ggml_cuda_mm_fusion_args_devicePfj15HIP_vector_typeIjLj3EEjjjS8_jjjS8_jjjj
; %bb.0:
	s_clause 0x5
	s_load_dwordx4 s[16:19], s[4:5], 0x80
	s_load_dword s9, s[4:5], 0x40
	s_load_dwordx4 s[0:3], s[4:5], 0x50
	s_load_dword s11, s[4:5], 0x60
	;; [unrolled: 2-line block ×3, first 2 shown]
	v_lshl_or_b32 v2, v1, 5, v0
	v_mov_b32_e32 v34, 0
	v_mov_b32_e32 v35, 0
	;; [unrolled: 1-line block ×3, first 2 shown]
	v_lshrrev_b16 v3, 1, v2
	v_and_b32_e32 v36, 0xffff, v3
	s_waitcnt lgkmcnt(0)
	s_lshr_b32 s10, s9, 6
	s_mov_b32 s9, exec_lo
	v_cmpx_gt_u32_e64 s10, v36
	s_cbranch_execz .LBB90_40
; %bb.1:
	v_lshrrev_b32_e32 v2, 1, v2
	s_mul_i32 s13, s13, s7
	s_load_dwordx4 s[20:23], s[4:5], 0x0
	s_mul_hi_u32 s27, s13, 36
	s_mul_i32 s26, s13, 36
	s_mul_i32 s17, s17, s8
	v_mad_u64_u32 v[2:3], null, 0x48, v2, s[26:27]
	v_and_b32_e32 v5, 1, v0
	v_lshlrev_b32_e32 v4, 2, v0
	s_mul_i32 s19, s17, 36
	s_mul_hi_u32 s13, s15, s8
	s_mul_hi_u32 s15, s17, 36
	;; [unrolled: 1-line block ×3, first 2 shown]
	v_mad_u64_u32 v[2:3], null, s17, 36, v[2:3]
	v_and_b32_e32 v4, 4, v4
	s_mul_i32 s0, s0, s6
	v_mov_b32_e32 v39, 0
	v_add_lshl_u32 v40, s1, v36, 1
	v_lshl_add_u32 v41, v36, 1, s1
	v_lshrrev_b32_e32 v38, 1, v4
	v_mad_u64_u32 v[2:3], null, v5, 36, v[2:3]
	s_waitcnt lgkmcnt(0)
	s_add_u32 s17, s22, s19
	s_addc_u32 s15, s23, s15
	s_add_u32 s26, s17, s26
	s_addc_u32 s27, s15, s27
	s_add_i32 s3, s7, s3
	s_add_i32 s13, s8, s13
	s_lshr_b32 s3, s3, s11
	v_mad_u64_u32 v[30:31], null, v5, 36, s[26:27]
	v_add_co_u32 v32, vcc_lo, s22, v2
	s_lshr_b32 s11, s13, s24
	s_mul_i32 s3, s3, s12
	v_add_co_ci_u32_e64 v33, null, s23, v3, vcc_lo
	v_lshlrev_b32_e32 v42, 2, v4
	v_mov_b32_e32 v43, 0x7e
	v_mov_b32_e32 v44, 0x7f
	;; [unrolled: 1-line block ×6, first 2 shown]
	s_mul_i32 s11, s11, s16
	s_add_i32 s3, s3, s0
	s_mov_b32 s1, 0
	s_add_i32 s0, s11, s3
	s_mov_b32 s3, 0xf4f8fafc
	s_mov_b32 s11, 0xc080604
	;; [unrolled: 1-line block ×3, first 2 shown]
	s_branch .LBB90_3
.LBB90_2:                               ;   in Loop: Header=BB90_3 Depth=1
	s_or_b32 exec_lo, exec_lo, s15
	s_waitcnt vmcnt(9)
	v_ashrrev_i32_e32 v55, 4, v13
	v_add_nc_u32_e32 v36, 16, v36
	v_add_co_u32 v32, vcc_lo, 0x480, v32
	v_add_co_ci_u32_e64 v33, null, 0, v33, vcc_lo
	v_and_b32_e32 v56, 0x7070707, v55
	v_lshrrev_b32_e32 v55, 1, v55
	v_cmp_le_u32_e32 vcc_lo, s10, v36
	v_add_nc_u32_e32 v40, 32, v40
	v_add_nc_u32_e32 v41, 32, v41
	v_perm_b32 v57, s3, 0xfdfeff00, v56
	v_perm_b32 v56, s11, 0x3020100, v56
	v_and_or_b32 v55, v55, s12, 0x3020100
	s_or_b32 s1, vcc_lo, s1
	v_perm_b32 v55, v57, v56, v55
	v_and_b32_e32 v56, 0x7070707, v13
	v_lshrrev_b32_e32 v13, 1, v13
	v_perm_b32 v57, s3, 0xfdfeff00, v56
	v_perm_b32 v56, s11, 0x3020100, v56
	v_and_or_b32 v13, v13, s12, 0x3020100
	v_perm_b32 v13, v57, v56, v13
	v_ashrrev_i32_e32 v56, 4, v12
	v_and_b32_e32 v57, 0x7070707, v56
	v_lshrrev_b32_e32 v56, 1, v56
	v_perm_b32 v58, s3, 0xfdfeff00, v57
	v_perm_b32 v57, s11, 0x3020100, v57
	v_and_or_b32 v56, v56, s12, 0x3020100
	v_perm_b32 v56, v58, v57, v56
	v_and_b32_e32 v57, 0x7070707, v12
	v_lshrrev_b32_e32 v12, 1, v12
	v_perm_b32 v58, s3, 0xfdfeff00, v57
	v_perm_b32 v57, s11, 0x3020100, v57
	v_and_or_b32 v12, v12, s12, 0x3020100
	v_perm_b32 v12, v58, v57, v12
	v_ashrrev_i32_e32 v57, 4, v11
	v_and_b32_e32 v58, 0x7070707, v57
	v_lshrrev_b32_e32 v57, 1, v57
	v_perm_b32 v59, s3, 0xfdfeff00, v58
	v_perm_b32 v58, s11, 0x3020100, v58
	v_and_or_b32 v57, v57, s12, 0x3020100
	;; [unrolled: 13-line block ×3, first 2 shown]
	v_perm_b32 v58, v60, v59, v58
	v_and_b32_e32 v59, 0x7070707, v10
	v_lshrrev_b32_e32 v10, 1, v10
	v_perm_b32 v60, s3, 0xfdfeff00, v59
	v_perm_b32 v59, s11, 0x3020100, v59
	v_and_or_b32 v10, v10, s12, 0x3020100
	v_perm_b32 v10, v60, v59, v10
	v_mov_b32_e32 v59, 0
	s_waitcnt vmcnt(4)
	v_dot4c_i32_i8 v59, v12, v15
	s_waitcnt vmcnt(3)
	v_cvt_f32_f16_e32 v15, v18
	v_dot4c_i32_i8 v59, v56, v17
	v_mul_f32_e32 v17, v51, v15
	v_mul_f32_e32 v15, v54, v15
	v_dot4c_i32_i8 v59, v13, v16
	v_mov_b32_e32 v16, 0
	v_dot4c_i32_i8 v59, v55, v50
	v_dot4c_i32_i8 v16, v10, v19
	;; [unrolled: 1-line block ×5, first 2 shown]
	v_cvt_f32_i32_e32 v14, v16
	v_cvt_f32_i32_e32 v16, v59
	v_fma_f32 v14, v17, v14, 0
	v_mov_b32_e32 v17, 0
	v_fmac_f32_e32 v14, v15, v16
	v_dot4c_i32_i8 v17, v12, v3
	v_mov_b32_e32 v16, 0
	v_cvt_f32_f16_e32 v3, v6
	s_waitcnt vmcnt(0)
	v_cvt_f32_f16_e32 v15, v26
	v_add_f32_e32 v35, v35, v14
	v_dot4c_i32_i8 v17, v56, v5
	v_mov_b32_e32 v14, 0
	v_dot4c_i32_i8 v16, v10, v27
	v_mul_f32_e32 v5, v46, v3
	v_mul_f32_e32 v3, v48, v3
	v_dot4c_i32_i8 v17, v13, v4
	v_mov_b32_e32 v4, 0
	v_dot4c_i32_i8 v14, v12, v23
	v_dot4c_i32_i8 v16, v58, v29
	v_dot4c_i32_i8 v17, v55, v47
	v_dot4c_i32_i8 v4, v10, v7
	v_dot4c_i32_i8 v14, v56, v25
	v_dot4c_i32_i8 v16, v11, v28
	v_dot4c_i32_i8 v4, v58, v9
	v_dot4c_i32_i8 v14, v13, v24
	v_dot4c_i32_i8 v16, v57, v22
	v_dot4c_i32_i8 v4, v11, v8
	v_dot4c_i32_i8 v14, v55, v53
	v_cvt_f32_i32_e32 v16, v16
	v_dot4c_i32_i8 v4, v57, v2
	v_cvt_f32_i32_e32 v14, v14
	v_cvt_f32_i32_e32 v2, v4
	;; [unrolled: 1-line block ×3, first 2 shown]
	v_fma_f32 v2, v5, v2, 0
	v_fmac_f32_e32 v2, v3, v4
	v_mul_f32_e32 v3, v52, v15
	v_add_f32_e32 v37, v37, v2
	v_mul_f32_e32 v2, v49, v15
	v_fma_f32 v2, v2, v16, 0
	v_fmac_f32_e32 v2, v3, v14
	v_add_f32_e32 v34, v34, v2
	s_andn2_b32 exec_lo, exec_lo, s1
	s_cbranch_execz .LBB90_39
.LBB90_3:                               ; =>This Inner Loop Header: Depth=1
	v_add_nc_u32_e32 v2, s0, v36
	s_mov_b32 s13, 0
	v_mad_i64_i32 v[2:3], null, v2, 36, s[20:21]
	v_add_co_u32 v4, vcc_lo, v2, v38
	v_add_co_ci_u32_e64 v5, null, 0, v3, vcc_lo
	v_add_co_u32 v2, vcc_lo, v2, v42
	v_add_co_ci_u32_e64 v3, null, 0, v3, vcc_lo
	s_clause 0x1
	global_load_ushort v52, v[4:5], off
	global_load_dwordx4 v[10:13], v[2:3], off offset:4
	s_clause 0x2
	global_load_dword v47, v[32:33], off offset:32
	global_load_dwordx4 v[2:5], v[32:33], off offset:16
	global_load_dwordx4 v[6:9], v[32:33], off
	s_waitcnt vmcnt(4)
	v_bfe_u32 v14, v52, 3, 4
	v_cmp_gt_i16_sdwa s15, v52, v43 src0_sel:BYTE_0 src1_sel:DWORD
	v_cmp_eq_u32_e32 vcc_lo, 0, v14
	s_and_saveexec_b32 s16, s15
	s_xor_b32 s15, exec_lo, s16
; %bb.4:                                ;   in Loop: Header=BB90_3 Depth=1
	v_cmp_ne_u16_sdwa s13, v52, v44 src0_sel:BYTE_0 src1_sel:DWORD
	s_and_b32 s13, s13, exec_lo
; %bb.5:                                ;   in Loop: Header=BB90_3 Depth=1
	s_andn2_saveexec_b32 s15, s15
; %bb.6:                                ;   in Loop: Header=BB90_3 Depth=1
	v_cmp_ne_u16_sdwa s16, v52, v39 src0_sel:BYTE_0 src1_sel:DWORD
	s_andn2_b32 s13, s13, exec_lo
	s_and_b32 s16, s16, exec_lo
	s_or_b32 s13, s13, s16
; %bb.7:                                ;   in Loop: Header=BB90_3 Depth=1
	s_or_b32 exec_lo, exec_lo, s15
	v_and_b32_e32 v15, 7, v52
	v_add_nc_u32_e32 v14, -7, v14
	v_mov_b32_e32 v46, 0
	v_cvt_f32_ubyte0_e32 v15, v15
	v_cndmask_b32_e64 v14, v14, -9, vcc_lo
	v_fma_f32 v16, 0x3e000000, v15, 1.0
	v_cndmask_b32_e32 v15, v16, v15, vcc_lo
	v_ldexp_f32 v14, v15, v14
	v_mul_f32_e32 v55, 0.5, v14
	s_and_saveexec_b32 s15, s13
; %bb.8:                                ;   in Loop: Header=BB90_3 Depth=1
	v_mov_b32_e32 v46, v55
; %bb.9:                                ;   in Loop: Header=BB90_3 Depth=1
	s_or_b32 exec_lo, exec_lo, s15
	v_and_b32_sdwa v15, v45, v52 dst_sel:DWORD dst_unused:UNUSED_PAD src0_sel:DWORD src1_sel:BYTE_1
	v_cmp_gt_i16_sdwa s15, v52, v43 src0_sel:BYTE_1 src1_sel:DWORD
	s_mov_b32 s13, 0
	v_bfe_u32 v14, v15, 3, 4
	v_cmp_eq_u32_e32 vcc_lo, 0, v14
	s_and_saveexec_b32 s16, s15
	s_xor_b32 s15, exec_lo, s16
; %bb.10:                               ;   in Loop: Header=BB90_3 Depth=1
	v_cmp_ne_u16_sdwa s13, v52, v44 src0_sel:BYTE_1 src1_sel:DWORD
	s_and_b32 s13, s13, exec_lo
; %bb.11:                               ;   in Loop: Header=BB90_3 Depth=1
	s_andn2_saveexec_b32 s15, s15
; %bb.12:                               ;   in Loop: Header=BB90_3 Depth=1
	v_cmp_ne_u16_sdwa s16, v52, v39 src0_sel:BYTE_1 src1_sel:DWORD
	s_andn2_b32 s13, s13, exec_lo
	s_and_b32 s16, s16, exec_lo
	s_or_b32 s13, s13, s16
; %bb.13:                               ;   in Loop: Header=BB90_3 Depth=1
	s_or_b32 exec_lo, exec_lo, s15
	v_and_b32_e32 v15, 7, v15
	v_add_nc_u32_e32 v14, -7, v14
	v_mov_b32_e32 v48, 0
	v_cvt_f32_ubyte0_e32 v15, v15
	v_cndmask_b32_e64 v14, v14, -9, vcc_lo
	v_fma_f32 v16, 0x3e000000, v15, 1.0
	v_cndmask_b32_e32 v15, v16, v15, vcc_lo
	v_ldexp_f32 v14, v15, v14
	v_mul_f32_e32 v56, 0.5, v14
	s_and_saveexec_b32 s15, s13
; %bb.14:                               ;   in Loop: Header=BB90_3 Depth=1
	v_mov_b32_e32 v48, v56
; %bb.15:                               ;   in Loop: Header=BB90_3 Depth=1
	s_or_b32 exec_lo, exec_lo, s15
	v_mad_u64_u32 v[18:19], null, v41, 36, v[30:31]
	v_cmp_gt_i16_sdwa s15, v52, v43 src0_sel:BYTE_0 src1_sel:DWORD
	s_mov_b32 s13, 0
	s_clause 0x2
	global_load_dword v50, v[18:19], off offset:32
	global_load_dwordx4 v[14:17], v[18:19], off offset:16
	global_load_dwordx4 v[18:21], v[18:19], off
	s_and_saveexec_b32 s16, s15
	s_xor_b32 s15, exec_lo, s16
	s_cbranch_execnz .LBB90_30
; %bb.16:                               ;   in Loop: Header=BB90_3 Depth=1
	s_andn2_saveexec_b32 s15, s15
	s_cbranch_execnz .LBB90_31
.LBB90_17:                              ;   in Loop: Header=BB90_3 Depth=1
	s_or_b32 exec_lo, exec_lo, s15
	v_mov_b32_e32 v51, 0
	s_and_saveexec_b32 s15, s13
.LBB90_18:                              ;   in Loop: Header=BB90_3 Depth=1
	v_mov_b32_e32 v51, v55
.LBB90_19:                              ;   in Loop: Header=BB90_3 Depth=1
	s_or_b32 exec_lo, exec_lo, s15
	v_cmp_gt_i16_sdwa s15, v52, v43 src0_sel:BYTE_1 src1_sel:DWORD
	s_mov_b32 s13, 0
	s_and_saveexec_b32 s16, s15
	s_xor_b32 s15, exec_lo, s16
	s_cbranch_execnz .LBB90_32
; %bb.20:                               ;   in Loop: Header=BB90_3 Depth=1
	s_andn2_saveexec_b32 s15, s15
	s_cbranch_execnz .LBB90_33
.LBB90_21:                              ;   in Loop: Header=BB90_3 Depth=1
	s_or_b32 exec_lo, exec_lo, s15
	v_mov_b32_e32 v54, 0
	s_and_saveexec_b32 s15, s13
.LBB90_22:                              ;   in Loop: Header=BB90_3 Depth=1
	v_mov_b32_e32 v54, v56
.LBB90_23:                              ;   in Loop: Header=BB90_3 Depth=1
	s_or_b32 exec_lo, exec_lo, s15
	v_mad_u64_u32 v[26:27], null, v40, 36, v[30:31]
	v_cmp_gt_i16_sdwa s15, v52, v43 src0_sel:BYTE_0 src1_sel:DWORD
	s_mov_b32 s13, 0
	s_clause 0x2
	global_load_dword v53, v[26:27], off offset:32
	global_load_dwordx4 v[22:25], v[26:27], off offset:16
	global_load_dwordx4 v[26:29], v[26:27], off
	s_and_saveexec_b32 s16, s15
	s_xor_b32 s15, exec_lo, s16
	s_cbranch_execnz .LBB90_34
; %bb.24:                               ;   in Loop: Header=BB90_3 Depth=1
	s_andn2_saveexec_b32 s15, s15
	s_cbranch_execnz .LBB90_35
.LBB90_25:                              ;   in Loop: Header=BB90_3 Depth=1
	s_or_b32 exec_lo, exec_lo, s15
	v_mov_b32_e32 v49, 0
	s_and_saveexec_b32 s15, s13
.LBB90_26:                              ;   in Loop: Header=BB90_3 Depth=1
	v_mov_b32_e32 v49, v55
.LBB90_27:                              ;   in Loop: Header=BB90_3 Depth=1
	s_or_b32 exec_lo, exec_lo, s15
	v_cmp_gt_i16_sdwa s15, v52, v43 src0_sel:BYTE_1 src1_sel:DWORD
	s_mov_b32 s13, 0
	s_and_saveexec_b32 s16, s15
	s_xor_b32 s15, exec_lo, s16
	s_cbranch_execnz .LBB90_36
; %bb.28:                               ;   in Loop: Header=BB90_3 Depth=1
	s_andn2_saveexec_b32 s15, s15
	s_cbranch_execnz .LBB90_37
.LBB90_29:                              ;   in Loop: Header=BB90_3 Depth=1
	s_or_b32 exec_lo, exec_lo, s15
	v_mov_b32_e32 v52, 0
	s_and_saveexec_b32 s15, s13
	s_cbranch_execz .LBB90_2
	s_branch .LBB90_38
.LBB90_30:                              ;   in Loop: Header=BB90_3 Depth=1
	v_cmp_ne_u16_sdwa s13, v52, v44 src0_sel:BYTE_0 src1_sel:DWORD
	s_and_b32 s13, s13, exec_lo
	s_andn2_saveexec_b32 s15, s15
	s_cbranch_execz .LBB90_17
.LBB90_31:                              ;   in Loop: Header=BB90_3 Depth=1
	v_cmp_ne_u16_sdwa s16, v52, v39 src0_sel:BYTE_0 src1_sel:DWORD
	s_andn2_b32 s13, s13, exec_lo
	s_and_b32 s16, s16, exec_lo
	s_or_b32 s13, s13, s16
	s_or_b32 exec_lo, exec_lo, s15
	v_mov_b32_e32 v51, 0
	s_and_saveexec_b32 s15, s13
	s_cbranch_execnz .LBB90_18
	s_branch .LBB90_19
.LBB90_32:                              ;   in Loop: Header=BB90_3 Depth=1
	v_cmp_ne_u16_sdwa s13, v52, v44 src0_sel:BYTE_1 src1_sel:DWORD
	s_and_b32 s13, s13, exec_lo
	s_andn2_saveexec_b32 s15, s15
	s_cbranch_execz .LBB90_21
.LBB90_33:                              ;   in Loop: Header=BB90_3 Depth=1
	v_cmp_ne_u16_sdwa s16, v52, v39 src0_sel:BYTE_1 src1_sel:DWORD
	s_andn2_b32 s13, s13, exec_lo
	s_and_b32 s16, s16, exec_lo
	s_or_b32 s13, s13, s16
	s_or_b32 exec_lo, exec_lo, s15
	v_mov_b32_e32 v54, 0
	s_and_saveexec_b32 s15, s13
	s_cbranch_execnz .LBB90_22
	s_branch .LBB90_23
.LBB90_34:                              ;   in Loop: Header=BB90_3 Depth=1
	v_cmp_ne_u16_sdwa s13, v52, v44 src0_sel:BYTE_0 src1_sel:DWORD
	s_and_b32 s13, s13, exec_lo
	s_andn2_saveexec_b32 s15, s15
	s_cbranch_execz .LBB90_25
.LBB90_35:                              ;   in Loop: Header=BB90_3 Depth=1
	v_cmp_ne_u16_sdwa s16, v52, v39 src0_sel:BYTE_0 src1_sel:DWORD
	s_andn2_b32 s13, s13, exec_lo
	s_and_b32 s16, s16, exec_lo
	s_or_b32 s13, s13, s16
	s_or_b32 exec_lo, exec_lo, s15
	v_mov_b32_e32 v49, 0
	s_and_saveexec_b32 s15, s13
	s_cbranch_execnz .LBB90_26
	s_branch .LBB90_27
.LBB90_36:                              ;   in Loop: Header=BB90_3 Depth=1
	v_cmp_ne_u16_sdwa s13, v52, v44 src0_sel:BYTE_1 src1_sel:DWORD
                                        ; implicit-def: $vgpr52
	s_and_b32 s13, s13, exec_lo
	s_andn2_saveexec_b32 s15, s15
	s_cbranch_execz .LBB90_29
.LBB90_37:                              ;   in Loop: Header=BB90_3 Depth=1
	v_cmp_ne_u16_sdwa s16, v52, v39 src0_sel:BYTE_1 src1_sel:DWORD
	s_andn2_b32 s13, s13, exec_lo
	s_and_b32 s16, s16, exec_lo
	s_or_b32 s13, s13, s16
	s_or_b32 exec_lo, exec_lo, s15
	v_mov_b32_e32 v52, 0
	s_and_saveexec_b32 s15, s13
	s_cbranch_execz .LBB90_2
.LBB90_38:                              ;   in Loop: Header=BB90_3 Depth=1
	v_mov_b32_e32 v52, v56
	s_branch .LBB90_2
.LBB90_39:
	s_or_b32 exec_lo, exec_lo, s1
.LBB90_40:
	s_or_b32 exec_lo, exec_lo, s9
	s_mov_b32 s1, 0
	; wave barrier
	buffer_gl0_inv
	s_mov_b32 s0, exec_lo
	v_cmpx_eq_u32_e32 0, v1
	s_cbranch_execz .LBB90_47
; %bb.41:
	v_mbcnt_lo_u32_b32 v5, -1, 0
	s_load_dwordx2 s[4:5], s[4:5], 0x38
	s_mul_i32 s0, s14, s7
	s_mul_i32 s3, s18, s8
	s_add_i32 s0, s0, s6
	v_xor_b32_e32 v1, 16, v5
	v_xor_b32_e32 v2, 8, v5
	v_xor_b32_e32 v8, 1, v5
	s_add_i32 s0, s0, s3
	s_lshl_b64 s[0:1], s[0:1], 2
	v_cmp_gt_i32_e32 vcc_lo, 32, v1
	v_cndmask_b32_e32 v1, v5, v1, vcc_lo
	v_cmp_gt_i32_e32 vcc_lo, 32, v2
	v_lshlrev_b32_e32 v1, 2, v1
	v_cndmask_b32_e32 v2, v5, v2, vcc_lo
	s_waitcnt lgkmcnt(0)
	s_add_u32 s0, s4, s0
	s_addc_u32 s1, s5, s1
	ds_bpermute_b32 v3, v1, v37
	v_lshlrev_b32_e32 v2, 2, v2
	s_waitcnt lgkmcnt(0)
	v_add_f32_e32 v4, v37, v3
	v_xor_b32_e32 v3, 4, v5
	ds_bpermute_b32 v6, v2, v4
	v_cmp_gt_i32_e32 vcc_lo, 32, v3
	v_cndmask_b32_e32 v3, v5, v3, vcc_lo
	v_lshlrev_b32_e32 v3, 2, v3
	s_waitcnt lgkmcnt(0)
	v_add_f32_e32 v6, v4, v6
	v_xor_b32_e32 v4, 2, v5
	ds_bpermute_b32 v7, v3, v6
	v_cmp_gt_i32_e32 vcc_lo, 32, v4
	v_cndmask_b32_e32 v4, v5, v4, vcc_lo
	v_cmp_gt_i32_e32 vcc_lo, 32, v8
	v_lshlrev_b32_e32 v4, 2, v4
	v_cndmask_b32_e32 v5, v5, v8, vcc_lo
	v_cmp_eq_u32_e32 vcc_lo, 0, v0
	v_lshlrev_b32_e32 v5, 2, v5
	s_waitcnt lgkmcnt(0)
	v_add_f32_e32 v6, v6, v7
	ds_bpermute_b32 v7, v4, v6
	s_waitcnt lgkmcnt(0)
	v_add_f32_e32 v6, v6, v7
	ds_bpermute_b32 v7, v5, v6
	s_and_saveexec_b32 s3, vcc_lo
	s_cbranch_execz .LBB90_43
; %bb.42:
	s_waitcnt lgkmcnt(0)
	v_add_f32_e32 v0, v6, v7
	v_mov_b32_e32 v6, 0
	global_store_dword v6, v0, s[0:1]
.LBB90_43:
	s_or_b32 exec_lo, exec_lo, s3
	ds_bpermute_b32 v0, v1, v35
	s_waitcnt lgkmcnt(0)
	v_add_f32_e32 v0, v35, v0
	ds_bpermute_b32 v6, v2, v0
	s_waitcnt lgkmcnt(0)
	v_add_f32_e32 v0, v0, v6
	;; [unrolled: 3-line block ×4, first 2 shown]
	ds_bpermute_b32 v6, v5, v0
	s_and_saveexec_b32 s4, vcc_lo
	s_cbranch_execz .LBB90_45
; %bb.44:
	s_mov_b32 s3, 0
	s_waitcnt lgkmcnt(0)
	v_add_f32_e32 v0, v0, v6
	s_lshl_b64 s[6:7], s[2:3], 2
	v_mov_b32_e32 v6, 0
	s_add_u32 s6, s0, s6
	s_addc_u32 s7, s1, s7
	global_store_dword v6, v0, s[6:7]
.LBB90_45:
	s_or_b32 exec_lo, exec_lo, s4
	ds_bpermute_b32 v0, v1, v34
	s_waitcnt lgkmcnt(0)
	v_add_f32_e32 v0, v34, v0
	ds_bpermute_b32 v1, v2, v0
	s_waitcnt lgkmcnt(0)
	v_add_f32_e32 v0, v0, v1
	;; [unrolled: 3-line block ×4, first 2 shown]
	ds_bpermute_b32 v1, v5, v0
	s_and_b32 exec_lo, exec_lo, vcc_lo
	s_cbranch_execz .LBB90_47
; %bb.46:
	s_lshl_b32 s2, s2, 1
	s_mov_b32 s3, 0
	s_waitcnt lgkmcnt(0)
	v_add_f32_e32 v0, v0, v1
	s_lshl_b64 s[2:3], s[2:3], 2
	v_mov_b32_e32 v1, 0
	s_add_u32 s0, s0, s2
	s_addc_u32 s1, s1, s3
	global_store_dword v1, v0, s[0:1]
.LBB90_47:
	s_endpgm
	.section	.rodata,"a",@progbits
	.p2align	6, 0x0
	.amdhsa_kernel _ZL13mul_mat_vec_qIL9ggml_type40ELi3ELb0ELb0EEvPKvS2_PKi31ggml_cuda_mm_fusion_args_devicePfj15HIP_vector_typeIjLj3EEjjjS8_jjjS8_jjjj
		.amdhsa_group_segment_fixed_size 0
		.amdhsa_private_segment_fixed_size 0
		.amdhsa_kernarg_size 144
		.amdhsa_user_sgpr_count 6
		.amdhsa_user_sgpr_private_segment_buffer 1
		.amdhsa_user_sgpr_dispatch_ptr 0
		.amdhsa_user_sgpr_queue_ptr 0
		.amdhsa_user_sgpr_kernarg_segment_ptr 1
		.amdhsa_user_sgpr_dispatch_id 0
		.amdhsa_user_sgpr_flat_scratch_init 0
		.amdhsa_user_sgpr_private_segment_size 0
		.amdhsa_wavefront_size32 1
		.amdhsa_uses_dynamic_stack 0
		.amdhsa_system_sgpr_private_segment_wavefront_offset 0
		.amdhsa_system_sgpr_workgroup_id_x 1
		.amdhsa_system_sgpr_workgroup_id_y 1
		.amdhsa_system_sgpr_workgroup_id_z 1
		.amdhsa_system_sgpr_workgroup_info 0
		.amdhsa_system_vgpr_workitem_id 1
		.amdhsa_next_free_vgpr 61
		.amdhsa_next_free_sgpr 28
		.amdhsa_reserve_vcc 1
		.amdhsa_reserve_flat_scratch 0
		.amdhsa_float_round_mode_32 0
		.amdhsa_float_round_mode_16_64 0
		.amdhsa_float_denorm_mode_32 3
		.amdhsa_float_denorm_mode_16_64 3
		.amdhsa_dx10_clamp 1
		.amdhsa_ieee_mode 1
		.amdhsa_fp16_overflow 0
		.amdhsa_workgroup_processor_mode 1
		.amdhsa_memory_ordered 1
		.amdhsa_forward_progress 1
		.amdhsa_shared_vgpr_count 0
		.amdhsa_exception_fp_ieee_invalid_op 0
		.amdhsa_exception_fp_denorm_src 0
		.amdhsa_exception_fp_ieee_div_zero 0
		.amdhsa_exception_fp_ieee_overflow 0
		.amdhsa_exception_fp_ieee_underflow 0
		.amdhsa_exception_fp_ieee_inexact 0
		.amdhsa_exception_int_div_zero 0
	.end_amdhsa_kernel
	.section	.text._ZL13mul_mat_vec_qIL9ggml_type40ELi3ELb0ELb0EEvPKvS2_PKi31ggml_cuda_mm_fusion_args_devicePfj15HIP_vector_typeIjLj3EEjjjS8_jjjS8_jjjj,"axG",@progbits,_ZL13mul_mat_vec_qIL9ggml_type40ELi3ELb0ELb0EEvPKvS2_PKi31ggml_cuda_mm_fusion_args_devicePfj15HIP_vector_typeIjLj3EEjjjS8_jjjS8_jjjj,comdat
.Lfunc_end90:
	.size	_ZL13mul_mat_vec_qIL9ggml_type40ELi3ELb0ELb0EEvPKvS2_PKi31ggml_cuda_mm_fusion_args_devicePfj15HIP_vector_typeIjLj3EEjjjS8_jjjS8_jjjj, .Lfunc_end90-_ZL13mul_mat_vec_qIL9ggml_type40ELi3ELb0ELb0EEvPKvS2_PKi31ggml_cuda_mm_fusion_args_devicePfj15HIP_vector_typeIjLj3EEjjjS8_jjjS8_jjjj
                                        ; -- End function
	.set _ZL13mul_mat_vec_qIL9ggml_type40ELi3ELb0ELb0EEvPKvS2_PKi31ggml_cuda_mm_fusion_args_devicePfj15HIP_vector_typeIjLj3EEjjjS8_jjjS8_jjjj.num_vgpr, 61
	.set _ZL13mul_mat_vec_qIL9ggml_type40ELi3ELb0ELb0EEvPKvS2_PKi31ggml_cuda_mm_fusion_args_devicePfj15HIP_vector_typeIjLj3EEjjjS8_jjjS8_jjjj.num_agpr, 0
	.set _ZL13mul_mat_vec_qIL9ggml_type40ELi3ELb0ELb0EEvPKvS2_PKi31ggml_cuda_mm_fusion_args_devicePfj15HIP_vector_typeIjLj3EEjjjS8_jjjS8_jjjj.numbered_sgpr, 28
	.set _ZL13mul_mat_vec_qIL9ggml_type40ELi3ELb0ELb0EEvPKvS2_PKi31ggml_cuda_mm_fusion_args_devicePfj15HIP_vector_typeIjLj3EEjjjS8_jjjS8_jjjj.num_named_barrier, 0
	.set _ZL13mul_mat_vec_qIL9ggml_type40ELi3ELb0ELb0EEvPKvS2_PKi31ggml_cuda_mm_fusion_args_devicePfj15HIP_vector_typeIjLj3EEjjjS8_jjjS8_jjjj.private_seg_size, 0
	.set _ZL13mul_mat_vec_qIL9ggml_type40ELi3ELb0ELb0EEvPKvS2_PKi31ggml_cuda_mm_fusion_args_devicePfj15HIP_vector_typeIjLj3EEjjjS8_jjjS8_jjjj.uses_vcc, 1
	.set _ZL13mul_mat_vec_qIL9ggml_type40ELi3ELb0ELb0EEvPKvS2_PKi31ggml_cuda_mm_fusion_args_devicePfj15HIP_vector_typeIjLj3EEjjjS8_jjjS8_jjjj.uses_flat_scratch, 0
	.set _ZL13mul_mat_vec_qIL9ggml_type40ELi3ELb0ELb0EEvPKvS2_PKi31ggml_cuda_mm_fusion_args_devicePfj15HIP_vector_typeIjLj3EEjjjS8_jjjS8_jjjj.has_dyn_sized_stack, 0
	.set _ZL13mul_mat_vec_qIL9ggml_type40ELi3ELb0ELb0EEvPKvS2_PKi31ggml_cuda_mm_fusion_args_devicePfj15HIP_vector_typeIjLj3EEjjjS8_jjjS8_jjjj.has_recursion, 0
	.set _ZL13mul_mat_vec_qIL9ggml_type40ELi3ELb0ELb0EEvPKvS2_PKi31ggml_cuda_mm_fusion_args_devicePfj15HIP_vector_typeIjLj3EEjjjS8_jjjS8_jjjj.has_indirect_call, 0
	.section	.AMDGPU.csdata,"",@progbits
; Kernel info:
; codeLenInByte = 2544
; TotalNumSgprs: 30
; NumVgprs: 61
; ScratchSize: 0
; MemoryBound: 0
; FloatMode: 240
; IeeeMode: 1
; LDSByteSize: 0 bytes/workgroup (compile time only)
; SGPRBlocks: 0
; VGPRBlocks: 7
; NumSGPRsForWavesPerEU: 30
; NumVGPRsForWavesPerEU: 61
; Occupancy: 16
; WaveLimiterHint : 0
; COMPUTE_PGM_RSRC2:SCRATCH_EN: 0
; COMPUTE_PGM_RSRC2:USER_SGPR: 6
; COMPUTE_PGM_RSRC2:TRAP_HANDLER: 0
; COMPUTE_PGM_RSRC2:TGID_X_EN: 1
; COMPUTE_PGM_RSRC2:TGID_Y_EN: 1
; COMPUTE_PGM_RSRC2:TGID_Z_EN: 1
; COMPUTE_PGM_RSRC2:TIDIG_COMP_CNT: 1
	.section	.text._ZL13mul_mat_vec_qIL9ggml_type40ELi4ELb0ELb0EEvPKvS2_PKi31ggml_cuda_mm_fusion_args_devicePfj15HIP_vector_typeIjLj3EEjjjS8_jjjS8_jjjj,"axG",@progbits,_ZL13mul_mat_vec_qIL9ggml_type40ELi4ELb0ELb0EEvPKvS2_PKi31ggml_cuda_mm_fusion_args_devicePfj15HIP_vector_typeIjLj3EEjjjS8_jjjS8_jjjj,comdat
	.globl	_ZL13mul_mat_vec_qIL9ggml_type40ELi4ELb0ELb0EEvPKvS2_PKi31ggml_cuda_mm_fusion_args_devicePfj15HIP_vector_typeIjLj3EEjjjS8_jjjS8_jjjj ; -- Begin function _ZL13mul_mat_vec_qIL9ggml_type40ELi4ELb0ELb0EEvPKvS2_PKi31ggml_cuda_mm_fusion_args_devicePfj15HIP_vector_typeIjLj3EEjjjS8_jjjS8_jjjj
	.p2align	8
	.type	_ZL13mul_mat_vec_qIL9ggml_type40ELi4ELb0ELb0EEvPKvS2_PKi31ggml_cuda_mm_fusion_args_devicePfj15HIP_vector_typeIjLj3EEjjjS8_jjjS8_jjjj,@function
_ZL13mul_mat_vec_qIL9ggml_type40ELi4ELb0ELb0EEvPKvS2_PKi31ggml_cuda_mm_fusion_args_devicePfj15HIP_vector_typeIjLj3EEjjjS8_jjjS8_jjjj: ; @_ZL13mul_mat_vec_qIL9ggml_type40ELi4ELb0ELb0EEvPKvS2_PKi31ggml_cuda_mm_fusion_args_devicePfj15HIP_vector_typeIjLj3EEjjjS8_jjjS8_jjjj
; %bb.0:
	s_clause 0x5
	s_load_dwordx4 s[16:19], s[4:5], 0x80
	s_load_dword s9, s[4:5], 0x40
	s_load_dwordx4 s[0:3], s[4:5], 0x50
	s_load_dword s11, s[4:5], 0x60
	;; [unrolled: 2-line block ×3, first 2 shown]
	v_lshl_or_b32 v2, v1, 5, v0
	v_mov_b32_e32 v43, 0
	v_mov_b32_e32 v44, 0
	;; [unrolled: 1-line block ×4, first 2 shown]
	v_lshrrev_b16 v3, 1, v2
	v_and_b32_e32 v46, 0xffff, v3
	s_waitcnt lgkmcnt(0)
	s_lshr_b32 s10, s9, 6
	s_mov_b32 s9, exec_lo
	v_cmpx_gt_u32_e64 s10, v46
	s_cbranch_execz .LBB91_52
; %bb.1:
	v_lshrrev_b32_e32 v2, 1, v2
	s_mul_i32 s13, s13, s7
	s_load_dwordx4 s[20:23], s[4:5], 0x0
	s_mul_hi_u32 s27, s13, 36
	s_mul_i32 s26, s13, 36
	s_mul_i32 s17, s17, s8
	v_mad_u64_u32 v[2:3], null, 0x48, v2, s[26:27]
	v_and_b32_e32 v5, 1, v0
	v_lshlrev_b32_e32 v4, 2, v0
	s_mul_i32 s19, s17, 36
	s_mul_hi_u32 s13, s15, s8
	s_mul_hi_u32 s15, s17, 36
	;; [unrolled: 1-line block ×3, first 2 shown]
	v_mad_u64_u32 v[2:3], null, s17, 36, v[2:3]
	v_and_b32_e32 v6, 4, v4
	v_lshlrev_b32_e32 v4, 1, v46
	s_mul_i32 s0, s0, s6
	v_mov_b32_e32 v49, 0
	v_add_lshl_u32 v50, s1, v46, 1
	v_lshrrev_b32_e32 v48, 1, v6
	v_mad_u64_u32 v[2:3], null, v5, 36, v[2:3]
	s_waitcnt lgkmcnt(0)
	s_add_u32 s17, s22, s19
	s_addc_u32 s15, s23, s15
	s_add_u32 s26, s17, s26
	s_addc_u32 s27, s15, s27
	s_add_i32 s3, s7, s3
	s_add_i32 s13, s8, s13
	s_lshr_b32 s3, s3, s11
	v_mad_u64_u32 v[38:39], null, v5, 36, s[26:27]
	v_mad_u64_u32 v[42:43], null, s1, 3, v[4:5]
	v_add_co_u32 v40, vcc_lo, s22, v2
	s_lshr_b32 s11, s13, s24
	s_mul_i32 s3, s3, s12
	v_add_co_ci_u32_e64 v41, null, s23, v3, vcc_lo
	v_add_nc_u32_e32 v51, s1, v4
	v_lshlrev_b32_e32 v52, 2, v6
	v_mov_b32_e32 v53, 0x7e
	v_mov_b32_e32 v54, 0x7f
	;; [unrolled: 1-line block ×7, first 2 shown]
	s_mul_i32 s11, s11, s16
	s_add_i32 s3, s3, s0
	s_mov_b32 s1, 0
	s_add_i32 s0, s11, s3
	s_mov_b32 s3, 0xf4f8fafc
	s_mov_b32 s11, 0xc080604
	;; [unrolled: 1-line block ×3, first 2 shown]
	s_branch .LBB91_3
.LBB91_2:                               ;   in Loop: Header=BB91_3 Depth=1
	s_or_b32 exec_lo, exec_lo, s15
	s_waitcnt vmcnt(12)
	v_ashrrev_i32_e32 v68, 4, v21
	v_add_nc_u32_e32 v46, 16, v46
	v_add_co_u32 v40, vcc_lo, 0x480, v40
	v_add_co_ci_u32_e64 v41, null, 0, v41, vcc_lo
	v_and_b32_e32 v69, 0x7070707, v68
	v_lshrrev_b32_e32 v68, 1, v68
	v_cmp_le_u32_e32 vcc_lo, s10, v46
	v_add_nc_u32_e32 v50, 32, v50
	v_add_nc_u32_e32 v42, 32, v42
	v_perm_b32 v70, s3, 0xfdfeff00, v69
	v_perm_b32 v69, s11, 0x3020100, v69
	v_and_or_b32 v68, v68, s12, 0x3020100
	v_add_nc_u32_e32 v51, 32, v51
	s_or_b32 s1, vcc_lo, s1
	v_perm_b32 v68, v70, v69, v68
	v_and_b32_e32 v69, 0x7070707, v21
	v_lshrrev_b32_e32 v21, 1, v21
	v_perm_b32 v70, s3, 0xfdfeff00, v69
	v_perm_b32 v69, s11, 0x3020100, v69
	v_and_or_b32 v21, v21, s12, 0x3020100
	v_perm_b32 v21, v70, v69, v21
	v_ashrrev_i32_e32 v69, 4, v20
	v_and_b32_e32 v70, 0x7070707, v69
	v_lshrrev_b32_e32 v69, 1, v69
	v_perm_b32 v71, s3, 0xfdfeff00, v70
	v_perm_b32 v70, s11, 0x3020100, v70
	v_and_or_b32 v69, v69, s12, 0x3020100
	v_perm_b32 v69, v71, v70, v69
	v_and_b32_e32 v70, 0x7070707, v20
	v_lshrrev_b32_e32 v20, 1, v20
	v_perm_b32 v71, s3, 0xfdfeff00, v70
	v_perm_b32 v70, s11, 0x3020100, v70
	v_and_or_b32 v20, v20, s12, 0x3020100
	v_perm_b32 v20, v71, v70, v20
	v_ashrrev_i32_e32 v70, 4, v19
	v_and_b32_e32 v71, 0x7070707, v70
	v_lshrrev_b32_e32 v70, 1, v70
	v_perm_b32 v72, s3, 0xfdfeff00, v71
	v_perm_b32 v71, s11, 0x3020100, v71
	v_and_or_b32 v70, v70, s12, 0x3020100
	;; [unrolled: 13-line block ×3, first 2 shown]
	v_perm_b32 v71, v73, v72, v71
	v_and_b32_e32 v72, 0x7070707, v18
	v_lshrrev_b32_e32 v18, 1, v18
	v_perm_b32 v73, s3, 0xfdfeff00, v72
	v_perm_b32 v72, s11, 0x3020100, v72
	v_and_or_b32 v18, v18, s12, 0x3020100
	v_perm_b32 v18, v73, v72, v18
	v_mov_b32_e32 v72, 0
	s_waitcnt vmcnt(4)
	v_dot4c_i32_i8 v72, v20, v23
	s_waitcnt vmcnt(3)
	v_cvt_f32_f16_e32 v23, v26
	v_dot4c_i32_i8 v72, v69, v25
	v_mul_f32_e32 v25, v64, v23
	v_mul_f32_e32 v23, v67, v23
	v_dot4c_i32_i8 v72, v21, v24
	v_mov_b32_e32 v24, 0
	v_dot4c_i32_i8 v72, v68, v65
	v_dot4c_i32_i8 v24, v18, v27
	;; [unrolled: 1-line block ×5, first 2 shown]
	v_cvt_f32_i32_e32 v22, v24
	v_cvt_f32_i32_e32 v24, v72
	v_fma_f32 v22, v25, v22, 0
	v_mov_b32_e32 v25, 0
	v_fmac_f32_e32 v22, v23, v24
	v_dot4c_i32_i8 v25, v20, v11
	v_cvt_f32_f16_e32 v11, v14
	v_mov_b32_e32 v24, 0
	s_waitcnt vmcnt(0)
	v_cvt_f32_f16_e32 v23, v34
	v_add_f32_e32 v44, v44, v22
	v_dot4c_i32_i8 v25, v69, v13
	v_mul_f32_e32 v13, v59, v11
	v_mul_f32_e32 v11, v61, v11
	v_mov_b32_e32 v22, 0
	v_dot4c_i32_i8 v24, v18, v35
	v_dot4c_i32_i8 v25, v21, v12
	v_mov_b32_e32 v12, 0
	v_dot4c_i32_i8 v22, v20, v31
	v_dot4c_i32_i8 v24, v71, v37
	;; [unrolled: 1-line block ×11, first 2 shown]
	v_cvt_f32_i32_e32 v24, v24
	v_dot4c_i32_i8 v12, v70, v10
	v_cvt_f32_i32_e32 v22, v22
	v_cvt_f32_i32_e32 v10, v12
	;; [unrolled: 1-line block ×3, first 2 shown]
	v_fma_f32 v10, v13, v10, 0
	v_fmac_f32_e32 v10, v11, v12
	v_add_f32_e32 v45, v45, v10
	v_mov_b32_e32 v10, 0
	v_dot4c_i32_i8 v10, v20, v3
	v_cvt_f32_f16_e32 v3, v6
	v_dot4c_i32_i8 v10, v69, v5
	v_mul_f32_e32 v5, v56, v3
	v_mul_f32_e32 v3, v58, v3
	v_dot4c_i32_i8 v10, v21, v4
	v_mov_b32_e32 v4, 0
	v_dot4c_i32_i8 v10, v68, v57
	v_dot4c_i32_i8 v4, v18, v7
	;; [unrolled: 1-line block ×5, first 2 shown]
	v_cvt_f32_i32_e32 v2, v4
	v_cvt_f32_i32_e32 v4, v10
	v_fma_f32 v2, v5, v2, 0
	v_fmac_f32_e32 v2, v3, v4
	v_mul_f32_e32 v3, v63, v23
	v_add_f32_e32 v47, v47, v2
	v_mul_f32_e32 v2, v62, v23
	v_fma_f32 v2, v2, v24, 0
	v_fmac_f32_e32 v2, v3, v22
	v_add_f32_e32 v43, v43, v2
	s_andn2_b32 exec_lo, exec_lo, s1
	s_cbranch_execz .LBB91_51
.LBB91_3:                               ; =>This Inner Loop Header: Depth=1
	v_add_nc_u32_e32 v2, s0, v46
	s_mov_b32 s13, 0
	v_mad_i64_i32 v[2:3], null, v2, 36, s[20:21]
	v_add_co_u32 v4, vcc_lo, v2, v48
	v_add_co_ci_u32_e64 v5, null, 0, v3, vcc_lo
	v_add_co_u32 v2, vcc_lo, v2, v52
	v_add_co_ci_u32_e64 v3, null, 0, v3, vcc_lo
	s_clause 0x1
	global_load_ushort v63, v[4:5], off
	global_load_dwordx4 v[18:21], v[2:3], off offset:4
	s_clause 0x2
	global_load_dword v57, v[40:41], off offset:32
	global_load_dwordx4 v[2:5], v[40:41], off offset:16
	global_load_dwordx4 v[6:9], v[40:41], off
	s_waitcnt vmcnt(4)
	v_bfe_u32 v10, v63, 3, 4
	v_cmp_gt_i16_sdwa s15, v63, v53 src0_sel:BYTE_0 src1_sel:DWORD
	v_cmp_eq_u32_e32 vcc_lo, 0, v10
	s_and_saveexec_b32 s16, s15
	s_xor_b32 s15, exec_lo, s16
; %bb.4:                                ;   in Loop: Header=BB91_3 Depth=1
	v_cmp_ne_u16_sdwa s13, v63, v54 src0_sel:BYTE_0 src1_sel:DWORD
	s_and_b32 s13, s13, exec_lo
; %bb.5:                                ;   in Loop: Header=BB91_3 Depth=1
	s_andn2_saveexec_b32 s15, s15
; %bb.6:                                ;   in Loop: Header=BB91_3 Depth=1
	v_cmp_ne_u16_sdwa s16, v63, v49 src0_sel:BYTE_0 src1_sel:DWORD
	s_andn2_b32 s13, s13, exec_lo
	s_and_b32 s16, s16, exec_lo
	s_or_b32 s13, s13, s16
; %bb.7:                                ;   in Loop: Header=BB91_3 Depth=1
	s_or_b32 exec_lo, exec_lo, s15
	v_and_b32_e32 v11, 7, v63
	v_add_nc_u32_e32 v10, -7, v10
	v_mov_b32_e32 v56, 0
	v_cvt_f32_ubyte0_e32 v11, v11
	v_cndmask_b32_e64 v10, v10, -9, vcc_lo
	v_fma_f32 v12, 0x3e000000, v11, 1.0
	v_cndmask_b32_e32 v11, v12, v11, vcc_lo
	v_ldexp_f32 v10, v11, v10
	v_mul_f32_e32 v68, 0.5, v10
	s_and_saveexec_b32 s15, s13
; %bb.8:                                ;   in Loop: Header=BB91_3 Depth=1
	v_mov_b32_e32 v56, v68
; %bb.9:                                ;   in Loop: Header=BB91_3 Depth=1
	s_or_b32 exec_lo, exec_lo, s15
	v_and_b32_sdwa v11, v55, v63 dst_sel:DWORD dst_unused:UNUSED_PAD src0_sel:DWORD src1_sel:BYTE_1
	v_cmp_gt_i16_sdwa s15, v63, v53 src0_sel:BYTE_1 src1_sel:DWORD
	s_mov_b32 s13, 0
	v_bfe_u32 v10, v11, 3, 4
	v_cmp_eq_u32_e32 vcc_lo, 0, v10
	s_and_saveexec_b32 s16, s15
	s_xor_b32 s15, exec_lo, s16
; %bb.10:                               ;   in Loop: Header=BB91_3 Depth=1
	v_cmp_ne_u16_sdwa s13, v63, v54 src0_sel:BYTE_1 src1_sel:DWORD
	s_and_b32 s13, s13, exec_lo
; %bb.11:                               ;   in Loop: Header=BB91_3 Depth=1
	s_andn2_saveexec_b32 s15, s15
; %bb.12:                               ;   in Loop: Header=BB91_3 Depth=1
	v_cmp_ne_u16_sdwa s16, v63, v49 src0_sel:BYTE_1 src1_sel:DWORD
	s_andn2_b32 s13, s13, exec_lo
	s_and_b32 s16, s16, exec_lo
	s_or_b32 s13, s13, s16
; %bb.13:                               ;   in Loop: Header=BB91_3 Depth=1
	s_or_b32 exec_lo, exec_lo, s15
	v_and_b32_e32 v11, 7, v11
	v_add_nc_u32_e32 v10, -7, v10
	v_mov_b32_e32 v58, 0
	v_cvt_f32_ubyte0_e32 v11, v11
	v_cndmask_b32_e64 v10, v10, -9, vcc_lo
	v_fma_f32 v12, 0x3e000000, v11, 1.0
	v_cndmask_b32_e32 v11, v12, v11, vcc_lo
	v_ldexp_f32 v10, v11, v10
	v_mul_f32_e32 v69, 0.5, v10
	s_and_saveexec_b32 s15, s13
; %bb.14:                               ;   in Loop: Header=BB91_3 Depth=1
	v_mov_b32_e32 v58, v69
; %bb.15:                               ;   in Loop: Header=BB91_3 Depth=1
	s_or_b32 exec_lo, exec_lo, s15
	v_mad_u64_u32 v[14:15], null, v51, 36, v[38:39]
	v_cmp_gt_i16_sdwa s15, v63, v53 src0_sel:BYTE_0 src1_sel:DWORD
	s_mov_b32 s13, 0
	s_clause 0x2
	global_load_dword v60, v[14:15], off offset:32
	global_load_dwordx4 v[10:13], v[14:15], off offset:16
	global_load_dwordx4 v[14:17], v[14:15], off
	s_and_saveexec_b32 s16, s15
	s_xor_b32 s15, exec_lo, s16
	s_cbranch_execnz .LBB91_38
; %bb.16:                               ;   in Loop: Header=BB91_3 Depth=1
	s_andn2_saveexec_b32 s15, s15
	s_cbranch_execnz .LBB91_39
.LBB91_17:                              ;   in Loop: Header=BB91_3 Depth=1
	s_or_b32 exec_lo, exec_lo, s15
	v_mov_b32_e32 v59, 0
	s_and_saveexec_b32 s15, s13
.LBB91_18:                              ;   in Loop: Header=BB91_3 Depth=1
	v_mov_b32_e32 v59, v68
.LBB91_19:                              ;   in Loop: Header=BB91_3 Depth=1
	s_or_b32 exec_lo, exec_lo, s15
	v_cmp_gt_i16_sdwa s15, v63, v53 src0_sel:BYTE_1 src1_sel:DWORD
	s_mov_b32 s13, 0
	s_and_saveexec_b32 s16, s15
	s_xor_b32 s15, exec_lo, s16
	s_cbranch_execnz .LBB91_40
; %bb.20:                               ;   in Loop: Header=BB91_3 Depth=1
	s_andn2_saveexec_b32 s15, s15
	s_cbranch_execnz .LBB91_41
.LBB91_21:                              ;   in Loop: Header=BB91_3 Depth=1
	s_or_b32 exec_lo, exec_lo, s15
	v_mov_b32_e32 v61, 0
	s_and_saveexec_b32 s15, s13
.LBB91_22:                              ;   in Loop: Header=BB91_3 Depth=1
	v_mov_b32_e32 v61, v69
.LBB91_23:                              ;   in Loop: Header=BB91_3 Depth=1
	s_or_b32 exec_lo, exec_lo, s15
	v_mad_u64_u32 v[26:27], null, v50, 36, v[38:39]
	v_cmp_gt_i16_sdwa s15, v63, v53 src0_sel:BYTE_0 src1_sel:DWORD
	s_mov_b32 s13, 0
	s_clause 0x2
	global_load_dword v65, v[26:27], off offset:32
	global_load_dwordx4 v[22:25], v[26:27], off offset:16
	global_load_dwordx4 v[26:29], v[26:27], off
	s_and_saveexec_b32 s16, s15
	s_xor_b32 s15, exec_lo, s16
	s_cbranch_execnz .LBB91_42
; %bb.24:                               ;   in Loop: Header=BB91_3 Depth=1
	s_andn2_saveexec_b32 s15, s15
	s_cbranch_execnz .LBB91_43
.LBB91_25:                              ;   in Loop: Header=BB91_3 Depth=1
	s_or_b32 exec_lo, exec_lo, s15
	v_mov_b32_e32 v64, 0
	s_and_saveexec_b32 s15, s13
.LBB91_26:                              ;   in Loop: Header=BB91_3 Depth=1
	v_mov_b32_e32 v64, v68
.LBB91_27:                              ;   in Loop: Header=BB91_3 Depth=1
	s_or_b32 exec_lo, exec_lo, s15
	v_cmp_gt_i16_sdwa s15, v63, v53 src0_sel:BYTE_1 src1_sel:DWORD
	s_mov_b32 s13, 0
	s_and_saveexec_b32 s16, s15
	s_xor_b32 s15, exec_lo, s16
	s_cbranch_execnz .LBB91_44
; %bb.28:                               ;   in Loop: Header=BB91_3 Depth=1
	s_andn2_saveexec_b32 s15, s15
	s_cbranch_execnz .LBB91_45
.LBB91_29:                              ;   in Loop: Header=BB91_3 Depth=1
	s_or_b32 exec_lo, exec_lo, s15
	v_mov_b32_e32 v67, 0
	s_and_saveexec_b32 s15, s13
.LBB91_30:                              ;   in Loop: Header=BB91_3 Depth=1
	v_mov_b32_e32 v67, v69
.LBB91_31:                              ;   in Loop: Header=BB91_3 Depth=1
	s_or_b32 exec_lo, exec_lo, s15
	v_mad_u64_u32 v[34:35], null, v42, 36, v[38:39]
	v_cmp_gt_i16_sdwa s15, v63, v53 src0_sel:BYTE_0 src1_sel:DWORD
	s_mov_b32 s13, 0
	s_clause 0x2
	global_load_dword v66, v[34:35], off offset:32
	global_load_dwordx4 v[30:33], v[34:35], off offset:16
	global_load_dwordx4 v[34:37], v[34:35], off
	s_and_saveexec_b32 s16, s15
	s_xor_b32 s15, exec_lo, s16
	s_cbranch_execnz .LBB91_46
; %bb.32:                               ;   in Loop: Header=BB91_3 Depth=1
	s_andn2_saveexec_b32 s15, s15
	s_cbranch_execnz .LBB91_47
.LBB91_33:                              ;   in Loop: Header=BB91_3 Depth=1
	s_or_b32 exec_lo, exec_lo, s15
	v_mov_b32_e32 v62, 0
	s_and_saveexec_b32 s15, s13
.LBB91_34:                              ;   in Loop: Header=BB91_3 Depth=1
	v_mov_b32_e32 v62, v68
.LBB91_35:                              ;   in Loop: Header=BB91_3 Depth=1
	s_or_b32 exec_lo, exec_lo, s15
	v_cmp_gt_i16_sdwa s15, v63, v53 src0_sel:BYTE_1 src1_sel:DWORD
	s_mov_b32 s13, 0
	s_and_saveexec_b32 s16, s15
	s_xor_b32 s15, exec_lo, s16
	s_cbranch_execnz .LBB91_48
; %bb.36:                               ;   in Loop: Header=BB91_3 Depth=1
	s_andn2_saveexec_b32 s15, s15
	s_cbranch_execnz .LBB91_49
.LBB91_37:                              ;   in Loop: Header=BB91_3 Depth=1
	s_or_b32 exec_lo, exec_lo, s15
	v_mov_b32_e32 v63, 0
	s_and_saveexec_b32 s15, s13
	s_cbranch_execz .LBB91_2
	s_branch .LBB91_50
.LBB91_38:                              ;   in Loop: Header=BB91_3 Depth=1
	v_cmp_ne_u16_sdwa s13, v63, v54 src0_sel:BYTE_0 src1_sel:DWORD
	s_and_b32 s13, s13, exec_lo
	s_andn2_saveexec_b32 s15, s15
	s_cbranch_execz .LBB91_17
.LBB91_39:                              ;   in Loop: Header=BB91_3 Depth=1
	v_cmp_ne_u16_sdwa s16, v63, v49 src0_sel:BYTE_0 src1_sel:DWORD
	s_andn2_b32 s13, s13, exec_lo
	s_and_b32 s16, s16, exec_lo
	s_or_b32 s13, s13, s16
	s_or_b32 exec_lo, exec_lo, s15
	v_mov_b32_e32 v59, 0
	s_and_saveexec_b32 s15, s13
	s_cbranch_execnz .LBB91_18
	s_branch .LBB91_19
.LBB91_40:                              ;   in Loop: Header=BB91_3 Depth=1
	v_cmp_ne_u16_sdwa s13, v63, v54 src0_sel:BYTE_1 src1_sel:DWORD
	s_and_b32 s13, s13, exec_lo
	s_andn2_saveexec_b32 s15, s15
	s_cbranch_execz .LBB91_21
.LBB91_41:                              ;   in Loop: Header=BB91_3 Depth=1
	v_cmp_ne_u16_sdwa s16, v63, v49 src0_sel:BYTE_1 src1_sel:DWORD
	s_andn2_b32 s13, s13, exec_lo
	s_and_b32 s16, s16, exec_lo
	s_or_b32 s13, s13, s16
	s_or_b32 exec_lo, exec_lo, s15
	v_mov_b32_e32 v61, 0
	s_and_saveexec_b32 s15, s13
	s_cbranch_execnz .LBB91_22
	s_branch .LBB91_23
.LBB91_42:                              ;   in Loop: Header=BB91_3 Depth=1
	v_cmp_ne_u16_sdwa s13, v63, v54 src0_sel:BYTE_0 src1_sel:DWORD
	s_and_b32 s13, s13, exec_lo
	s_andn2_saveexec_b32 s15, s15
	s_cbranch_execz .LBB91_25
.LBB91_43:                              ;   in Loop: Header=BB91_3 Depth=1
	v_cmp_ne_u16_sdwa s16, v63, v49 src0_sel:BYTE_0 src1_sel:DWORD
	s_andn2_b32 s13, s13, exec_lo
	s_and_b32 s16, s16, exec_lo
	s_or_b32 s13, s13, s16
	s_or_b32 exec_lo, exec_lo, s15
	v_mov_b32_e32 v64, 0
	s_and_saveexec_b32 s15, s13
	s_cbranch_execnz .LBB91_26
	s_branch .LBB91_27
.LBB91_44:                              ;   in Loop: Header=BB91_3 Depth=1
	v_cmp_ne_u16_sdwa s13, v63, v54 src0_sel:BYTE_1 src1_sel:DWORD
	s_and_b32 s13, s13, exec_lo
	s_andn2_saveexec_b32 s15, s15
	s_cbranch_execz .LBB91_29
.LBB91_45:                              ;   in Loop: Header=BB91_3 Depth=1
	v_cmp_ne_u16_sdwa s16, v63, v49 src0_sel:BYTE_1 src1_sel:DWORD
	s_andn2_b32 s13, s13, exec_lo
	s_and_b32 s16, s16, exec_lo
	s_or_b32 s13, s13, s16
	s_or_b32 exec_lo, exec_lo, s15
	v_mov_b32_e32 v67, 0
	s_and_saveexec_b32 s15, s13
	s_cbranch_execnz .LBB91_30
	s_branch .LBB91_31
.LBB91_46:                              ;   in Loop: Header=BB91_3 Depth=1
	v_cmp_ne_u16_sdwa s13, v63, v54 src0_sel:BYTE_0 src1_sel:DWORD
	s_and_b32 s13, s13, exec_lo
	s_andn2_saveexec_b32 s15, s15
	s_cbranch_execz .LBB91_33
.LBB91_47:                              ;   in Loop: Header=BB91_3 Depth=1
	v_cmp_ne_u16_sdwa s16, v63, v49 src0_sel:BYTE_0 src1_sel:DWORD
	s_andn2_b32 s13, s13, exec_lo
	s_and_b32 s16, s16, exec_lo
	s_or_b32 s13, s13, s16
	s_or_b32 exec_lo, exec_lo, s15
	v_mov_b32_e32 v62, 0
	s_and_saveexec_b32 s15, s13
	s_cbranch_execnz .LBB91_34
	s_branch .LBB91_35
.LBB91_48:                              ;   in Loop: Header=BB91_3 Depth=1
	v_cmp_ne_u16_sdwa s13, v63, v54 src0_sel:BYTE_1 src1_sel:DWORD
                                        ; implicit-def: $vgpr63
	s_and_b32 s13, s13, exec_lo
	s_andn2_saveexec_b32 s15, s15
	s_cbranch_execz .LBB91_37
.LBB91_49:                              ;   in Loop: Header=BB91_3 Depth=1
	v_cmp_ne_u16_sdwa s16, v63, v49 src0_sel:BYTE_1 src1_sel:DWORD
	s_andn2_b32 s13, s13, exec_lo
	s_and_b32 s16, s16, exec_lo
	s_or_b32 s13, s13, s16
	s_or_b32 exec_lo, exec_lo, s15
	v_mov_b32_e32 v63, 0
	s_and_saveexec_b32 s15, s13
	s_cbranch_execz .LBB91_2
.LBB91_50:                              ;   in Loop: Header=BB91_3 Depth=1
	v_mov_b32_e32 v63, v69
	s_branch .LBB91_2
.LBB91_51:
	s_or_b32 exec_lo, exec_lo, s1
.LBB91_52:
	s_or_b32 exec_lo, exec_lo, s9
	s_mov_b32 s1, 0
	; wave barrier
	buffer_gl0_inv
	s_mov_b32 s0, exec_lo
	v_cmpx_eq_u32_e32 0, v1
	s_cbranch_execz .LBB91_61
; %bb.53:
	v_mbcnt_lo_u32_b32 v5, -1, 0
	s_load_dwordx2 s[4:5], s[4:5], 0x38
	s_mul_i32 s0, s14, s7
	s_mul_i32 s3, s18, s8
	s_add_i32 s0, s0, s6
	v_xor_b32_e32 v1, 16, v5
	v_xor_b32_e32 v2, 8, v5
	;; [unrolled: 1-line block ×3, first 2 shown]
	s_add_i32 s0, s0, s3
	s_lshl_b64 s[0:1], s[0:1], 2
	v_cmp_gt_i32_e32 vcc_lo, 32, v1
	v_cndmask_b32_e32 v1, v5, v1, vcc_lo
	v_cmp_gt_i32_e32 vcc_lo, 32, v2
	v_lshlrev_b32_e32 v1, 2, v1
	v_cndmask_b32_e32 v2, v5, v2, vcc_lo
	s_waitcnt lgkmcnt(0)
	s_add_u32 s0, s4, s0
	s_addc_u32 s1, s5, s1
	ds_bpermute_b32 v3, v1, v47
	v_lshlrev_b32_e32 v2, 2, v2
	s_waitcnt lgkmcnt(0)
	v_add_f32_e32 v4, v47, v3
	v_xor_b32_e32 v3, 4, v5
	ds_bpermute_b32 v6, v2, v4
	v_cmp_gt_i32_e32 vcc_lo, 32, v3
	v_cndmask_b32_e32 v3, v5, v3, vcc_lo
	v_lshlrev_b32_e32 v3, 2, v3
	s_waitcnt lgkmcnt(0)
	v_add_f32_e32 v6, v4, v6
	v_xor_b32_e32 v4, 2, v5
	ds_bpermute_b32 v7, v3, v6
	v_cmp_gt_i32_e32 vcc_lo, 32, v4
	v_cndmask_b32_e32 v4, v5, v4, vcc_lo
	v_cmp_gt_i32_e32 vcc_lo, 32, v8
	v_lshlrev_b32_e32 v4, 2, v4
	v_cndmask_b32_e32 v5, v5, v8, vcc_lo
	v_cmp_eq_u32_e32 vcc_lo, 0, v0
	v_lshlrev_b32_e32 v5, 2, v5
	s_waitcnt lgkmcnt(0)
	v_add_f32_e32 v6, v6, v7
	ds_bpermute_b32 v7, v4, v6
	s_waitcnt lgkmcnt(0)
	v_add_f32_e32 v6, v6, v7
	ds_bpermute_b32 v7, v5, v6
	s_and_saveexec_b32 s3, vcc_lo
	s_cbranch_execz .LBB91_55
; %bb.54:
	s_waitcnt lgkmcnt(0)
	v_add_f32_e32 v0, v6, v7
	v_mov_b32_e32 v6, 0
	global_store_dword v6, v0, s[0:1]
.LBB91_55:
	s_or_b32 exec_lo, exec_lo, s3
	ds_bpermute_b32 v0, v1, v45
	s_waitcnt lgkmcnt(0)
	v_add_f32_e32 v0, v45, v0
	ds_bpermute_b32 v6, v2, v0
	s_waitcnt lgkmcnt(0)
	v_add_f32_e32 v0, v0, v6
	;; [unrolled: 3-line block ×4, first 2 shown]
	ds_bpermute_b32 v6, v5, v0
	s_and_saveexec_b32 s4, vcc_lo
	s_cbranch_execz .LBB91_57
; %bb.56:
	s_mov_b32 s3, 0
	s_waitcnt lgkmcnt(0)
	v_add_f32_e32 v0, v0, v6
	s_lshl_b64 s[6:7], s[2:3], 2
	v_mov_b32_e32 v6, 0
	s_add_u32 s6, s0, s6
	s_addc_u32 s7, s1, s7
	global_store_dword v6, v0, s[6:7]
.LBB91_57:
	s_or_b32 exec_lo, exec_lo, s4
	ds_bpermute_b32 v0, v1, v44
	s_waitcnt lgkmcnt(0)
	v_add_f32_e32 v0, v44, v0
	ds_bpermute_b32 v6, v2, v0
	s_waitcnt lgkmcnt(0)
	v_add_f32_e32 v0, v0, v6
	;; [unrolled: 3-line block ×4, first 2 shown]
	ds_bpermute_b32 v6, v5, v0
	s_and_saveexec_b32 s3, vcc_lo
	s_cbranch_execz .LBB91_59
; %bb.58:
	s_lshl_b32 s4, s2, 1
	s_mov_b32 s5, 0
	s_waitcnt lgkmcnt(0)
	v_add_f32_e32 v0, v0, v6
	s_lshl_b64 s[4:5], s[4:5], 2
	v_mov_b32_e32 v6, 0
	s_add_u32 s4, s0, s4
	s_addc_u32 s5, s1, s5
	global_store_dword v6, v0, s[4:5]
.LBB91_59:
	s_or_b32 exec_lo, exec_lo, s3
	ds_bpermute_b32 v0, v1, v43
	s_waitcnt lgkmcnt(0)
	v_add_f32_e32 v0, v43, v0
	ds_bpermute_b32 v1, v2, v0
	s_waitcnt lgkmcnt(0)
	v_add_f32_e32 v0, v0, v1
	;; [unrolled: 3-line block ×4, first 2 shown]
	ds_bpermute_b32 v1, v5, v0
	s_and_b32 exec_lo, exec_lo, vcc_lo
	s_cbranch_execz .LBB91_61
; %bb.60:
	s_mul_i32 s2, s2, 3
	s_mov_b32 s3, 0
	s_waitcnt lgkmcnt(0)
	v_add_f32_e32 v0, v0, v1
	s_lshl_b64 s[2:3], s[2:3], 2
	v_mov_b32_e32 v1, 0
	s_add_u32 s0, s0, s2
	s_addc_u32 s1, s1, s3
	global_store_dword v1, v0, s[0:1]
.LBB91_61:
	s_endpgm
	.section	.rodata,"a",@progbits
	.p2align	6, 0x0
	.amdhsa_kernel _ZL13mul_mat_vec_qIL9ggml_type40ELi4ELb0ELb0EEvPKvS2_PKi31ggml_cuda_mm_fusion_args_devicePfj15HIP_vector_typeIjLj3EEjjjS8_jjjS8_jjjj
		.amdhsa_group_segment_fixed_size 0
		.amdhsa_private_segment_fixed_size 0
		.amdhsa_kernarg_size 144
		.amdhsa_user_sgpr_count 6
		.amdhsa_user_sgpr_private_segment_buffer 1
		.amdhsa_user_sgpr_dispatch_ptr 0
		.amdhsa_user_sgpr_queue_ptr 0
		.amdhsa_user_sgpr_kernarg_segment_ptr 1
		.amdhsa_user_sgpr_dispatch_id 0
		.amdhsa_user_sgpr_flat_scratch_init 0
		.amdhsa_user_sgpr_private_segment_size 0
		.amdhsa_wavefront_size32 1
		.amdhsa_uses_dynamic_stack 0
		.amdhsa_system_sgpr_private_segment_wavefront_offset 0
		.amdhsa_system_sgpr_workgroup_id_x 1
		.amdhsa_system_sgpr_workgroup_id_y 1
		.amdhsa_system_sgpr_workgroup_id_z 1
		.amdhsa_system_sgpr_workgroup_info 0
		.amdhsa_system_vgpr_workitem_id 1
		.amdhsa_next_free_vgpr 74
		.amdhsa_next_free_sgpr 28
		.amdhsa_reserve_vcc 1
		.amdhsa_reserve_flat_scratch 0
		.amdhsa_float_round_mode_32 0
		.amdhsa_float_round_mode_16_64 0
		.amdhsa_float_denorm_mode_32 3
		.amdhsa_float_denorm_mode_16_64 3
		.amdhsa_dx10_clamp 1
		.amdhsa_ieee_mode 1
		.amdhsa_fp16_overflow 0
		.amdhsa_workgroup_processor_mode 1
		.amdhsa_memory_ordered 1
		.amdhsa_forward_progress 1
		.amdhsa_shared_vgpr_count 0
		.amdhsa_exception_fp_ieee_invalid_op 0
		.amdhsa_exception_fp_denorm_src 0
		.amdhsa_exception_fp_ieee_div_zero 0
		.amdhsa_exception_fp_ieee_overflow 0
		.amdhsa_exception_fp_ieee_underflow 0
		.amdhsa_exception_fp_ieee_inexact 0
		.amdhsa_exception_int_div_zero 0
	.end_amdhsa_kernel
	.section	.text._ZL13mul_mat_vec_qIL9ggml_type40ELi4ELb0ELb0EEvPKvS2_PKi31ggml_cuda_mm_fusion_args_devicePfj15HIP_vector_typeIjLj3EEjjjS8_jjjS8_jjjj,"axG",@progbits,_ZL13mul_mat_vec_qIL9ggml_type40ELi4ELb0ELb0EEvPKvS2_PKi31ggml_cuda_mm_fusion_args_devicePfj15HIP_vector_typeIjLj3EEjjjS8_jjjS8_jjjj,comdat
.Lfunc_end91:
	.size	_ZL13mul_mat_vec_qIL9ggml_type40ELi4ELb0ELb0EEvPKvS2_PKi31ggml_cuda_mm_fusion_args_devicePfj15HIP_vector_typeIjLj3EEjjjS8_jjjS8_jjjj, .Lfunc_end91-_ZL13mul_mat_vec_qIL9ggml_type40ELi4ELb0ELb0EEvPKvS2_PKi31ggml_cuda_mm_fusion_args_devicePfj15HIP_vector_typeIjLj3EEjjjS8_jjjS8_jjjj
                                        ; -- End function
	.set _ZL13mul_mat_vec_qIL9ggml_type40ELi4ELb0ELb0EEvPKvS2_PKi31ggml_cuda_mm_fusion_args_devicePfj15HIP_vector_typeIjLj3EEjjjS8_jjjS8_jjjj.num_vgpr, 74
	.set _ZL13mul_mat_vec_qIL9ggml_type40ELi4ELb0ELb0EEvPKvS2_PKi31ggml_cuda_mm_fusion_args_devicePfj15HIP_vector_typeIjLj3EEjjjS8_jjjS8_jjjj.num_agpr, 0
	.set _ZL13mul_mat_vec_qIL9ggml_type40ELi4ELb0ELb0EEvPKvS2_PKi31ggml_cuda_mm_fusion_args_devicePfj15HIP_vector_typeIjLj3EEjjjS8_jjjS8_jjjj.numbered_sgpr, 28
	.set _ZL13mul_mat_vec_qIL9ggml_type40ELi4ELb0ELb0EEvPKvS2_PKi31ggml_cuda_mm_fusion_args_devicePfj15HIP_vector_typeIjLj3EEjjjS8_jjjS8_jjjj.num_named_barrier, 0
	.set _ZL13mul_mat_vec_qIL9ggml_type40ELi4ELb0ELb0EEvPKvS2_PKi31ggml_cuda_mm_fusion_args_devicePfj15HIP_vector_typeIjLj3EEjjjS8_jjjS8_jjjj.private_seg_size, 0
	.set _ZL13mul_mat_vec_qIL9ggml_type40ELi4ELb0ELb0EEvPKvS2_PKi31ggml_cuda_mm_fusion_args_devicePfj15HIP_vector_typeIjLj3EEjjjS8_jjjS8_jjjj.uses_vcc, 1
	.set _ZL13mul_mat_vec_qIL9ggml_type40ELi4ELb0ELb0EEvPKvS2_PKi31ggml_cuda_mm_fusion_args_devicePfj15HIP_vector_typeIjLj3EEjjjS8_jjjS8_jjjj.uses_flat_scratch, 0
	.set _ZL13mul_mat_vec_qIL9ggml_type40ELi4ELb0ELb0EEvPKvS2_PKi31ggml_cuda_mm_fusion_args_devicePfj15HIP_vector_typeIjLj3EEjjjS8_jjjS8_jjjj.has_dyn_sized_stack, 0
	.set _ZL13mul_mat_vec_qIL9ggml_type40ELi4ELb0ELb0EEvPKvS2_PKi31ggml_cuda_mm_fusion_args_devicePfj15HIP_vector_typeIjLj3EEjjjS8_jjjS8_jjjj.has_recursion, 0
	.set _ZL13mul_mat_vec_qIL9ggml_type40ELi4ELb0ELb0EEvPKvS2_PKi31ggml_cuda_mm_fusion_args_devicePfj15HIP_vector_typeIjLj3EEjjjS8_jjjS8_jjjj.has_indirect_call, 0
	.section	.AMDGPU.csdata,"",@progbits
; Kernel info:
; codeLenInByte = 3024
; TotalNumSgprs: 30
; NumVgprs: 74
; ScratchSize: 0
; MemoryBound: 0
; FloatMode: 240
; IeeeMode: 1
; LDSByteSize: 0 bytes/workgroup (compile time only)
; SGPRBlocks: 0
; VGPRBlocks: 9
; NumSGPRsForWavesPerEU: 30
; NumVGPRsForWavesPerEU: 74
; Occupancy: 12
; WaveLimiterHint : 0
; COMPUTE_PGM_RSRC2:SCRATCH_EN: 0
; COMPUTE_PGM_RSRC2:USER_SGPR: 6
; COMPUTE_PGM_RSRC2:TRAP_HANDLER: 0
; COMPUTE_PGM_RSRC2:TGID_X_EN: 1
; COMPUTE_PGM_RSRC2:TGID_Y_EN: 1
; COMPUTE_PGM_RSRC2:TGID_Z_EN: 1
; COMPUTE_PGM_RSRC2:TIDIG_COMP_CNT: 1
	.section	.text._ZL13mul_mat_vec_qIL9ggml_type40ELi5ELb0ELb0EEvPKvS2_PKi31ggml_cuda_mm_fusion_args_devicePfj15HIP_vector_typeIjLj3EEjjjS8_jjjS8_jjjj,"axG",@progbits,_ZL13mul_mat_vec_qIL9ggml_type40ELi5ELb0ELb0EEvPKvS2_PKi31ggml_cuda_mm_fusion_args_devicePfj15HIP_vector_typeIjLj3EEjjjS8_jjjS8_jjjj,comdat
	.globl	_ZL13mul_mat_vec_qIL9ggml_type40ELi5ELb0ELb0EEvPKvS2_PKi31ggml_cuda_mm_fusion_args_devicePfj15HIP_vector_typeIjLj3EEjjjS8_jjjS8_jjjj ; -- Begin function _ZL13mul_mat_vec_qIL9ggml_type40ELi5ELb0ELb0EEvPKvS2_PKi31ggml_cuda_mm_fusion_args_devicePfj15HIP_vector_typeIjLj3EEjjjS8_jjjS8_jjjj
	.p2align	8
	.type	_ZL13mul_mat_vec_qIL9ggml_type40ELi5ELb0ELb0EEvPKvS2_PKi31ggml_cuda_mm_fusion_args_devicePfj15HIP_vector_typeIjLj3EEjjjS8_jjjS8_jjjj,@function
_ZL13mul_mat_vec_qIL9ggml_type40ELi5ELb0ELb0EEvPKvS2_PKi31ggml_cuda_mm_fusion_args_devicePfj15HIP_vector_typeIjLj3EEjjjS8_jjjS8_jjjj: ; @_ZL13mul_mat_vec_qIL9ggml_type40ELi5ELb0ELb0EEvPKvS2_PKi31ggml_cuda_mm_fusion_args_devicePfj15HIP_vector_typeIjLj3EEjjjS8_jjjS8_jjjj
; %bb.0:
	s_clause 0x5
	s_load_dwordx4 s[16:19], s[4:5], 0x80
	s_load_dword s9, s[4:5], 0x40
	s_load_dwordx4 s[0:3], s[4:5], 0x50
	s_load_dword s11, s[4:5], 0x60
	;; [unrolled: 2-line block ×3, first 2 shown]
	v_lshl_or_b32 v2, v1, 5, v0
	v_mov_b32_e32 v51, 0
	v_mov_b32_e32 v52, 0
	;; [unrolled: 1-line block ×4, first 2 shown]
	v_lshrrev_b16 v3, 1, v2
	v_mov_b32_e32 v56, 0
	v_and_b32_e32 v55, 0xffff, v3
	s_waitcnt lgkmcnt(0)
	s_lshr_b32 s10, s9, 6
	s_mov_b32 s9, exec_lo
	v_cmpx_gt_u32_e64 s10, v55
	s_cbranch_execz .LBB92_64
; %bb.1:
	v_lshrrev_b32_e32 v2, 1, v2
	s_mul_i32 s13, s13, s7
	s_load_dwordx4 s[20:23], s[4:5], 0x0
	s_mul_hi_u32 s27, s13, 36
	s_mul_i32 s26, s13, 36
	s_mul_i32 s17, s17, s8
	v_mad_u64_u32 v[2:3], null, 0x48, v2, s[26:27]
	v_and_b32_e32 v5, 1, v0
	v_lshlrev_b32_e32 v4, 2, v0
	s_mul_i32 s19, s17, 36
	s_mul_hi_u32 s13, s15, s8
	s_mul_hi_u32 s15, s17, 36
	;; [unrolled: 1-line block ×3, first 2 shown]
	v_mad_u64_u32 v[2:3], null, s17, 36, v[2:3]
	v_and_b32_e32 v6, 4, v4
	v_lshlrev_b32_e32 v4, 1, v55
	s_mul_i32 s0, s0, s6
	v_mov_b32_e32 v58, 0
	v_add_lshl_u32 v59, s1, v55, 1
	v_lshrrev_b32_e32 v57, 1, v6
	v_mad_u64_u32 v[2:3], null, v5, 36, v[2:3]
	s_waitcnt lgkmcnt(0)
	s_add_u32 s17, s22, s19
	s_addc_u32 s15, s23, s15
	s_add_u32 s26, s17, s26
	s_addc_u32 s27, s15, s27
	s_add_i32 s3, s7, s3
	s_add_i32 s13, s8, s13
	s_lshr_b32 s3, s3, s11
	v_mad_u64_u32 v[46:47], null, v5, 36, s[26:27]
	v_mad_u64_u32 v[50:51], null, s1, 3, v[4:5]
	v_add_co_u32 v48, vcc_lo, s22, v2
	s_lshr_b32 s11, s13, s24
	s_mul_i32 s3, s3, s12
	v_add_co_ci_u32_e64 v49, null, s23, v3, vcc_lo
	v_lshl_add_u32 v60, s1, 2, v4
	v_add_nc_u32_e32 v61, s1, v4
	v_lshlrev_b32_e32 v62, 2, v6
	v_mov_b32_e32 v63, 0x7e
	v_mov_b32_e32 v64, 0x7f
	;; [unrolled: 1-line block ×8, first 2 shown]
	s_mul_i32 s11, s11, s16
	s_add_i32 s3, s3, s0
	s_mov_b32 s1, 0
	s_add_i32 s0, s11, s3
	s_mov_b32 s3, 0xf4f8fafc
	s_mov_b32 s11, 0xc080604
	s_mov_b32 s12, 0x4040404
	s_branch .LBB92_3
.LBB92_2:                               ;   in Loop: Header=BB92_3 Depth=1
	s_or_b32 exec_lo, exec_lo, s15
	s_waitcnt vmcnt(15)
	v_ashrrev_i32_e32 v83, 4, v20
	v_ashrrev_i32_e32 v76, 4, v21
	v_and_b32_e32 v77, 0x7070707, v21
	v_lshrrev_b32_e32 v21, 1, v21
	v_and_b32_e32 v89, 0x7070707, v20
	v_and_b32_e32 v86, 0x7070707, v83
	v_lshrrev_b32_e32 v83, 1, v83
	v_lshrrev_b32_e32 v20, 1, v20
	v_perm_b32 v85, s3, 0xfdfeff00, v77
	v_perm_b32 v77, s11, 0x3020100, v77
	v_and_or_b32 v21, v21, s12, 0x3020100
	v_perm_b32 v88, s3, 0xfdfeff00, v86
	v_perm_b32 v86, s11, 0x3020100, v86
	v_and_or_b32 v83, v83, s12, 0x3020100
	;; [unrolled: 3-line block ×3, first 2 shown]
	v_perm_b32 v21, v85, v77, v21
	v_perm_b32 v77, v88, v86, v83
	v_ashrrev_i32_e32 v86, 4, v18
	v_ashrrev_i32_e32 v90, 4, v19
	v_perm_b32 v20, v91, v89, v20
	v_and_b32_e32 v89, 0x7070707, v18
	v_lshrrev_b32_e32 v18, 1, v18
	v_and_b32_e32 v91, 0x7070707, v86
	v_lshrrev_b32_e32 v86, 1, v86
	v_and_b32_e32 v83, 0x7070707, v19
	v_perm_b32 v93, s3, 0xfdfeff00, v89
	v_perm_b32 v89, s11, 0x3020100, v89
	v_and_or_b32 v18, v18, s12, 0x3020100
	v_lshrrev_b32_e32 v19, 1, v19
	v_perm_b32 v94, s3, 0xfdfeff00, v91
	v_perm_b32 v91, s11, 0x3020100, v91
	v_and_or_b32 v86, v86, s12, 0x3020100
	v_perm_b32 v18, v93, v89, v18
	v_mov_b32_e32 v89, 0
	v_and_b32_e32 v92, 0x7070707, v90
	v_lshrrev_b32_e32 v88, 1, v90
	v_perm_b32 v90, s3, 0xfdfeff00, v83
	v_mov_b32_e32 v93, 0
	v_perm_b32 v83, s11, 0x3020100, v83
	v_and_or_b32 v19, v19, s12, 0x3020100
	v_perm_b32 v86, v94, v91, v86
	s_waitcnt vmcnt(3)
	v_dot4c_i32_i8 v89, v18, v31
	v_dot4c_i32_i8 v93, v20, v35
	v_perm_b32 v85, s3, 0xfdfeff00, v92
	v_perm_b32 v19, v90, v83, v19
	;; [unrolled: 1-line block ×3, first 2 shown]
	v_dot4c_i32_i8 v89, v86, v33
	v_dot4c_i32_i8 v93, v77, v37
	v_mov_b32_e32 v37, 0
	v_and_or_b32 v35, v88, s12, 0x3020100
	v_and_b32_e32 v84, 0x7070707, v76
	v_dot4c_i32_i8 v89, v19, v32
	v_mov_b32_e32 v32, 0
	v_dot4c_i32_i8 v37, v18, v23
	v_perm_b32 v31, v85, v31, v35
	v_lshrrev_b32_e32 v76, 1, v76
	v_perm_b32 v87, s3, 0xfdfeff00, v84
	s_waitcnt vmcnt(0)
	v_dot4c_i32_i8 v32, v18, v39
	v_dot4c_i32_i8 v37, v86, v25
	;; [unrolled: 1-line block ×3, first 2 shown]
	v_mov_b32_e32 v34, 0
	v_perm_b32 v84, s11, 0x3020100, v84
	v_dot4c_i32_i8 v32, v86, v41
	v_dot4c_i32_i8 v37, v19, v24
	v_and_or_b32 v76, v76, s12, 0x3020100
	v_dot4c_i32_i8 v34, v20, v43
	v_mov_b32_e32 v43, 0
	v_dot4c_i32_i8 v32, v19, v40
	v_dot4c_i32_i8 v37, v31, v26
	v_mov_b32_e32 v26, 0
	v_dot4c_i32_i8 v34, v77, v45
	v_dot4c_i32_i8 v43, v20, v27
	;; [unrolled: 1-line block ×3, first 2 shown]
	v_perm_b32 v33, v87, v84, v76
	v_dot4c_i32_i8 v26, v18, v11
	v_dot4c_i32_i8 v93, v21, v36
	;; [unrolled: 1-line block ×3, first 2 shown]
	v_cvt_f32_i32_e32 v27, v32
	v_mov_b32_e32 v32, 0
	v_mov_b32_e32 v29, 0
	v_dot4c_i32_i8 v26, v86, v13
	v_mov_b32_e32 v13, 0
	v_cvt_f32_f16_e32 v30, v30
	v_dot4c_i32_i8 v32, v18, v7
	v_dot4c_i32_i8 v29, v20, v15
	;; [unrolled: 1-line block ×9, first 2 shown]
	v_cvt_f32_f16_e32 v5, v10
	v_dot4c_i32_i8 v32, v19, v8
	v_cvt_f32_f16_e32 v24, v38
	v_dot4c_i32_i8 v43, v21, v28
	;; [unrolled: 2-line block ×3, first 2 shown]
	v_cvt_f32_i32_e32 v8, v26
	v_dot4c_i32_i8 v13, v21, v4
	v_dot4c_i32_i8 v32, v31, v2
	v_cvt_f32_f16_e32 v2, v6
	v_mul_f32_e32 v4, v70, v5
	v_dot4c_i32_i8 v93, v33, v80
	v_cvt_f32_i32_e32 v35, v89
	v_mul_f32_e32 v39, v79, v30
	v_mul_f32_e32 v25, v81, v30
	v_dot4c_i32_i8 v34, v33, v82
	v_dot4c_i32_i8 v43, v33, v72
	v_cvt_f32_i32_e32 v30, v37
	v_mul_f32_e32 v15, v74, v22
	v_dot4c_i32_i8 v29, v33, v69
	v_dot4c_i32_i8 v13, v33, v66
	v_cvt_f32_i32_e32 v9, v32
	v_mul_f32_e32 v10, v67, v2
	v_fma_f32 v4, v4, v8, 0
	v_mul_f32_e32 v8, v78, v24
	v_cvt_f32_i32_e32 v36, v93
	v_fma_f32 v23, v39, v35, 0
	v_cvt_f32_i32_e32 v28, v34
	v_cvt_f32_i32_e32 v11, v43
	v_fma_f32 v7, v15, v30, 0
	v_mul_f32_e32 v3, v75, v22
	v_cvt_f32_i32_e32 v6, v29
	v_mul_f32_e32 v5, v71, v5
	v_cvt_f32_i32_e32 v12, v13
	v_fma_f32 v9, v10, v9, 0
	v_mul_f32_e32 v2, v68, v2
	v_fma_f32 v8, v8, v27, 0
	v_mul_f32_e32 v10, v73, v24
	v_add_nc_u32_e32 v55, 16, v55
	v_fmac_f32_e32 v23, v25, v36
	v_fmac_f32_e32 v7, v3, v11
	;; [unrolled: 1-line block ×5, first 2 shown]
	v_add_co_u32 v48, vcc_lo, 0x480, v48
	v_add_co_ci_u32_e64 v49, null, 0, v49, vcc_lo
	v_cmp_le_u32_e32 vcc_lo, s10, v55
	v_add_f32_e32 v52, v52, v23
	v_add_f32_e32 v53, v53, v7
	;; [unrolled: 1-line block ×5, first 2 shown]
	v_add_nc_u32_e32 v59, 32, v59
	v_add_nc_u32_e32 v50, 32, v50
	;; [unrolled: 1-line block ×4, first 2 shown]
	s_or_b32 s1, vcc_lo, s1
	s_andn2_b32 exec_lo, exec_lo, s1
	s_cbranch_execz .LBB92_63
.LBB92_3:                               ; =>This Inner Loop Header: Depth=1
	v_add_nc_u32_e32 v2, s0, v55
	s_mov_b32 s13, 0
	v_mad_i64_i32 v[2:3], null, v2, 36, s[20:21]
	v_add_co_u32 v4, vcc_lo, v2, v57
	v_add_co_ci_u32_e64 v5, null, 0, v3, vcc_lo
	v_add_co_u32 v2, vcc_lo, v2, v62
	v_add_co_ci_u32_e64 v3, null, 0, v3, vcc_lo
	s_clause 0x1
	global_load_ushort v73, v[4:5], off
	global_load_dwordx4 v[18:21], v[2:3], off offset:4
	s_clause 0x2
	global_load_dword v66, v[48:49], off offset:32
	global_load_dwordx4 v[2:5], v[48:49], off offset:16
	global_load_dwordx4 v[6:9], v[48:49], off
	s_waitcnt vmcnt(4)
	v_bfe_u32 v10, v73, 3, 4
	v_cmp_gt_i16_sdwa s15, v73, v63 src0_sel:BYTE_0 src1_sel:DWORD
	v_cmp_eq_u32_e32 vcc_lo, 0, v10
	s_and_saveexec_b32 s16, s15
	s_xor_b32 s15, exec_lo, s16
; %bb.4:                                ;   in Loop: Header=BB92_3 Depth=1
	v_cmp_ne_u16_sdwa s13, v73, v64 src0_sel:BYTE_0 src1_sel:DWORD
	s_and_b32 s13, s13, exec_lo
; %bb.5:                                ;   in Loop: Header=BB92_3 Depth=1
	s_andn2_saveexec_b32 s15, s15
; %bb.6:                                ;   in Loop: Header=BB92_3 Depth=1
	v_cmp_ne_u16_sdwa s16, v73, v58 src0_sel:BYTE_0 src1_sel:DWORD
	s_andn2_b32 s13, s13, exec_lo
	s_and_b32 s16, s16, exec_lo
	s_or_b32 s13, s13, s16
; %bb.7:                                ;   in Loop: Header=BB92_3 Depth=1
	s_or_b32 exec_lo, exec_lo, s15
	v_and_b32_e32 v11, 7, v73
	v_add_nc_u32_e32 v10, -7, v10
	v_mov_b32_e32 v67, 0
	v_cvt_f32_ubyte0_e32 v11, v11
	v_cndmask_b32_e64 v10, v10, -9, vcc_lo
	v_fma_f32 v12, 0x3e000000, v11, 1.0
	v_cndmask_b32_e32 v11, v12, v11, vcc_lo
	v_ldexp_f32 v10, v11, v10
	v_mul_f32_e32 v76, 0.5, v10
	s_and_saveexec_b32 s15, s13
; %bb.8:                                ;   in Loop: Header=BB92_3 Depth=1
	v_mov_b32_e32 v67, v76
; %bb.9:                                ;   in Loop: Header=BB92_3 Depth=1
	s_or_b32 exec_lo, exec_lo, s15
	v_and_b32_sdwa v11, v65, v73 dst_sel:DWORD dst_unused:UNUSED_PAD src0_sel:DWORD src1_sel:BYTE_1
	v_cmp_gt_i16_sdwa s15, v73, v63 src0_sel:BYTE_1 src1_sel:DWORD
	s_mov_b32 s13, 0
	v_bfe_u32 v10, v11, 3, 4
	v_cmp_eq_u32_e32 vcc_lo, 0, v10
	s_and_saveexec_b32 s16, s15
	s_xor_b32 s15, exec_lo, s16
; %bb.10:                               ;   in Loop: Header=BB92_3 Depth=1
	v_cmp_ne_u16_sdwa s13, v73, v64 src0_sel:BYTE_1 src1_sel:DWORD
	s_and_b32 s13, s13, exec_lo
; %bb.11:                               ;   in Loop: Header=BB92_3 Depth=1
	s_andn2_saveexec_b32 s15, s15
; %bb.12:                               ;   in Loop: Header=BB92_3 Depth=1
	v_cmp_ne_u16_sdwa s16, v73, v58 src0_sel:BYTE_1 src1_sel:DWORD
	s_andn2_b32 s13, s13, exec_lo
	s_and_b32 s16, s16, exec_lo
	s_or_b32 s13, s13, s16
; %bb.13:                               ;   in Loop: Header=BB92_3 Depth=1
	s_or_b32 exec_lo, exec_lo, s15
	v_and_b32_e32 v11, 7, v11
	v_add_nc_u32_e32 v10, -7, v10
	v_mov_b32_e32 v68, 0
	v_cvt_f32_ubyte0_e32 v11, v11
	v_cndmask_b32_e64 v10, v10, -9, vcc_lo
	v_fma_f32 v12, 0x3e000000, v11, 1.0
	v_cndmask_b32_e32 v11, v12, v11, vcc_lo
	v_ldexp_f32 v10, v11, v10
	v_mul_f32_e32 v77, 0.5, v10
	s_and_saveexec_b32 s15, s13
; %bb.14:                               ;   in Loop: Header=BB92_3 Depth=1
	v_mov_b32_e32 v68, v77
; %bb.15:                               ;   in Loop: Header=BB92_3 Depth=1
	s_or_b32 exec_lo, exec_lo, s15
	v_mad_u64_u32 v[10:11], null, v61, 36, v[46:47]
	v_cmp_gt_i16_sdwa s15, v73, v63 src0_sel:BYTE_0 src1_sel:DWORD
	s_mov_b32 s13, 0
	s_clause 0x2
	global_load_dword v69, v[10:11], off offset:32
	global_load_dwordx4 v[14:17], v[10:11], off offset:16
	global_load_dwordx4 v[10:13], v[10:11], off
	s_and_saveexec_b32 s16, s15
	s_xor_b32 s15, exec_lo, s16
	s_cbranch_execnz .LBB92_46
; %bb.16:                               ;   in Loop: Header=BB92_3 Depth=1
	s_andn2_saveexec_b32 s15, s15
	s_cbranch_execnz .LBB92_47
.LBB92_17:                              ;   in Loop: Header=BB92_3 Depth=1
	s_or_b32 exec_lo, exec_lo, s15
	v_mov_b32_e32 v70, 0
	s_and_saveexec_b32 s15, s13
.LBB92_18:                              ;   in Loop: Header=BB92_3 Depth=1
	v_mov_b32_e32 v70, v76
.LBB92_19:                              ;   in Loop: Header=BB92_3 Depth=1
	s_or_b32 exec_lo, exec_lo, s15
	v_cmp_gt_i16_sdwa s15, v73, v63 src0_sel:BYTE_1 src1_sel:DWORD
	s_mov_b32 s13, 0
	s_and_saveexec_b32 s16, s15
	s_xor_b32 s15, exec_lo, s16
	s_cbranch_execnz .LBB92_48
; %bb.20:                               ;   in Loop: Header=BB92_3 Depth=1
	s_andn2_saveexec_b32 s15, s15
	s_cbranch_execnz .LBB92_49
.LBB92_21:                              ;   in Loop: Header=BB92_3 Depth=1
	s_or_b32 exec_lo, exec_lo, s15
	v_mov_b32_e32 v71, 0
	s_and_saveexec_b32 s15, s13
.LBB92_22:                              ;   in Loop: Header=BB92_3 Depth=1
	v_mov_b32_e32 v71, v77
.LBB92_23:                              ;   in Loop: Header=BB92_3 Depth=1
	s_or_b32 exec_lo, exec_lo, s15
	v_mad_u64_u32 v[22:23], null, v59, 36, v[46:47]
	v_cmp_gt_i16_sdwa s15, v73, v63 src0_sel:BYTE_0 src1_sel:DWORD
	s_mov_b32 s13, 0
	s_clause 0x2
	global_load_dword v72, v[22:23], off offset:32
	global_load_dwordx4 v[26:29], v[22:23], off offset:16
	global_load_dwordx4 v[22:25], v[22:23], off
	s_and_saveexec_b32 s16, s15
	s_xor_b32 s15, exec_lo, s16
	s_cbranch_execnz .LBB92_50
; %bb.24:                               ;   in Loop: Header=BB92_3 Depth=1
	s_andn2_saveexec_b32 s15, s15
	s_cbranch_execnz .LBB92_51
.LBB92_25:                              ;   in Loop: Header=BB92_3 Depth=1
	s_or_b32 exec_lo, exec_lo, s15
	v_mov_b32_e32 v74, 0
	s_and_saveexec_b32 s15, s13
.LBB92_26:                              ;   in Loop: Header=BB92_3 Depth=1
	v_mov_b32_e32 v74, v76
.LBB92_27:                              ;   in Loop: Header=BB92_3 Depth=1
	s_or_b32 exec_lo, exec_lo, s15
	v_cmp_gt_i16_sdwa s15, v73, v63 src0_sel:BYTE_1 src1_sel:DWORD
	s_mov_b32 s13, 0
	s_and_saveexec_b32 s16, s15
	s_xor_b32 s15, exec_lo, s16
	s_cbranch_execnz .LBB92_52
; %bb.28:                               ;   in Loop: Header=BB92_3 Depth=1
	s_andn2_saveexec_b32 s15, s15
	s_cbranch_execnz .LBB92_53
.LBB92_29:                              ;   in Loop: Header=BB92_3 Depth=1
	s_or_b32 exec_lo, exec_lo, s15
	v_mov_b32_e32 v75, 0
	s_and_saveexec_b32 s15, s13
.LBB92_30:                              ;   in Loop: Header=BB92_3 Depth=1
	v_mov_b32_e32 v75, v77
.LBB92_31:                              ;   in Loop: Header=BB92_3 Depth=1
	s_or_b32 exec_lo, exec_lo, s15
	v_mad_u64_u32 v[30:31], null, v50, 36, v[46:47]
	v_cmp_gt_i16_sdwa s15, v73, v63 src0_sel:BYTE_0 src1_sel:DWORD
	s_mov_b32 s13, 0
	s_clause 0x2
	global_load_dword v80, v[30:31], off offset:32
	global_load_dwordx4 v[34:37], v[30:31], off offset:16
	global_load_dwordx4 v[30:33], v[30:31], off
	s_and_saveexec_b32 s16, s15
	s_xor_b32 s15, exec_lo, s16
	s_cbranch_execnz .LBB92_54
; %bb.32:                               ;   in Loop: Header=BB92_3 Depth=1
	s_andn2_saveexec_b32 s15, s15
	s_cbranch_execnz .LBB92_55
.LBB92_33:                              ;   in Loop: Header=BB92_3 Depth=1
	s_or_b32 exec_lo, exec_lo, s15
	v_mov_b32_e32 v79, 0
	s_and_saveexec_b32 s15, s13
.LBB92_34:                              ;   in Loop: Header=BB92_3 Depth=1
	v_mov_b32_e32 v79, v76
.LBB92_35:                              ;   in Loop: Header=BB92_3 Depth=1
	s_or_b32 exec_lo, exec_lo, s15
	v_cmp_gt_i16_sdwa s15, v73, v63 src0_sel:BYTE_1 src1_sel:DWORD
	s_mov_b32 s13, 0
	s_and_saveexec_b32 s16, s15
	s_xor_b32 s15, exec_lo, s16
	s_cbranch_execnz .LBB92_56
; %bb.36:                               ;   in Loop: Header=BB92_3 Depth=1
	s_andn2_saveexec_b32 s15, s15
	s_cbranch_execnz .LBB92_57
.LBB92_37:                              ;   in Loop: Header=BB92_3 Depth=1
	s_or_b32 exec_lo, exec_lo, s15
	v_mov_b32_e32 v81, 0
	s_and_saveexec_b32 s15, s13
.LBB92_38:                              ;   in Loop: Header=BB92_3 Depth=1
	v_mov_b32_e32 v81, v77
.LBB92_39:                              ;   in Loop: Header=BB92_3 Depth=1
	s_or_b32 exec_lo, exec_lo, s15
	v_mad_u64_u32 v[38:39], null, v60, 36, v[46:47]
	v_cmp_gt_i16_sdwa s15, v73, v63 src0_sel:BYTE_0 src1_sel:DWORD
	s_mov_b32 s13, 0
	s_clause 0x2
	global_load_dword v82, v[38:39], off offset:32
	global_load_dwordx4 v[42:45], v[38:39], off offset:16
	global_load_dwordx4 v[38:41], v[38:39], off
	s_and_saveexec_b32 s16, s15
	s_xor_b32 s15, exec_lo, s16
	s_cbranch_execnz .LBB92_58
; %bb.40:                               ;   in Loop: Header=BB92_3 Depth=1
	s_andn2_saveexec_b32 s15, s15
	s_cbranch_execnz .LBB92_59
.LBB92_41:                              ;   in Loop: Header=BB92_3 Depth=1
	s_or_b32 exec_lo, exec_lo, s15
	v_mov_b32_e32 v78, 0
	s_and_saveexec_b32 s15, s13
.LBB92_42:                              ;   in Loop: Header=BB92_3 Depth=1
	v_mov_b32_e32 v78, v76
.LBB92_43:                              ;   in Loop: Header=BB92_3 Depth=1
	s_or_b32 exec_lo, exec_lo, s15
	v_cmp_gt_i16_sdwa s15, v73, v63 src0_sel:BYTE_1 src1_sel:DWORD
	s_mov_b32 s13, 0
	s_and_saveexec_b32 s16, s15
	s_xor_b32 s15, exec_lo, s16
	s_cbranch_execnz .LBB92_60
; %bb.44:                               ;   in Loop: Header=BB92_3 Depth=1
	s_andn2_saveexec_b32 s15, s15
	s_cbranch_execnz .LBB92_61
.LBB92_45:                              ;   in Loop: Header=BB92_3 Depth=1
	s_or_b32 exec_lo, exec_lo, s15
	v_mov_b32_e32 v73, 0
	s_and_saveexec_b32 s15, s13
	s_cbranch_execz .LBB92_2
	s_branch .LBB92_62
.LBB92_46:                              ;   in Loop: Header=BB92_3 Depth=1
	v_cmp_ne_u16_sdwa s13, v73, v64 src0_sel:BYTE_0 src1_sel:DWORD
	s_and_b32 s13, s13, exec_lo
	s_andn2_saveexec_b32 s15, s15
	s_cbranch_execz .LBB92_17
.LBB92_47:                              ;   in Loop: Header=BB92_3 Depth=1
	v_cmp_ne_u16_sdwa s16, v73, v58 src0_sel:BYTE_0 src1_sel:DWORD
	s_andn2_b32 s13, s13, exec_lo
	s_and_b32 s16, s16, exec_lo
	s_or_b32 s13, s13, s16
	s_or_b32 exec_lo, exec_lo, s15
	v_mov_b32_e32 v70, 0
	s_and_saveexec_b32 s15, s13
	s_cbranch_execnz .LBB92_18
	s_branch .LBB92_19
.LBB92_48:                              ;   in Loop: Header=BB92_3 Depth=1
	v_cmp_ne_u16_sdwa s13, v73, v64 src0_sel:BYTE_1 src1_sel:DWORD
	s_and_b32 s13, s13, exec_lo
	s_andn2_saveexec_b32 s15, s15
	s_cbranch_execz .LBB92_21
.LBB92_49:                              ;   in Loop: Header=BB92_3 Depth=1
	v_cmp_ne_u16_sdwa s16, v73, v58 src0_sel:BYTE_1 src1_sel:DWORD
	s_andn2_b32 s13, s13, exec_lo
	s_and_b32 s16, s16, exec_lo
	s_or_b32 s13, s13, s16
	s_or_b32 exec_lo, exec_lo, s15
	v_mov_b32_e32 v71, 0
	s_and_saveexec_b32 s15, s13
	s_cbranch_execnz .LBB92_22
	s_branch .LBB92_23
.LBB92_50:                              ;   in Loop: Header=BB92_3 Depth=1
	v_cmp_ne_u16_sdwa s13, v73, v64 src0_sel:BYTE_0 src1_sel:DWORD
	s_and_b32 s13, s13, exec_lo
	s_andn2_saveexec_b32 s15, s15
	s_cbranch_execz .LBB92_25
.LBB92_51:                              ;   in Loop: Header=BB92_3 Depth=1
	v_cmp_ne_u16_sdwa s16, v73, v58 src0_sel:BYTE_0 src1_sel:DWORD
	s_andn2_b32 s13, s13, exec_lo
	s_and_b32 s16, s16, exec_lo
	s_or_b32 s13, s13, s16
	s_or_b32 exec_lo, exec_lo, s15
	v_mov_b32_e32 v74, 0
	s_and_saveexec_b32 s15, s13
	s_cbranch_execnz .LBB92_26
	s_branch .LBB92_27
.LBB92_52:                              ;   in Loop: Header=BB92_3 Depth=1
	v_cmp_ne_u16_sdwa s13, v73, v64 src0_sel:BYTE_1 src1_sel:DWORD
	s_and_b32 s13, s13, exec_lo
	s_andn2_saveexec_b32 s15, s15
	s_cbranch_execz .LBB92_29
.LBB92_53:                              ;   in Loop: Header=BB92_3 Depth=1
	v_cmp_ne_u16_sdwa s16, v73, v58 src0_sel:BYTE_1 src1_sel:DWORD
	s_andn2_b32 s13, s13, exec_lo
	s_and_b32 s16, s16, exec_lo
	s_or_b32 s13, s13, s16
	s_or_b32 exec_lo, exec_lo, s15
	v_mov_b32_e32 v75, 0
	s_and_saveexec_b32 s15, s13
	s_cbranch_execnz .LBB92_30
	s_branch .LBB92_31
.LBB92_54:                              ;   in Loop: Header=BB92_3 Depth=1
	v_cmp_ne_u16_sdwa s13, v73, v64 src0_sel:BYTE_0 src1_sel:DWORD
	s_and_b32 s13, s13, exec_lo
	s_andn2_saveexec_b32 s15, s15
	s_cbranch_execz .LBB92_33
.LBB92_55:                              ;   in Loop: Header=BB92_3 Depth=1
	v_cmp_ne_u16_sdwa s16, v73, v58 src0_sel:BYTE_0 src1_sel:DWORD
	s_andn2_b32 s13, s13, exec_lo
	s_and_b32 s16, s16, exec_lo
	s_or_b32 s13, s13, s16
	s_or_b32 exec_lo, exec_lo, s15
	v_mov_b32_e32 v79, 0
	s_and_saveexec_b32 s15, s13
	s_cbranch_execnz .LBB92_34
	s_branch .LBB92_35
.LBB92_56:                              ;   in Loop: Header=BB92_3 Depth=1
	v_cmp_ne_u16_sdwa s13, v73, v64 src0_sel:BYTE_1 src1_sel:DWORD
	s_and_b32 s13, s13, exec_lo
	s_andn2_saveexec_b32 s15, s15
	s_cbranch_execz .LBB92_37
.LBB92_57:                              ;   in Loop: Header=BB92_3 Depth=1
	v_cmp_ne_u16_sdwa s16, v73, v58 src0_sel:BYTE_1 src1_sel:DWORD
	s_andn2_b32 s13, s13, exec_lo
	s_and_b32 s16, s16, exec_lo
	s_or_b32 s13, s13, s16
	s_or_b32 exec_lo, exec_lo, s15
	v_mov_b32_e32 v81, 0
	s_and_saveexec_b32 s15, s13
	s_cbranch_execnz .LBB92_38
	s_branch .LBB92_39
.LBB92_58:                              ;   in Loop: Header=BB92_3 Depth=1
	v_cmp_ne_u16_sdwa s13, v73, v64 src0_sel:BYTE_0 src1_sel:DWORD
	s_and_b32 s13, s13, exec_lo
	s_andn2_saveexec_b32 s15, s15
	s_cbranch_execz .LBB92_41
.LBB92_59:                              ;   in Loop: Header=BB92_3 Depth=1
	v_cmp_ne_u16_sdwa s16, v73, v58 src0_sel:BYTE_0 src1_sel:DWORD
	s_andn2_b32 s13, s13, exec_lo
	s_and_b32 s16, s16, exec_lo
	s_or_b32 s13, s13, s16
	s_or_b32 exec_lo, exec_lo, s15
	v_mov_b32_e32 v78, 0
	s_and_saveexec_b32 s15, s13
	s_cbranch_execnz .LBB92_42
	s_branch .LBB92_43
.LBB92_60:                              ;   in Loop: Header=BB92_3 Depth=1
	v_cmp_ne_u16_sdwa s13, v73, v64 src0_sel:BYTE_1 src1_sel:DWORD
                                        ; implicit-def: $vgpr73
	s_and_b32 s13, s13, exec_lo
	s_andn2_saveexec_b32 s15, s15
	s_cbranch_execz .LBB92_45
.LBB92_61:                              ;   in Loop: Header=BB92_3 Depth=1
	v_cmp_ne_u16_sdwa s16, v73, v58 src0_sel:BYTE_1 src1_sel:DWORD
	s_andn2_b32 s13, s13, exec_lo
	s_and_b32 s16, s16, exec_lo
	s_or_b32 s13, s13, s16
	s_or_b32 exec_lo, exec_lo, s15
	v_mov_b32_e32 v73, 0
	s_and_saveexec_b32 s15, s13
	s_cbranch_execz .LBB92_2
.LBB92_62:                              ;   in Loop: Header=BB92_3 Depth=1
	v_mov_b32_e32 v73, v77
	s_branch .LBB92_2
.LBB92_63:
	s_or_b32 exec_lo, exec_lo, s1
.LBB92_64:
	s_or_b32 exec_lo, exec_lo, s9
	s_mov_b32 s1, 0
	; wave barrier
	buffer_gl0_inv
	s_mov_b32 s0, exec_lo
	v_cmpx_eq_u32_e32 0, v1
	s_cbranch_execz .LBB92_75
; %bb.65:
	v_mbcnt_lo_u32_b32 v5, -1, 0
	s_load_dwordx2 s[4:5], s[4:5], 0x38
	s_mul_i32 s0, s14, s7
	s_mul_i32 s3, s18, s8
	s_add_i32 s0, s0, s6
	v_xor_b32_e32 v1, 16, v5
	v_xor_b32_e32 v2, 8, v5
	;; [unrolled: 1-line block ×3, first 2 shown]
	s_add_i32 s0, s0, s3
	s_lshl_b64 s[0:1], s[0:1], 2
	v_cmp_gt_i32_e32 vcc_lo, 32, v1
	v_cndmask_b32_e32 v1, v5, v1, vcc_lo
	v_cmp_gt_i32_e32 vcc_lo, 32, v2
	v_lshlrev_b32_e32 v1, 2, v1
	v_cndmask_b32_e32 v2, v5, v2, vcc_lo
	s_waitcnt lgkmcnt(0)
	s_add_u32 s0, s4, s0
	s_addc_u32 s1, s5, s1
	ds_bpermute_b32 v3, v1, v56
	v_lshlrev_b32_e32 v2, 2, v2
	s_waitcnt lgkmcnt(0)
	v_add_f32_e32 v4, v56, v3
	v_xor_b32_e32 v3, 4, v5
	ds_bpermute_b32 v6, v2, v4
	v_cmp_gt_i32_e32 vcc_lo, 32, v3
	v_cndmask_b32_e32 v3, v5, v3, vcc_lo
	v_lshlrev_b32_e32 v3, 2, v3
	s_waitcnt lgkmcnt(0)
	v_add_f32_e32 v6, v4, v6
	v_xor_b32_e32 v4, 2, v5
	ds_bpermute_b32 v7, v3, v6
	v_cmp_gt_i32_e32 vcc_lo, 32, v4
	v_cndmask_b32_e32 v4, v5, v4, vcc_lo
	v_cmp_gt_i32_e32 vcc_lo, 32, v8
	v_lshlrev_b32_e32 v4, 2, v4
	v_cndmask_b32_e32 v5, v5, v8, vcc_lo
	v_cmp_eq_u32_e32 vcc_lo, 0, v0
	v_lshlrev_b32_e32 v5, 2, v5
	s_waitcnt lgkmcnt(0)
	v_add_f32_e32 v6, v6, v7
	ds_bpermute_b32 v7, v4, v6
	s_waitcnt lgkmcnt(0)
	v_add_f32_e32 v6, v6, v7
	ds_bpermute_b32 v7, v5, v6
	s_and_saveexec_b32 s3, vcc_lo
	s_cbranch_execz .LBB92_67
; %bb.66:
	s_waitcnt lgkmcnt(0)
	v_add_f32_e32 v0, v6, v7
	v_mov_b32_e32 v6, 0
	global_store_dword v6, v0, s[0:1]
.LBB92_67:
	s_or_b32 exec_lo, exec_lo, s3
	ds_bpermute_b32 v0, v1, v54
	s_waitcnt lgkmcnt(0)
	v_add_f32_e32 v0, v54, v0
	ds_bpermute_b32 v6, v2, v0
	s_waitcnt lgkmcnt(0)
	v_add_f32_e32 v0, v0, v6
	;; [unrolled: 3-line block ×4, first 2 shown]
	ds_bpermute_b32 v6, v5, v0
	s_and_saveexec_b32 s4, vcc_lo
	s_cbranch_execz .LBB92_69
; %bb.68:
	s_mov_b32 s3, 0
	s_waitcnt lgkmcnt(0)
	v_add_f32_e32 v0, v0, v6
	s_lshl_b64 s[6:7], s[2:3], 2
	v_mov_b32_e32 v6, 0
	s_add_u32 s6, s0, s6
	s_addc_u32 s7, s1, s7
	global_store_dword v6, v0, s[6:7]
.LBB92_69:
	s_or_b32 exec_lo, exec_lo, s4
	ds_bpermute_b32 v0, v1, v53
	s_waitcnt lgkmcnt(0)
	v_add_f32_e32 v0, v53, v0
	ds_bpermute_b32 v6, v2, v0
	s_waitcnt lgkmcnt(0)
	v_add_f32_e32 v0, v0, v6
	;; [unrolled: 3-line block ×4, first 2 shown]
	ds_bpermute_b32 v6, v5, v0
	s_and_saveexec_b32 s3, vcc_lo
	s_cbranch_execz .LBB92_71
; %bb.70:
	s_lshl_b32 s4, s2, 1
	s_mov_b32 s5, 0
	s_waitcnt lgkmcnt(0)
	v_add_f32_e32 v0, v0, v6
	s_lshl_b64 s[4:5], s[4:5], 2
	v_mov_b32_e32 v6, 0
	s_add_u32 s4, s0, s4
	s_addc_u32 s5, s1, s5
	global_store_dword v6, v0, s[4:5]
.LBB92_71:
	s_or_b32 exec_lo, exec_lo, s3
	ds_bpermute_b32 v0, v1, v52
	s_waitcnt lgkmcnt(0)
	v_add_f32_e32 v0, v52, v0
	ds_bpermute_b32 v6, v2, v0
	s_waitcnt lgkmcnt(0)
	v_add_f32_e32 v0, v0, v6
	;; [unrolled: 3-line block ×4, first 2 shown]
	ds_bpermute_b32 v6, v5, v0
	s_and_saveexec_b32 s3, vcc_lo
	s_cbranch_execz .LBB92_73
; %bb.72:
	s_mul_i32 s4, s2, 3
	s_mov_b32 s5, 0
	s_waitcnt lgkmcnt(0)
	v_add_f32_e32 v0, v0, v6
	s_lshl_b64 s[4:5], s[4:5], 2
	v_mov_b32_e32 v6, 0
	s_add_u32 s4, s0, s4
	s_addc_u32 s5, s1, s5
	global_store_dword v6, v0, s[4:5]
.LBB92_73:
	s_or_b32 exec_lo, exec_lo, s3
	ds_bpermute_b32 v0, v1, v51
	s_waitcnt lgkmcnt(0)
	v_add_f32_e32 v0, v51, v0
	ds_bpermute_b32 v1, v2, v0
	s_waitcnt lgkmcnt(0)
	v_add_f32_e32 v0, v0, v1
	;; [unrolled: 3-line block ×4, first 2 shown]
	ds_bpermute_b32 v1, v5, v0
	s_and_b32 exec_lo, exec_lo, vcc_lo
	s_cbranch_execz .LBB92_75
; %bb.74:
	s_lshl_b32 s2, s2, 2
	s_mov_b32 s3, 0
	s_waitcnt lgkmcnt(0)
	v_add_f32_e32 v0, v0, v1
	s_lshl_b64 s[2:3], s[2:3], 2
	v_mov_b32_e32 v1, 0
	s_add_u32 s0, s0, s2
	s_addc_u32 s1, s1, s3
	global_store_dword v1, v0, s[0:1]
.LBB92_75:
	s_endpgm
	.section	.rodata,"a",@progbits
	.p2align	6, 0x0
	.amdhsa_kernel _ZL13mul_mat_vec_qIL9ggml_type40ELi5ELb0ELb0EEvPKvS2_PKi31ggml_cuda_mm_fusion_args_devicePfj15HIP_vector_typeIjLj3EEjjjS8_jjjS8_jjjj
		.amdhsa_group_segment_fixed_size 0
		.amdhsa_private_segment_fixed_size 0
		.amdhsa_kernarg_size 144
		.amdhsa_user_sgpr_count 6
		.amdhsa_user_sgpr_private_segment_buffer 1
		.amdhsa_user_sgpr_dispatch_ptr 0
		.amdhsa_user_sgpr_queue_ptr 0
		.amdhsa_user_sgpr_kernarg_segment_ptr 1
		.amdhsa_user_sgpr_dispatch_id 0
		.amdhsa_user_sgpr_flat_scratch_init 0
		.amdhsa_user_sgpr_private_segment_size 0
		.amdhsa_wavefront_size32 1
		.amdhsa_uses_dynamic_stack 0
		.amdhsa_system_sgpr_private_segment_wavefront_offset 0
		.amdhsa_system_sgpr_workgroup_id_x 1
		.amdhsa_system_sgpr_workgroup_id_y 1
		.amdhsa_system_sgpr_workgroup_id_z 1
		.amdhsa_system_sgpr_workgroup_info 0
		.amdhsa_system_vgpr_workitem_id 1
		.amdhsa_next_free_vgpr 95
		.amdhsa_next_free_sgpr 28
		.amdhsa_reserve_vcc 1
		.amdhsa_reserve_flat_scratch 0
		.amdhsa_float_round_mode_32 0
		.amdhsa_float_round_mode_16_64 0
		.amdhsa_float_denorm_mode_32 3
		.amdhsa_float_denorm_mode_16_64 3
		.amdhsa_dx10_clamp 1
		.amdhsa_ieee_mode 1
		.amdhsa_fp16_overflow 0
		.amdhsa_workgroup_processor_mode 1
		.amdhsa_memory_ordered 1
		.amdhsa_forward_progress 1
		.amdhsa_shared_vgpr_count 0
		.amdhsa_exception_fp_ieee_invalid_op 0
		.amdhsa_exception_fp_denorm_src 0
		.amdhsa_exception_fp_ieee_div_zero 0
		.amdhsa_exception_fp_ieee_overflow 0
		.amdhsa_exception_fp_ieee_underflow 0
		.amdhsa_exception_fp_ieee_inexact 0
		.amdhsa_exception_int_div_zero 0
	.end_amdhsa_kernel
	.section	.text._ZL13mul_mat_vec_qIL9ggml_type40ELi5ELb0ELb0EEvPKvS2_PKi31ggml_cuda_mm_fusion_args_devicePfj15HIP_vector_typeIjLj3EEjjjS8_jjjS8_jjjj,"axG",@progbits,_ZL13mul_mat_vec_qIL9ggml_type40ELi5ELb0ELb0EEvPKvS2_PKi31ggml_cuda_mm_fusion_args_devicePfj15HIP_vector_typeIjLj3EEjjjS8_jjjS8_jjjj,comdat
.Lfunc_end92:
	.size	_ZL13mul_mat_vec_qIL9ggml_type40ELi5ELb0ELb0EEvPKvS2_PKi31ggml_cuda_mm_fusion_args_devicePfj15HIP_vector_typeIjLj3EEjjjS8_jjjS8_jjjj, .Lfunc_end92-_ZL13mul_mat_vec_qIL9ggml_type40ELi5ELb0ELb0EEvPKvS2_PKi31ggml_cuda_mm_fusion_args_devicePfj15HIP_vector_typeIjLj3EEjjjS8_jjjS8_jjjj
                                        ; -- End function
	.set _ZL13mul_mat_vec_qIL9ggml_type40ELi5ELb0ELb0EEvPKvS2_PKi31ggml_cuda_mm_fusion_args_devicePfj15HIP_vector_typeIjLj3EEjjjS8_jjjS8_jjjj.num_vgpr, 95
	.set _ZL13mul_mat_vec_qIL9ggml_type40ELi5ELb0ELb0EEvPKvS2_PKi31ggml_cuda_mm_fusion_args_devicePfj15HIP_vector_typeIjLj3EEjjjS8_jjjS8_jjjj.num_agpr, 0
	.set _ZL13mul_mat_vec_qIL9ggml_type40ELi5ELb0ELb0EEvPKvS2_PKi31ggml_cuda_mm_fusion_args_devicePfj15HIP_vector_typeIjLj3EEjjjS8_jjjS8_jjjj.numbered_sgpr, 28
	.set _ZL13mul_mat_vec_qIL9ggml_type40ELi5ELb0ELb0EEvPKvS2_PKi31ggml_cuda_mm_fusion_args_devicePfj15HIP_vector_typeIjLj3EEjjjS8_jjjS8_jjjj.num_named_barrier, 0
	.set _ZL13mul_mat_vec_qIL9ggml_type40ELi5ELb0ELb0EEvPKvS2_PKi31ggml_cuda_mm_fusion_args_devicePfj15HIP_vector_typeIjLj3EEjjjS8_jjjS8_jjjj.private_seg_size, 0
	.set _ZL13mul_mat_vec_qIL9ggml_type40ELi5ELb0ELb0EEvPKvS2_PKi31ggml_cuda_mm_fusion_args_devicePfj15HIP_vector_typeIjLj3EEjjjS8_jjjS8_jjjj.uses_vcc, 1
	.set _ZL13mul_mat_vec_qIL9ggml_type40ELi5ELb0ELb0EEvPKvS2_PKi31ggml_cuda_mm_fusion_args_devicePfj15HIP_vector_typeIjLj3EEjjjS8_jjjS8_jjjj.uses_flat_scratch, 0
	.set _ZL13mul_mat_vec_qIL9ggml_type40ELi5ELb0ELb0EEvPKvS2_PKi31ggml_cuda_mm_fusion_args_devicePfj15HIP_vector_typeIjLj3EEjjjS8_jjjS8_jjjj.has_dyn_sized_stack, 0
	.set _ZL13mul_mat_vec_qIL9ggml_type40ELi5ELb0ELb0EEvPKvS2_PKi31ggml_cuda_mm_fusion_args_devicePfj15HIP_vector_typeIjLj3EEjjjS8_jjjS8_jjjj.has_recursion, 0
	.set _ZL13mul_mat_vec_qIL9ggml_type40ELi5ELb0ELb0EEvPKvS2_PKi31ggml_cuda_mm_fusion_args_devicePfj15HIP_vector_typeIjLj3EEjjjS8_jjjS8_jjjj.has_indirect_call, 0
	.section	.AMDGPU.csdata,"",@progbits
; Kernel info:
; codeLenInByte = 3500
; TotalNumSgprs: 30
; NumVgprs: 95
; ScratchSize: 0
; MemoryBound: 0
; FloatMode: 240
; IeeeMode: 1
; LDSByteSize: 0 bytes/workgroup (compile time only)
; SGPRBlocks: 0
; VGPRBlocks: 11
; NumSGPRsForWavesPerEU: 30
; NumVGPRsForWavesPerEU: 95
; Occupancy: 10
; WaveLimiterHint : 0
; COMPUTE_PGM_RSRC2:SCRATCH_EN: 0
; COMPUTE_PGM_RSRC2:USER_SGPR: 6
; COMPUTE_PGM_RSRC2:TRAP_HANDLER: 0
; COMPUTE_PGM_RSRC2:TGID_X_EN: 1
; COMPUTE_PGM_RSRC2:TGID_Y_EN: 1
; COMPUTE_PGM_RSRC2:TGID_Z_EN: 1
; COMPUTE_PGM_RSRC2:TIDIG_COMP_CNT: 1
	.section	.text._ZL13mul_mat_vec_qIL9ggml_type40ELi6ELb0ELb0EEvPKvS2_PKi31ggml_cuda_mm_fusion_args_devicePfj15HIP_vector_typeIjLj3EEjjjS8_jjjS8_jjjj,"axG",@progbits,_ZL13mul_mat_vec_qIL9ggml_type40ELi6ELb0ELb0EEvPKvS2_PKi31ggml_cuda_mm_fusion_args_devicePfj15HIP_vector_typeIjLj3EEjjjS8_jjjS8_jjjj,comdat
	.globl	_ZL13mul_mat_vec_qIL9ggml_type40ELi6ELb0ELb0EEvPKvS2_PKi31ggml_cuda_mm_fusion_args_devicePfj15HIP_vector_typeIjLj3EEjjjS8_jjjS8_jjjj ; -- Begin function _ZL13mul_mat_vec_qIL9ggml_type40ELi6ELb0ELb0EEvPKvS2_PKi31ggml_cuda_mm_fusion_args_devicePfj15HIP_vector_typeIjLj3EEjjjS8_jjjS8_jjjj
	.p2align	8
	.type	_ZL13mul_mat_vec_qIL9ggml_type40ELi6ELb0ELb0EEvPKvS2_PKi31ggml_cuda_mm_fusion_args_devicePfj15HIP_vector_typeIjLj3EEjjjS8_jjjS8_jjjj,@function
_ZL13mul_mat_vec_qIL9ggml_type40ELi6ELb0ELb0EEvPKvS2_PKi31ggml_cuda_mm_fusion_args_devicePfj15HIP_vector_typeIjLj3EEjjjS8_jjjS8_jjjj: ; @_ZL13mul_mat_vec_qIL9ggml_type40ELi6ELb0ELb0EEvPKvS2_PKi31ggml_cuda_mm_fusion_args_devicePfj15HIP_vector_typeIjLj3EEjjjS8_jjjS8_jjjj
; %bb.0:
	s_clause 0x5
	s_load_dwordx4 s[16:19], s[4:5], 0x80
	s_load_dword s9, s[4:5], 0x40
	s_load_dwordx4 s[0:3], s[4:5], 0x50
	s_load_dword s11, s[4:5], 0x60
	;; [unrolled: 2-line block ×3, first 2 shown]
	v_lshl_or_b32 v2, v1, 5, v0
	v_mov_b32_e32 v60, 0
	v_mov_b32_e32 v61, 0
	v_mov_b32_e32 v62, 0
	v_mov_b32_e32 v63, 0
	v_lshrrev_b16 v3, 1, v2
	v_mov_b32_e32 v64, 0
	v_mov_b32_e32 v66, 0
	v_and_b32_e32 v65, 0xffff, v3
	s_waitcnt lgkmcnt(0)
	s_lshr_b32 s10, s9, 6
	s_mov_b32 s9, exec_lo
	v_cmpx_gt_u32_e64 s10, v65
	s_cbranch_execz .LBB93_76
; %bb.1:
	v_lshrrev_b32_e32 v2, 1, v2
	s_mul_i32 s13, s13, s7
	s_load_dwordx4 s[20:23], s[4:5], 0x0
	s_mul_hi_u32 s27, s13, 36
	s_mul_i32 s26, s13, 36
	s_mul_i32 s17, s17, s8
	v_mad_u64_u32 v[2:3], null, 0x48, v2, s[26:27]
	v_and_b32_e32 v5, 1, v0
	v_lshlrev_b32_e32 v4, 2, v0
	s_mul_i32 s19, s17, 36
	s_mul_hi_u32 s13, s15, s8
	s_mul_hi_u32 s15, s17, 36
	;; [unrolled: 1-line block ×3, first 2 shown]
	v_mad_u64_u32 v[2:3], null, s17, 36, v[2:3]
	v_and_b32_e32 v6, 4, v4
	v_lshlrev_b32_e32 v4, 1, v65
	s_mul_i32 s0, s0, s6
	v_mov_b32_e32 v68, 0
	v_add_lshl_u32 v69, s1, v65, 1
	v_lshrrev_b32_e32 v67, 1, v6
	v_mad_u64_u32 v[2:3], null, v5, 36, v[2:3]
	s_waitcnt lgkmcnt(0)
	s_add_u32 s17, s22, s19
	s_addc_u32 s15, s23, s15
	s_add_u32 s26, s17, s26
	s_addc_u32 s27, s15, s27
	s_add_i32 s3, s7, s3
	v_mad_u64_u32 v[58:59], null, s1, 3, v[4:5]
	s_add_i32 s13, s8, s13
	s_lshr_b32 s3, s3, s11
	v_mad_u64_u32 v[54:55], null, v5, 36, s[26:27]
	v_mad_u64_u32 v[59:60], null, s1, 5, v[4:5]
	v_add_co_u32 v56, vcc_lo, s22, v2
	s_lshr_b32 s11, s13, s24
	s_mul_i32 s3, s3, s12
	v_add_co_ci_u32_e64 v57, null, s23, v3, vcc_lo
	v_lshl_add_u32 v70, s1, 2, v4
	v_add_nc_u32_e32 v71, s1, v4
	v_lshlrev_b32_e32 v72, 2, v6
	v_mov_b32_e32 v73, 0x7e
	v_mov_b32_e32 v74, 0x7f
	;; [unrolled: 1-line block ×9, first 2 shown]
	s_mul_i32 s11, s11, s16
	s_add_i32 s3, s3, s0
	s_mov_b32 s1, 0
	s_add_i32 s0, s11, s3
	s_mov_b32 s3, 0xf4f8fafc
	s_mov_b32 s11, 0xc080604
	;; [unrolled: 1-line block ×3, first 2 shown]
	s_branch .LBB93_3
.LBB93_2:                               ;   in Loop: Header=BB93_3 Depth=1
	s_or_b32 exec_lo, exec_lo, s15
	s_waitcnt vmcnt(18)
	v_ashrrev_i32_e32 v88, 4, v20
	v_and_b32_e32 v102, 0x7070707, v20
	v_lshrrev_b32_e32 v20, 1, v20
	v_ashrrev_i32_e32 v103, 4, v19
	v_ashrrev_i32_e32 v86, 4, v21
	v_and_b32_e32 v98, 0x7070707, v88
	v_perm_b32 v104, s3, 0xfdfeff00, v102
	v_perm_b32 v102, s11, 0x3020100, v102
	v_and_or_b32 v20, v20, s12, 0x3020100
	v_lshrrev_b32_e32 v88, 1, v88
	v_perm_b32 v101, s3, 0xfdfeff00, v98
	v_perm_b32 v98, s11, 0x3020100, v98
	v_and_b32_e32 v105, 0x7070707, v103
	v_perm_b32 v20, v104, v102, v20
	v_ashrrev_i32_e32 v102, 4, v18
	v_and_b32_e32 v104, 0x7070707, v18
	v_lshrrev_b32_e32 v18, 1, v18
	v_and_or_b32 v88, v88, s12, 0x3020100
	v_lshrrev_b32_e32 v103, 1, v103
	v_and_b32_e32 v107, 0x7070707, v102
	v_lshrrev_b32_e32 v102, 1, v102
	v_perm_b32 v108, s3, 0xfdfeff00, v104
	v_perm_b32 v104, s11, 0x3020100, v104
	v_and_or_b32 v18, v18, s12, 0x3020100
	v_perm_b32 v88, v101, v98, v88
	v_and_b32_e32 v98, 0x7070707, v19
	v_lshrrev_b32_e32 v19, 1, v19
	v_perm_b32 v109, s3, 0xfdfeff00, v107
	v_perm_b32 v107, s11, 0x3020100, v107
	v_and_or_b32 v102, v102, s12, 0x3020100
	v_perm_b32 v18, v108, v104, v18
	v_mov_b32_e32 v104, 0
	v_perm_b32 v106, s3, 0xfdfeff00, v98
	v_perm_b32 v98, s11, 0x3020100, v98
	v_and_or_b32 v19, v19, s12, 0x3020100
	v_perm_b32 v102, v109, v107, v102
	s_waitcnt vmcnt(3)
	v_dot4c_i32_i8 v104, v18, v43
	v_and_b32_e32 v96, 0x7070707, v21
	v_lshrrev_b32_e32 v21, 1, v21
	v_perm_b32 v101, s3, 0xfdfeff00, v105
	v_mov_b32_e32 v107, 0
	v_perm_b32 v43, s11, 0x3020100, v105
	v_and_or_b32 v103, v103, s12, 0x3020100
	v_perm_b32 v19, v106, v98, v19
	v_dot4c_i32_i8 v104, v102, v45
	v_perm_b32 v99, s3, 0xfdfeff00, v96
	v_perm_b32 v96, s11, 0x3020100, v96
	v_and_or_b32 v21, v21, s12, 0x3020100
	v_dot4c_i32_i8 v107, v20, v39
	v_perm_b32 v43, v101, v43, v103
	v_dot4c_i32_i8 v104, v19, v44
	v_and_b32_e32 v97, 0x7070707, v86
	v_perm_b32 v21, v99, v96, v21
	v_dot4c_i32_i8 v107, v88, v41
	v_lshrrev_b32_e32 v86, 1, v86
	v_dot4c_i32_i8 v104, v43, v38
	v_cvt_f32_f16_e32 v38, v42
	v_perm_b32 v100, s3, 0xfdfeff00, v97
	v_dot4c_i32_i8 v107, v21, v40
	v_perm_b32 v97, s11, 0x3020100, v97
	v_cvt_f32_i32_e32 v40, v104
	v_mul_f32_e32 v42, v93, v38
	v_and_or_b32 v39, v86, s12, 0x3020100
	v_mov_b32_e32 v44, 0
	v_mul_f32_e32 v38, v95, v38
	v_mov_b32_e32 v41, 0
	v_fma_f32 v40, v42, v40, 0
	v_mov_b32_e32 v42, 0
	v_perm_b32 v39, v100, v97, v39
	s_waitcnt vmcnt(0)
	v_dot4c_i32_i8 v44, v18, v51
	v_dot4c_i32_i8 v41, v20, v47
	v_cvt_f32_f16_e32 v22, v22
	v_dot4c_i32_i8 v42, v18, v31
	v_dot4c_i32_i8 v107, v39, v92
	v_dot4c_i32_i8 v44, v102, v53
	v_dot4c_i32_i8 v41, v88, v49
	v_cvt_f32_f16_e32 v31, v50
	v_dot4c_i32_i8 v42, v102, v33
	v_mov_b32_e32 v33, 0
	v_cvt_f32_i32_e32 v45, v107
	v_dot4c_i32_i8 v44, v19, v52
	v_dot4c_i32_i8 v41, v21, v48
	v_dot4c_i32_i8 v42, v19, v32
	v_dot4c_i32_i8 v33, v18, v23
	v_mov_b32_e32 v32, 0
	v_cvt_f32_f16_e32 v23, v30
	v_mov_b32_e32 v30, 0
	v_dot4c_i32_i8 v42, v43, v34
	v_dot4c_i32_i8 v33, v102, v25
	;; [unrolled: 1-line block ×3, first 2 shown]
	v_mul_f32_e32 v27, v89, v23
	v_fmac_f32_e32 v40, v38, v45
	v_cvt_f32_i32_e32 v25, v42
	v_dot4c_i32_i8 v33, v19, v24
	v_mov_b32_e32 v38, 0
	v_dot4c_i32_i8 v30, v18, v7
	v_dot4c_i32_i8 v32, v88, v29
	v_fma_f32 v25, v27, v25, 0
	v_dot4c_i32_i8 v33, v43, v26
	v_mov_b32_e32 v26, 0
	v_mov_b32_e32 v27, 0
	v_dot4c_i32_i8 v38, v20, v35
	v_dot4c_i32_i8 v30, v102, v9
	;; [unrolled: 1-line block ×9, first 2 shown]
	v_mov_b32_e32 v13, 0
	v_dot4c_i32_i8 v27, v88, v17
	v_dot4c_i32_i8 v38, v21, v36
	;; [unrolled: 1-line block ×6, first 2 shown]
	v_cvt_f32_f16_e32 v2, v6
	v_dot4c_i32_i8 v41, v39, v94
	v_dot4c_i32_i8 v26, v43, v14
	;; [unrolled: 1-line block ×3, first 2 shown]
	v_cvt_f32_f16_e32 v5, v10
	v_cvt_f32_i32_e32 v35, v44
	v_dot4c_i32_i8 v38, v39, v87
	v_cvt_f32_i32_e32 v8, v26
	v_dot4c_i32_i8 v13, v21, v4
	v_mul_f32_e32 v4, v80, v5
	v_dot4c_i32_i8 v32, v39, v82
	v_cvt_f32_i32_e32 v28, v33
	v_mul_f32_e32 v15, v83, v22
	v_dot4c_i32_i8 v27, v39, v79
	v_dot4c_i32_i8 v13, v39, v76
	v_cvt_f32_i32_e32 v9, v30
	v_mul_f32_e32 v10, v77, v2
	v_fma_f32 v4, v4, v8, 0
	v_mul_f32_e32 v8, v91, v31
	v_cvt_f32_i32_e32 v29, v41
	v_cvt_f32_i32_e32 v24, v38
	v_mul_f32_e32 v23, v90, v23
	v_cvt_f32_i32_e32 v11, v32
	v_fma_f32 v7, v15, v28, 0
	v_mul_f32_e32 v3, v84, v22
	v_cvt_f32_i32_e32 v6, v27
	v_mul_f32_e32 v5, v81, v5
	v_cvt_f32_i32_e32 v12, v13
	v_fma_f32 v9, v10, v9, 0
	v_mul_f32_e32 v2, v78, v2
	v_fma_f32 v8, v8, v35, 0
	v_mul_f32_e32 v10, v85, v31
	v_add_nc_u32_e32 v65, 16, v65
	v_fmac_f32_e32 v25, v23, v24
	v_fmac_f32_e32 v7, v3, v11
	;; [unrolled: 1-line block ×5, first 2 shown]
	v_add_co_u32 v56, vcc_lo, 0x480, v56
	v_add_co_ci_u32_e64 v57, null, 0, v57, vcc_lo
	v_cmp_le_u32_e32 vcc_lo, s10, v65
	v_add_f32_e32 v61, v61, v40
	v_add_f32_e32 v62, v62, v25
	;; [unrolled: 1-line block ×6, first 2 shown]
	v_add_nc_u32_e32 v69, 32, v69
	v_add_nc_u32_e32 v58, 32, v58
	;; [unrolled: 1-line block ×5, first 2 shown]
	s_or_b32 s1, vcc_lo, s1
	s_andn2_b32 exec_lo, exec_lo, s1
	s_cbranch_execz .LBB93_75
.LBB93_3:                               ; =>This Inner Loop Header: Depth=1
	v_add_nc_u32_e32 v2, s0, v65
	s_mov_b32 s13, 0
	v_mad_i64_i32 v[2:3], null, v2, 36, s[20:21]
	v_add_co_u32 v4, vcc_lo, v2, v67
	v_add_co_ci_u32_e64 v5, null, 0, v3, vcc_lo
	v_add_co_u32 v2, vcc_lo, v2, v72
	v_add_co_ci_u32_e64 v3, null, 0, v3, vcc_lo
	s_clause 0x1
	global_load_ushort v85, v[4:5], off
	global_load_dwordx4 v[18:21], v[2:3], off offset:4
	s_clause 0x2
	global_load_dword v76, v[56:57], off offset:32
	global_load_dwordx4 v[2:5], v[56:57], off offset:16
	global_load_dwordx4 v[6:9], v[56:57], off
	s_waitcnt vmcnt(4)
	v_bfe_u32 v10, v85, 3, 4
	v_cmp_gt_i16_sdwa s15, v85, v73 src0_sel:BYTE_0 src1_sel:DWORD
	v_cmp_eq_u32_e32 vcc_lo, 0, v10
	s_and_saveexec_b32 s16, s15
	s_xor_b32 s15, exec_lo, s16
; %bb.4:                                ;   in Loop: Header=BB93_3 Depth=1
	v_cmp_ne_u16_sdwa s13, v85, v74 src0_sel:BYTE_0 src1_sel:DWORD
	s_and_b32 s13, s13, exec_lo
; %bb.5:                                ;   in Loop: Header=BB93_3 Depth=1
	s_andn2_saveexec_b32 s15, s15
; %bb.6:                                ;   in Loop: Header=BB93_3 Depth=1
	v_cmp_ne_u16_sdwa s16, v85, v68 src0_sel:BYTE_0 src1_sel:DWORD
	s_andn2_b32 s13, s13, exec_lo
	s_and_b32 s16, s16, exec_lo
	s_or_b32 s13, s13, s16
; %bb.7:                                ;   in Loop: Header=BB93_3 Depth=1
	s_or_b32 exec_lo, exec_lo, s15
	v_and_b32_e32 v11, 7, v85
	v_add_nc_u32_e32 v10, -7, v10
	v_mov_b32_e32 v77, 0
	v_cvt_f32_ubyte0_e32 v11, v11
	v_cndmask_b32_e64 v10, v10, -9, vcc_lo
	v_fma_f32 v12, 0x3e000000, v11, 1.0
	v_cndmask_b32_e32 v11, v12, v11, vcc_lo
	v_ldexp_f32 v10, v11, v10
	v_mul_f32_e32 v86, 0.5, v10
	s_and_saveexec_b32 s15, s13
; %bb.8:                                ;   in Loop: Header=BB93_3 Depth=1
	v_mov_b32_e32 v77, v86
; %bb.9:                                ;   in Loop: Header=BB93_3 Depth=1
	s_or_b32 exec_lo, exec_lo, s15
	v_and_b32_sdwa v11, v75, v85 dst_sel:DWORD dst_unused:UNUSED_PAD src0_sel:DWORD src1_sel:BYTE_1
	v_cmp_gt_i16_sdwa s15, v85, v73 src0_sel:BYTE_1 src1_sel:DWORD
	s_mov_b32 s13, 0
	v_bfe_u32 v10, v11, 3, 4
	v_cmp_eq_u32_e32 vcc_lo, 0, v10
	s_and_saveexec_b32 s16, s15
	s_xor_b32 s15, exec_lo, s16
; %bb.10:                               ;   in Loop: Header=BB93_3 Depth=1
	v_cmp_ne_u16_sdwa s13, v85, v74 src0_sel:BYTE_1 src1_sel:DWORD
	s_and_b32 s13, s13, exec_lo
; %bb.11:                               ;   in Loop: Header=BB93_3 Depth=1
	s_andn2_saveexec_b32 s15, s15
; %bb.12:                               ;   in Loop: Header=BB93_3 Depth=1
	v_cmp_ne_u16_sdwa s16, v85, v68 src0_sel:BYTE_1 src1_sel:DWORD
	s_andn2_b32 s13, s13, exec_lo
	s_and_b32 s16, s16, exec_lo
	s_or_b32 s13, s13, s16
; %bb.13:                               ;   in Loop: Header=BB93_3 Depth=1
	s_or_b32 exec_lo, exec_lo, s15
	v_and_b32_e32 v11, 7, v11
	v_add_nc_u32_e32 v10, -7, v10
	v_mov_b32_e32 v78, 0
	v_cvt_f32_ubyte0_e32 v11, v11
	v_cndmask_b32_e64 v10, v10, -9, vcc_lo
	v_fma_f32 v12, 0x3e000000, v11, 1.0
	v_cndmask_b32_e32 v11, v12, v11, vcc_lo
	v_ldexp_f32 v10, v11, v10
	v_mul_f32_e32 v88, 0.5, v10
	s_and_saveexec_b32 s15, s13
; %bb.14:                               ;   in Loop: Header=BB93_3 Depth=1
	v_mov_b32_e32 v78, v88
; %bb.15:                               ;   in Loop: Header=BB93_3 Depth=1
	s_or_b32 exec_lo, exec_lo, s15
	v_mad_u64_u32 v[10:11], null, v71, 36, v[54:55]
	v_cmp_gt_i16_sdwa s15, v85, v73 src0_sel:BYTE_0 src1_sel:DWORD
	s_mov_b32 s13, 0
	s_clause 0x2
	global_load_dword v79, v[10:11], off offset:32
	global_load_dwordx4 v[14:17], v[10:11], off offset:16
	global_load_dwordx4 v[10:13], v[10:11], off
	s_and_saveexec_b32 s16, s15
	s_xor_b32 s15, exec_lo, s16
	s_cbranch_execnz .LBB93_54
; %bb.16:                               ;   in Loop: Header=BB93_3 Depth=1
	s_andn2_saveexec_b32 s15, s15
	s_cbranch_execnz .LBB93_55
.LBB93_17:                              ;   in Loop: Header=BB93_3 Depth=1
	s_or_b32 exec_lo, exec_lo, s15
	v_mov_b32_e32 v80, 0
	s_and_saveexec_b32 s15, s13
.LBB93_18:                              ;   in Loop: Header=BB93_3 Depth=1
	v_mov_b32_e32 v80, v86
.LBB93_19:                              ;   in Loop: Header=BB93_3 Depth=1
	s_or_b32 exec_lo, exec_lo, s15
	v_cmp_gt_i16_sdwa s15, v85, v73 src0_sel:BYTE_1 src1_sel:DWORD
	s_mov_b32 s13, 0
	s_and_saveexec_b32 s16, s15
	s_xor_b32 s15, exec_lo, s16
	s_cbranch_execnz .LBB93_56
; %bb.20:                               ;   in Loop: Header=BB93_3 Depth=1
	s_andn2_saveexec_b32 s15, s15
	s_cbranch_execnz .LBB93_57
.LBB93_21:                              ;   in Loop: Header=BB93_3 Depth=1
	s_or_b32 exec_lo, exec_lo, s15
	v_mov_b32_e32 v81, 0
	s_and_saveexec_b32 s15, s13
.LBB93_22:                              ;   in Loop: Header=BB93_3 Depth=1
	v_mov_b32_e32 v81, v88
.LBB93_23:                              ;   in Loop: Header=BB93_3 Depth=1
	s_or_b32 exec_lo, exec_lo, s15
	v_mad_u64_u32 v[22:23], null, v69, 36, v[54:55]
	v_cmp_gt_i16_sdwa s15, v85, v73 src0_sel:BYTE_0 src1_sel:DWORD
	s_mov_b32 s13, 0
	s_clause 0x2
	global_load_dword v82, v[22:23], off offset:32
	global_load_dwordx4 v[26:29], v[22:23], off offset:16
	global_load_dwordx4 v[22:25], v[22:23], off
	s_and_saveexec_b32 s16, s15
	s_xor_b32 s15, exec_lo, s16
	s_cbranch_execnz .LBB93_58
; %bb.24:                               ;   in Loop: Header=BB93_3 Depth=1
	s_andn2_saveexec_b32 s15, s15
	s_cbranch_execnz .LBB93_59
.LBB93_25:                              ;   in Loop: Header=BB93_3 Depth=1
	s_or_b32 exec_lo, exec_lo, s15
	v_mov_b32_e32 v83, 0
	s_and_saveexec_b32 s15, s13
.LBB93_26:                              ;   in Loop: Header=BB93_3 Depth=1
	v_mov_b32_e32 v83, v86
.LBB93_27:                              ;   in Loop: Header=BB93_3 Depth=1
	s_or_b32 exec_lo, exec_lo, s15
	v_cmp_gt_i16_sdwa s15, v85, v73 src0_sel:BYTE_1 src1_sel:DWORD
	s_mov_b32 s13, 0
	s_and_saveexec_b32 s16, s15
	s_xor_b32 s15, exec_lo, s16
	s_cbranch_execnz .LBB93_60
; %bb.28:                               ;   in Loop: Header=BB93_3 Depth=1
	s_andn2_saveexec_b32 s15, s15
	s_cbranch_execnz .LBB93_61
.LBB93_29:                              ;   in Loop: Header=BB93_3 Depth=1
	s_or_b32 exec_lo, exec_lo, s15
	v_mov_b32_e32 v84, 0
	s_and_saveexec_b32 s15, s13
.LBB93_30:                              ;   in Loop: Header=BB93_3 Depth=1
	v_mov_b32_e32 v84, v88
.LBB93_31:                              ;   in Loop: Header=BB93_3 Depth=1
	s_or_b32 exec_lo, exec_lo, s15
	v_mad_u64_u32 v[30:31], null, v58, 36, v[54:55]
	v_cmp_gt_i16_sdwa s15, v85, v73 src0_sel:BYTE_0 src1_sel:DWORD
	s_mov_b32 s13, 0
	s_clause 0x2
	global_load_dword v87, v[30:31], off offset:32
	global_load_dwordx4 v[34:37], v[30:31], off offset:16
	global_load_dwordx4 v[30:33], v[30:31], off
	s_and_saveexec_b32 s16, s15
	s_xor_b32 s15, exec_lo, s16
	s_cbranch_execnz .LBB93_62
; %bb.32:                               ;   in Loop: Header=BB93_3 Depth=1
	s_andn2_saveexec_b32 s15, s15
	s_cbranch_execnz .LBB93_63
.LBB93_33:                              ;   in Loop: Header=BB93_3 Depth=1
	s_or_b32 exec_lo, exec_lo, s15
	v_mov_b32_e32 v89, 0
	s_and_saveexec_b32 s15, s13
.LBB93_34:                              ;   in Loop: Header=BB93_3 Depth=1
	v_mov_b32_e32 v89, v86
.LBB93_35:                              ;   in Loop: Header=BB93_3 Depth=1
	s_or_b32 exec_lo, exec_lo, s15
	v_cmp_gt_i16_sdwa s15, v85, v73 src0_sel:BYTE_1 src1_sel:DWORD
	s_mov_b32 s13, 0
	s_and_saveexec_b32 s16, s15
	s_xor_b32 s15, exec_lo, s16
	s_cbranch_execnz .LBB93_64
; %bb.36:                               ;   in Loop: Header=BB93_3 Depth=1
	s_andn2_saveexec_b32 s15, s15
	s_cbranch_execnz .LBB93_65
.LBB93_37:                              ;   in Loop: Header=BB93_3 Depth=1
	s_or_b32 exec_lo, exec_lo, s15
	v_mov_b32_e32 v90, 0
	s_and_saveexec_b32 s15, s13
.LBB93_38:                              ;   in Loop: Header=BB93_3 Depth=1
	v_mov_b32_e32 v90, v88
.LBB93_39:                              ;   in Loop: Header=BB93_3 Depth=1
	s_or_b32 exec_lo, exec_lo, s15
	v_mad_u64_u32 v[42:43], null, v70, 36, v[54:55]
	v_cmp_gt_i16_sdwa s15, v85, v73 src0_sel:BYTE_0 src1_sel:DWORD
	s_mov_b32 s13, 0
	s_clause 0x2
	global_load_dword v92, v[42:43], off offset:32
	global_load_dwordx4 v[38:41], v[42:43], off offset:16
	global_load_dwordx4 v[42:45], v[42:43], off
	s_and_saveexec_b32 s16, s15
	s_xor_b32 s15, exec_lo, s16
	s_cbranch_execnz .LBB93_66
; %bb.40:                               ;   in Loop: Header=BB93_3 Depth=1
	s_andn2_saveexec_b32 s15, s15
	s_cbranch_execnz .LBB93_67
.LBB93_41:                              ;   in Loop: Header=BB93_3 Depth=1
	s_or_b32 exec_lo, exec_lo, s15
	v_mov_b32_e32 v93, 0
	s_and_saveexec_b32 s15, s13
.LBB93_42:                              ;   in Loop: Header=BB93_3 Depth=1
	v_mov_b32_e32 v93, v86
.LBB93_43:                              ;   in Loop: Header=BB93_3 Depth=1
	s_or_b32 exec_lo, exec_lo, s15
	v_cmp_gt_i16_sdwa s15, v85, v73 src0_sel:BYTE_1 src1_sel:DWORD
	s_mov_b32 s13, 0
	s_and_saveexec_b32 s16, s15
	s_xor_b32 s15, exec_lo, s16
	s_cbranch_execnz .LBB93_68
; %bb.44:                               ;   in Loop: Header=BB93_3 Depth=1
	s_andn2_saveexec_b32 s15, s15
	s_cbranch_execnz .LBB93_69
.LBB93_45:                              ;   in Loop: Header=BB93_3 Depth=1
	s_or_b32 exec_lo, exec_lo, s15
	v_mov_b32_e32 v95, 0
	s_and_saveexec_b32 s15, s13
.LBB93_46:                              ;   in Loop: Header=BB93_3 Depth=1
	v_mov_b32_e32 v95, v88
.LBB93_47:                              ;   in Loop: Header=BB93_3 Depth=1
	s_or_b32 exec_lo, exec_lo, s15
	v_mad_u64_u32 v[50:51], null, v59, 36, v[54:55]
	v_cmp_gt_i16_sdwa s15, v85, v73 src0_sel:BYTE_0 src1_sel:DWORD
	s_mov_b32 s13, 0
	s_clause 0x2
	global_load_dword v94, v[50:51], off offset:32
	global_load_dwordx4 v[46:49], v[50:51], off offset:16
	global_load_dwordx4 v[50:53], v[50:51], off
	s_and_saveexec_b32 s16, s15
	s_xor_b32 s15, exec_lo, s16
	s_cbranch_execnz .LBB93_70
; %bb.48:                               ;   in Loop: Header=BB93_3 Depth=1
	s_andn2_saveexec_b32 s15, s15
	s_cbranch_execnz .LBB93_71
.LBB93_49:                              ;   in Loop: Header=BB93_3 Depth=1
	s_or_b32 exec_lo, exec_lo, s15
	v_mov_b32_e32 v91, 0
	s_and_saveexec_b32 s15, s13
.LBB93_50:                              ;   in Loop: Header=BB93_3 Depth=1
	v_mov_b32_e32 v91, v86
.LBB93_51:                              ;   in Loop: Header=BB93_3 Depth=1
	s_or_b32 exec_lo, exec_lo, s15
	v_cmp_gt_i16_sdwa s15, v85, v73 src0_sel:BYTE_1 src1_sel:DWORD
	s_mov_b32 s13, 0
	s_and_saveexec_b32 s16, s15
	s_xor_b32 s15, exec_lo, s16
	s_cbranch_execnz .LBB93_72
; %bb.52:                               ;   in Loop: Header=BB93_3 Depth=1
	s_andn2_saveexec_b32 s15, s15
	s_cbranch_execnz .LBB93_73
.LBB93_53:                              ;   in Loop: Header=BB93_3 Depth=1
	s_or_b32 exec_lo, exec_lo, s15
	v_mov_b32_e32 v85, 0
	s_and_saveexec_b32 s15, s13
	s_cbranch_execz .LBB93_2
	s_branch .LBB93_74
.LBB93_54:                              ;   in Loop: Header=BB93_3 Depth=1
	v_cmp_ne_u16_sdwa s13, v85, v74 src0_sel:BYTE_0 src1_sel:DWORD
	s_and_b32 s13, s13, exec_lo
	s_andn2_saveexec_b32 s15, s15
	s_cbranch_execz .LBB93_17
.LBB93_55:                              ;   in Loop: Header=BB93_3 Depth=1
	v_cmp_ne_u16_sdwa s16, v85, v68 src0_sel:BYTE_0 src1_sel:DWORD
	s_andn2_b32 s13, s13, exec_lo
	s_and_b32 s16, s16, exec_lo
	s_or_b32 s13, s13, s16
	s_or_b32 exec_lo, exec_lo, s15
	v_mov_b32_e32 v80, 0
	s_and_saveexec_b32 s15, s13
	s_cbranch_execnz .LBB93_18
	s_branch .LBB93_19
.LBB93_56:                              ;   in Loop: Header=BB93_3 Depth=1
	v_cmp_ne_u16_sdwa s13, v85, v74 src0_sel:BYTE_1 src1_sel:DWORD
	s_and_b32 s13, s13, exec_lo
	s_andn2_saveexec_b32 s15, s15
	s_cbranch_execz .LBB93_21
.LBB93_57:                              ;   in Loop: Header=BB93_3 Depth=1
	v_cmp_ne_u16_sdwa s16, v85, v68 src0_sel:BYTE_1 src1_sel:DWORD
	s_andn2_b32 s13, s13, exec_lo
	s_and_b32 s16, s16, exec_lo
	s_or_b32 s13, s13, s16
	s_or_b32 exec_lo, exec_lo, s15
	v_mov_b32_e32 v81, 0
	s_and_saveexec_b32 s15, s13
	s_cbranch_execnz .LBB93_22
	s_branch .LBB93_23
.LBB93_58:                              ;   in Loop: Header=BB93_3 Depth=1
	v_cmp_ne_u16_sdwa s13, v85, v74 src0_sel:BYTE_0 src1_sel:DWORD
	s_and_b32 s13, s13, exec_lo
	s_andn2_saveexec_b32 s15, s15
	s_cbranch_execz .LBB93_25
.LBB93_59:                              ;   in Loop: Header=BB93_3 Depth=1
	v_cmp_ne_u16_sdwa s16, v85, v68 src0_sel:BYTE_0 src1_sel:DWORD
	s_andn2_b32 s13, s13, exec_lo
	s_and_b32 s16, s16, exec_lo
	s_or_b32 s13, s13, s16
	s_or_b32 exec_lo, exec_lo, s15
	v_mov_b32_e32 v83, 0
	s_and_saveexec_b32 s15, s13
	s_cbranch_execnz .LBB93_26
	s_branch .LBB93_27
.LBB93_60:                              ;   in Loop: Header=BB93_3 Depth=1
	v_cmp_ne_u16_sdwa s13, v85, v74 src0_sel:BYTE_1 src1_sel:DWORD
	s_and_b32 s13, s13, exec_lo
	s_andn2_saveexec_b32 s15, s15
	s_cbranch_execz .LBB93_29
.LBB93_61:                              ;   in Loop: Header=BB93_3 Depth=1
	v_cmp_ne_u16_sdwa s16, v85, v68 src0_sel:BYTE_1 src1_sel:DWORD
	s_andn2_b32 s13, s13, exec_lo
	s_and_b32 s16, s16, exec_lo
	s_or_b32 s13, s13, s16
	s_or_b32 exec_lo, exec_lo, s15
	v_mov_b32_e32 v84, 0
	s_and_saveexec_b32 s15, s13
	s_cbranch_execnz .LBB93_30
	s_branch .LBB93_31
.LBB93_62:                              ;   in Loop: Header=BB93_3 Depth=1
	v_cmp_ne_u16_sdwa s13, v85, v74 src0_sel:BYTE_0 src1_sel:DWORD
	s_and_b32 s13, s13, exec_lo
	s_andn2_saveexec_b32 s15, s15
	s_cbranch_execz .LBB93_33
.LBB93_63:                              ;   in Loop: Header=BB93_3 Depth=1
	v_cmp_ne_u16_sdwa s16, v85, v68 src0_sel:BYTE_0 src1_sel:DWORD
	s_andn2_b32 s13, s13, exec_lo
	s_and_b32 s16, s16, exec_lo
	s_or_b32 s13, s13, s16
	s_or_b32 exec_lo, exec_lo, s15
	v_mov_b32_e32 v89, 0
	s_and_saveexec_b32 s15, s13
	s_cbranch_execnz .LBB93_34
	s_branch .LBB93_35
.LBB93_64:                              ;   in Loop: Header=BB93_3 Depth=1
	v_cmp_ne_u16_sdwa s13, v85, v74 src0_sel:BYTE_1 src1_sel:DWORD
	s_and_b32 s13, s13, exec_lo
	s_andn2_saveexec_b32 s15, s15
	s_cbranch_execz .LBB93_37
.LBB93_65:                              ;   in Loop: Header=BB93_3 Depth=1
	v_cmp_ne_u16_sdwa s16, v85, v68 src0_sel:BYTE_1 src1_sel:DWORD
	s_andn2_b32 s13, s13, exec_lo
	s_and_b32 s16, s16, exec_lo
	s_or_b32 s13, s13, s16
	s_or_b32 exec_lo, exec_lo, s15
	v_mov_b32_e32 v90, 0
	s_and_saveexec_b32 s15, s13
	s_cbranch_execnz .LBB93_38
	s_branch .LBB93_39
.LBB93_66:                              ;   in Loop: Header=BB93_3 Depth=1
	v_cmp_ne_u16_sdwa s13, v85, v74 src0_sel:BYTE_0 src1_sel:DWORD
	s_and_b32 s13, s13, exec_lo
	s_andn2_saveexec_b32 s15, s15
	s_cbranch_execz .LBB93_41
.LBB93_67:                              ;   in Loop: Header=BB93_3 Depth=1
	v_cmp_ne_u16_sdwa s16, v85, v68 src0_sel:BYTE_0 src1_sel:DWORD
	s_andn2_b32 s13, s13, exec_lo
	s_and_b32 s16, s16, exec_lo
	s_or_b32 s13, s13, s16
	s_or_b32 exec_lo, exec_lo, s15
	v_mov_b32_e32 v93, 0
	s_and_saveexec_b32 s15, s13
	s_cbranch_execnz .LBB93_42
	s_branch .LBB93_43
.LBB93_68:                              ;   in Loop: Header=BB93_3 Depth=1
	v_cmp_ne_u16_sdwa s13, v85, v74 src0_sel:BYTE_1 src1_sel:DWORD
	s_and_b32 s13, s13, exec_lo
	s_andn2_saveexec_b32 s15, s15
	s_cbranch_execz .LBB93_45
.LBB93_69:                              ;   in Loop: Header=BB93_3 Depth=1
	v_cmp_ne_u16_sdwa s16, v85, v68 src0_sel:BYTE_1 src1_sel:DWORD
	s_andn2_b32 s13, s13, exec_lo
	s_and_b32 s16, s16, exec_lo
	s_or_b32 s13, s13, s16
	s_or_b32 exec_lo, exec_lo, s15
	v_mov_b32_e32 v95, 0
	s_and_saveexec_b32 s15, s13
	s_cbranch_execnz .LBB93_46
	s_branch .LBB93_47
.LBB93_70:                              ;   in Loop: Header=BB93_3 Depth=1
	v_cmp_ne_u16_sdwa s13, v85, v74 src0_sel:BYTE_0 src1_sel:DWORD
	s_and_b32 s13, s13, exec_lo
	s_andn2_saveexec_b32 s15, s15
	s_cbranch_execz .LBB93_49
.LBB93_71:                              ;   in Loop: Header=BB93_3 Depth=1
	v_cmp_ne_u16_sdwa s16, v85, v68 src0_sel:BYTE_0 src1_sel:DWORD
	s_andn2_b32 s13, s13, exec_lo
	s_and_b32 s16, s16, exec_lo
	s_or_b32 s13, s13, s16
	s_or_b32 exec_lo, exec_lo, s15
	v_mov_b32_e32 v91, 0
	s_and_saveexec_b32 s15, s13
	s_cbranch_execnz .LBB93_50
	s_branch .LBB93_51
.LBB93_72:                              ;   in Loop: Header=BB93_3 Depth=1
	v_cmp_ne_u16_sdwa s13, v85, v74 src0_sel:BYTE_1 src1_sel:DWORD
                                        ; implicit-def: $vgpr85
	s_and_b32 s13, s13, exec_lo
	s_andn2_saveexec_b32 s15, s15
	s_cbranch_execz .LBB93_53
.LBB93_73:                              ;   in Loop: Header=BB93_3 Depth=1
	v_cmp_ne_u16_sdwa s16, v85, v68 src0_sel:BYTE_1 src1_sel:DWORD
	s_andn2_b32 s13, s13, exec_lo
	s_and_b32 s16, s16, exec_lo
	s_or_b32 s13, s13, s16
	s_or_b32 exec_lo, exec_lo, s15
	v_mov_b32_e32 v85, 0
	s_and_saveexec_b32 s15, s13
	s_cbranch_execz .LBB93_2
.LBB93_74:                              ;   in Loop: Header=BB93_3 Depth=1
	v_mov_b32_e32 v85, v88
	s_branch .LBB93_2
.LBB93_75:
	s_or_b32 exec_lo, exec_lo, s1
.LBB93_76:
	s_or_b32 exec_lo, exec_lo, s9
	s_mov_b32 s1, 0
	; wave barrier
	buffer_gl0_inv
	s_mov_b32 s0, exec_lo
	v_cmpx_eq_u32_e32 0, v1
	s_cbranch_execz .LBB93_89
; %bb.77:
	v_mbcnt_lo_u32_b32 v5, -1, 0
	s_load_dwordx2 s[4:5], s[4:5], 0x38
	s_mul_i32 s0, s14, s7
	s_mul_i32 s3, s18, s8
	s_add_i32 s0, s0, s6
	v_xor_b32_e32 v1, 16, v5
	v_xor_b32_e32 v2, 8, v5
	;; [unrolled: 1-line block ×3, first 2 shown]
	s_add_i32 s0, s0, s3
	s_lshl_b64 s[0:1], s[0:1], 2
	v_cmp_gt_i32_e32 vcc_lo, 32, v1
	v_cndmask_b32_e32 v1, v5, v1, vcc_lo
	v_cmp_gt_i32_e32 vcc_lo, 32, v2
	v_lshlrev_b32_e32 v1, 2, v1
	v_cndmask_b32_e32 v2, v5, v2, vcc_lo
	s_waitcnt lgkmcnt(0)
	s_add_u32 s0, s4, s0
	s_addc_u32 s1, s5, s1
	ds_bpermute_b32 v3, v1, v66
	v_lshlrev_b32_e32 v2, 2, v2
	s_waitcnt lgkmcnt(0)
	v_add_f32_e32 v4, v66, v3
	v_xor_b32_e32 v3, 4, v5
	ds_bpermute_b32 v6, v2, v4
	v_cmp_gt_i32_e32 vcc_lo, 32, v3
	v_cndmask_b32_e32 v3, v5, v3, vcc_lo
	v_lshlrev_b32_e32 v3, 2, v3
	s_waitcnt lgkmcnt(0)
	v_add_f32_e32 v6, v4, v6
	v_xor_b32_e32 v4, 2, v5
	ds_bpermute_b32 v7, v3, v6
	v_cmp_gt_i32_e32 vcc_lo, 32, v4
	v_cndmask_b32_e32 v4, v5, v4, vcc_lo
	v_cmp_gt_i32_e32 vcc_lo, 32, v8
	v_lshlrev_b32_e32 v4, 2, v4
	v_cndmask_b32_e32 v5, v5, v8, vcc_lo
	v_cmp_eq_u32_e32 vcc_lo, 0, v0
	v_lshlrev_b32_e32 v5, 2, v5
	s_waitcnt lgkmcnt(0)
	v_add_f32_e32 v6, v6, v7
	ds_bpermute_b32 v7, v4, v6
	s_waitcnt lgkmcnt(0)
	v_add_f32_e32 v6, v6, v7
	ds_bpermute_b32 v7, v5, v6
	s_and_saveexec_b32 s3, vcc_lo
	s_cbranch_execz .LBB93_79
; %bb.78:
	s_waitcnt lgkmcnt(0)
	v_add_f32_e32 v0, v6, v7
	v_mov_b32_e32 v6, 0
	global_store_dword v6, v0, s[0:1]
.LBB93_79:
	s_or_b32 exec_lo, exec_lo, s3
	ds_bpermute_b32 v0, v1, v64
	s_waitcnt lgkmcnt(0)
	v_add_f32_e32 v0, v64, v0
	ds_bpermute_b32 v6, v2, v0
	s_waitcnt lgkmcnt(0)
	v_add_f32_e32 v0, v0, v6
	;; [unrolled: 3-line block ×4, first 2 shown]
	ds_bpermute_b32 v6, v5, v0
	s_and_saveexec_b32 s4, vcc_lo
	s_cbranch_execz .LBB93_81
; %bb.80:
	s_mov_b32 s3, 0
	s_waitcnt lgkmcnt(0)
	v_add_f32_e32 v0, v0, v6
	s_lshl_b64 s[6:7], s[2:3], 2
	v_mov_b32_e32 v6, 0
	s_add_u32 s6, s0, s6
	s_addc_u32 s7, s1, s7
	global_store_dword v6, v0, s[6:7]
.LBB93_81:
	s_or_b32 exec_lo, exec_lo, s4
	ds_bpermute_b32 v0, v1, v63
	s_waitcnt lgkmcnt(0)
	v_add_f32_e32 v0, v63, v0
	ds_bpermute_b32 v6, v2, v0
	s_waitcnt lgkmcnt(0)
	v_add_f32_e32 v0, v0, v6
	;; [unrolled: 3-line block ×4, first 2 shown]
	ds_bpermute_b32 v6, v5, v0
	s_and_saveexec_b32 s3, vcc_lo
	s_cbranch_execz .LBB93_83
; %bb.82:
	s_lshl_b32 s4, s2, 1
	s_mov_b32 s5, 0
	s_waitcnt lgkmcnt(0)
	v_add_f32_e32 v0, v0, v6
	s_lshl_b64 s[4:5], s[4:5], 2
	v_mov_b32_e32 v6, 0
	s_add_u32 s4, s0, s4
	s_addc_u32 s5, s1, s5
	global_store_dword v6, v0, s[4:5]
.LBB93_83:
	s_or_b32 exec_lo, exec_lo, s3
	ds_bpermute_b32 v0, v1, v62
	s_waitcnt lgkmcnt(0)
	v_add_f32_e32 v0, v62, v0
	ds_bpermute_b32 v6, v2, v0
	s_waitcnt lgkmcnt(0)
	v_add_f32_e32 v0, v0, v6
	;; [unrolled: 3-line block ×4, first 2 shown]
	ds_bpermute_b32 v6, v5, v0
	s_and_saveexec_b32 s3, vcc_lo
	s_cbranch_execz .LBB93_85
; %bb.84:
	s_mul_i32 s4, s2, 3
	s_mov_b32 s5, 0
	s_waitcnt lgkmcnt(0)
	v_add_f32_e32 v0, v0, v6
	s_lshl_b64 s[4:5], s[4:5], 2
	v_mov_b32_e32 v6, 0
	s_add_u32 s4, s0, s4
	s_addc_u32 s5, s1, s5
	global_store_dword v6, v0, s[4:5]
.LBB93_85:
	s_or_b32 exec_lo, exec_lo, s3
	ds_bpermute_b32 v0, v1, v61
	s_waitcnt lgkmcnt(0)
	v_add_f32_e32 v0, v61, v0
	ds_bpermute_b32 v6, v2, v0
	s_waitcnt lgkmcnt(0)
	v_add_f32_e32 v0, v0, v6
	;; [unrolled: 3-line block ×4, first 2 shown]
	ds_bpermute_b32 v6, v5, v0
	s_and_saveexec_b32 s3, vcc_lo
	s_cbranch_execz .LBB93_87
; %bb.86:
	s_lshl_b32 s4, s2, 2
	s_mov_b32 s5, 0
	s_waitcnt lgkmcnt(0)
	v_add_f32_e32 v0, v0, v6
	s_lshl_b64 s[4:5], s[4:5], 2
	v_mov_b32_e32 v6, 0
	s_add_u32 s4, s0, s4
	s_addc_u32 s5, s1, s5
	global_store_dword v6, v0, s[4:5]
.LBB93_87:
	s_or_b32 exec_lo, exec_lo, s3
	ds_bpermute_b32 v0, v1, v60
	s_waitcnt lgkmcnt(0)
	v_add_f32_e32 v0, v60, v0
	ds_bpermute_b32 v1, v2, v0
	s_waitcnt lgkmcnt(0)
	v_add_f32_e32 v0, v0, v1
	;; [unrolled: 3-line block ×4, first 2 shown]
	ds_bpermute_b32 v1, v5, v0
	s_and_b32 exec_lo, exec_lo, vcc_lo
	s_cbranch_execz .LBB93_89
; %bb.88:
	s_mul_i32 s2, s2, 5
	s_mov_b32 s3, 0
	s_waitcnt lgkmcnt(0)
	v_add_f32_e32 v0, v0, v1
	s_lshl_b64 s[2:3], s[2:3], 2
	v_mov_b32_e32 v1, 0
	s_add_u32 s0, s0, s2
	s_addc_u32 s1, s1, s3
	global_store_dword v1, v0, s[0:1]
.LBB93_89:
	s_endpgm
	.section	.rodata,"a",@progbits
	.p2align	6, 0x0
	.amdhsa_kernel _ZL13mul_mat_vec_qIL9ggml_type40ELi6ELb0ELb0EEvPKvS2_PKi31ggml_cuda_mm_fusion_args_devicePfj15HIP_vector_typeIjLj3EEjjjS8_jjjS8_jjjj
		.amdhsa_group_segment_fixed_size 0
		.amdhsa_private_segment_fixed_size 0
		.amdhsa_kernarg_size 144
		.amdhsa_user_sgpr_count 6
		.amdhsa_user_sgpr_private_segment_buffer 1
		.amdhsa_user_sgpr_dispatch_ptr 0
		.amdhsa_user_sgpr_queue_ptr 0
		.amdhsa_user_sgpr_kernarg_segment_ptr 1
		.amdhsa_user_sgpr_dispatch_id 0
		.amdhsa_user_sgpr_flat_scratch_init 0
		.amdhsa_user_sgpr_private_segment_size 0
		.amdhsa_wavefront_size32 1
		.amdhsa_uses_dynamic_stack 0
		.amdhsa_system_sgpr_private_segment_wavefront_offset 0
		.amdhsa_system_sgpr_workgroup_id_x 1
		.amdhsa_system_sgpr_workgroup_id_y 1
		.amdhsa_system_sgpr_workgroup_id_z 1
		.amdhsa_system_sgpr_workgroup_info 0
		.amdhsa_system_vgpr_workitem_id 1
		.amdhsa_next_free_vgpr 110
		.amdhsa_next_free_sgpr 28
		.amdhsa_reserve_vcc 1
		.amdhsa_reserve_flat_scratch 0
		.amdhsa_float_round_mode_32 0
		.amdhsa_float_round_mode_16_64 0
		.amdhsa_float_denorm_mode_32 3
		.amdhsa_float_denorm_mode_16_64 3
		.amdhsa_dx10_clamp 1
		.amdhsa_ieee_mode 1
		.amdhsa_fp16_overflow 0
		.amdhsa_workgroup_processor_mode 1
		.amdhsa_memory_ordered 1
		.amdhsa_forward_progress 1
		.amdhsa_shared_vgpr_count 0
		.amdhsa_exception_fp_ieee_invalid_op 0
		.amdhsa_exception_fp_denorm_src 0
		.amdhsa_exception_fp_ieee_div_zero 0
		.amdhsa_exception_fp_ieee_overflow 0
		.amdhsa_exception_fp_ieee_underflow 0
		.amdhsa_exception_fp_ieee_inexact 0
		.amdhsa_exception_int_div_zero 0
	.end_amdhsa_kernel
	.section	.text._ZL13mul_mat_vec_qIL9ggml_type40ELi6ELb0ELb0EEvPKvS2_PKi31ggml_cuda_mm_fusion_args_devicePfj15HIP_vector_typeIjLj3EEjjjS8_jjjS8_jjjj,"axG",@progbits,_ZL13mul_mat_vec_qIL9ggml_type40ELi6ELb0ELb0EEvPKvS2_PKi31ggml_cuda_mm_fusion_args_devicePfj15HIP_vector_typeIjLj3EEjjjS8_jjjS8_jjjj,comdat
.Lfunc_end93:
	.size	_ZL13mul_mat_vec_qIL9ggml_type40ELi6ELb0ELb0EEvPKvS2_PKi31ggml_cuda_mm_fusion_args_devicePfj15HIP_vector_typeIjLj3EEjjjS8_jjjS8_jjjj, .Lfunc_end93-_ZL13mul_mat_vec_qIL9ggml_type40ELi6ELb0ELb0EEvPKvS2_PKi31ggml_cuda_mm_fusion_args_devicePfj15HIP_vector_typeIjLj3EEjjjS8_jjjS8_jjjj
                                        ; -- End function
	.set _ZL13mul_mat_vec_qIL9ggml_type40ELi6ELb0ELb0EEvPKvS2_PKi31ggml_cuda_mm_fusion_args_devicePfj15HIP_vector_typeIjLj3EEjjjS8_jjjS8_jjjj.num_vgpr, 110
	.set _ZL13mul_mat_vec_qIL9ggml_type40ELi6ELb0ELb0EEvPKvS2_PKi31ggml_cuda_mm_fusion_args_devicePfj15HIP_vector_typeIjLj3EEjjjS8_jjjS8_jjjj.num_agpr, 0
	.set _ZL13mul_mat_vec_qIL9ggml_type40ELi6ELb0ELb0EEvPKvS2_PKi31ggml_cuda_mm_fusion_args_devicePfj15HIP_vector_typeIjLj3EEjjjS8_jjjS8_jjjj.numbered_sgpr, 28
	.set _ZL13mul_mat_vec_qIL9ggml_type40ELi6ELb0ELb0EEvPKvS2_PKi31ggml_cuda_mm_fusion_args_devicePfj15HIP_vector_typeIjLj3EEjjjS8_jjjS8_jjjj.num_named_barrier, 0
	.set _ZL13mul_mat_vec_qIL9ggml_type40ELi6ELb0ELb0EEvPKvS2_PKi31ggml_cuda_mm_fusion_args_devicePfj15HIP_vector_typeIjLj3EEjjjS8_jjjS8_jjjj.private_seg_size, 0
	.set _ZL13mul_mat_vec_qIL9ggml_type40ELi6ELb0ELb0EEvPKvS2_PKi31ggml_cuda_mm_fusion_args_devicePfj15HIP_vector_typeIjLj3EEjjjS8_jjjS8_jjjj.uses_vcc, 1
	.set _ZL13mul_mat_vec_qIL9ggml_type40ELi6ELb0ELb0EEvPKvS2_PKi31ggml_cuda_mm_fusion_args_devicePfj15HIP_vector_typeIjLj3EEjjjS8_jjjS8_jjjj.uses_flat_scratch, 0
	.set _ZL13mul_mat_vec_qIL9ggml_type40ELi6ELb0ELb0EEvPKvS2_PKi31ggml_cuda_mm_fusion_args_devicePfj15HIP_vector_typeIjLj3EEjjjS8_jjjS8_jjjj.has_dyn_sized_stack, 0
	.set _ZL13mul_mat_vec_qIL9ggml_type40ELi6ELb0ELb0EEvPKvS2_PKi31ggml_cuda_mm_fusion_args_devicePfj15HIP_vector_typeIjLj3EEjjjS8_jjjS8_jjjj.has_recursion, 0
	.set _ZL13mul_mat_vec_qIL9ggml_type40ELi6ELb0ELb0EEvPKvS2_PKi31ggml_cuda_mm_fusion_args_devicePfj15HIP_vector_typeIjLj3EEjjjS8_jjjS8_jjjj.has_indirect_call, 0
	.section	.AMDGPU.csdata,"",@progbits
; Kernel info:
; codeLenInByte = 3980
; TotalNumSgprs: 30
; NumVgprs: 110
; ScratchSize: 0
; MemoryBound: 0
; FloatMode: 240
; IeeeMode: 1
; LDSByteSize: 0 bytes/workgroup (compile time only)
; SGPRBlocks: 0
; VGPRBlocks: 13
; NumSGPRsForWavesPerEU: 30
; NumVGPRsForWavesPerEU: 110
; Occupancy: 9
; WaveLimiterHint : 0
; COMPUTE_PGM_RSRC2:SCRATCH_EN: 0
; COMPUTE_PGM_RSRC2:USER_SGPR: 6
; COMPUTE_PGM_RSRC2:TRAP_HANDLER: 0
; COMPUTE_PGM_RSRC2:TGID_X_EN: 1
; COMPUTE_PGM_RSRC2:TGID_Y_EN: 1
; COMPUTE_PGM_RSRC2:TGID_Z_EN: 1
; COMPUTE_PGM_RSRC2:TIDIG_COMP_CNT: 1
	.section	.text._ZL13mul_mat_vec_qIL9ggml_type40ELi7ELb0ELb0EEvPKvS2_PKi31ggml_cuda_mm_fusion_args_devicePfj15HIP_vector_typeIjLj3EEjjjS8_jjjS8_jjjj,"axG",@progbits,_ZL13mul_mat_vec_qIL9ggml_type40ELi7ELb0ELb0EEvPKvS2_PKi31ggml_cuda_mm_fusion_args_devicePfj15HIP_vector_typeIjLj3EEjjjS8_jjjS8_jjjj,comdat
	.globl	_ZL13mul_mat_vec_qIL9ggml_type40ELi7ELb0ELb0EEvPKvS2_PKi31ggml_cuda_mm_fusion_args_devicePfj15HIP_vector_typeIjLj3EEjjjS8_jjjS8_jjjj ; -- Begin function _ZL13mul_mat_vec_qIL9ggml_type40ELi7ELb0ELb0EEvPKvS2_PKi31ggml_cuda_mm_fusion_args_devicePfj15HIP_vector_typeIjLj3EEjjjS8_jjjS8_jjjj
	.p2align	8
	.type	_ZL13mul_mat_vec_qIL9ggml_type40ELi7ELb0ELb0EEvPKvS2_PKi31ggml_cuda_mm_fusion_args_devicePfj15HIP_vector_typeIjLj3EEjjjS8_jjjS8_jjjj,@function
_ZL13mul_mat_vec_qIL9ggml_type40ELi7ELb0ELb0EEvPKvS2_PKi31ggml_cuda_mm_fusion_args_devicePfj15HIP_vector_typeIjLj3EEjjjS8_jjjS8_jjjj: ; @_ZL13mul_mat_vec_qIL9ggml_type40ELi7ELb0ELb0EEvPKvS2_PKi31ggml_cuda_mm_fusion_args_devicePfj15HIP_vector_typeIjLj3EEjjjS8_jjjS8_jjjj
; %bb.0:
	s_clause 0x5
	s_load_dwordx4 s[16:19], s[4:5], 0x80
	s_load_dword s9, s[4:5], 0x40
	s_load_dwordx4 s[0:3], s[4:5], 0x50
	s_load_dword s11, s[4:5], 0x60
	;; [unrolled: 2-line block ×3, first 2 shown]
	v_lshl_or_b32 v2, v1, 5, v0
	v_mov_b32_e32 v69, 0
	v_mov_b32_e32 v70, 0
	;; [unrolled: 1-line block ×4, first 2 shown]
	v_lshrrev_b16 v3, 1, v2
	v_mov_b32_e32 v73, 0
	v_mov_b32_e32 v74, 0
	;; [unrolled: 1-line block ×3, first 2 shown]
	v_and_b32_e32 v75, 0xffff, v3
	s_waitcnt lgkmcnt(0)
	s_lshr_b32 s10, s9, 6
	s_mov_b32 s9, exec_lo
	v_cmpx_gt_u32_e64 s10, v75
	s_cbranch_execz .LBB94_88
; %bb.1:
	v_lshrrev_b32_e32 v2, 1, v2
	s_mul_i32 s13, s13, s7
	s_load_dwordx4 s[20:23], s[4:5], 0x0
	s_mul_hi_u32 s27, s13, 36
	s_mul_i32 s26, s13, 36
	s_mul_i32 s17, s17, s8
	v_mad_u64_u32 v[2:3], null, 0x48, v2, s[26:27]
	v_lshlrev_b32_e32 v4, 2, v0
	v_and_b32_e32 v5, 1, v0
	s_mul_i32 s19, s17, 36
	s_mul_hi_u32 s13, s15, s8
	s_mul_hi_u32 s15, s17, 36
	v_and_b32_e32 v6, 4, v4
	v_mad_u64_u32 v[2:3], null, s17, 36, v[2:3]
	v_lshlrev_b32_e32 v4, 1, v75
	s_mul_hi_u32 s3, s3, s7
	s_mul_i32 s0, s0, s6
	v_lshrrev_b32_e32 v77, 1, v6
	v_mov_b32_e32 v78, 0
	v_mad_u64_u32 v[66:67], null, s1, 3, v[4:5]
	v_mad_u64_u32 v[2:3], null, v5, 36, v[2:3]
	s_waitcnt lgkmcnt(0)
	s_add_u32 s17, s22, s19
	s_addc_u32 s15, s23, s15
	s_add_u32 s26, s17, s26
	s_addc_u32 s27, s15, s27
	s_add_i32 s3, s7, s3
	v_mad_u64_u32 v[67:68], null, s1, 5, v[4:5]
	s_add_i32 s13, s8, s13
	s_lshr_b32 s3, s3, s11
	v_mad_u64_u32 v[62:63], null, v5, 36, s[26:27]
	v_mad_u64_u32 v[68:69], null, s1, 6, v[4:5]
	v_add_co_u32 v64, vcc_lo, s22, v2
	s_lshr_b32 s11, s13, s24
	s_mul_i32 s3, s3, s12
	v_add_lshl_u32 v79, s1, v75, 1
	v_add_co_ci_u32_e64 v65, null, s23, v3, vcc_lo
	v_lshl_add_u32 v80, s1, 2, v4
	v_add_nc_u32_e32 v81, s1, v4
	v_lshlrev_b32_e32 v82, 2, v6
	v_mov_b32_e32 v83, 0x7e
	v_mov_b32_e32 v84, 0x7f
	;; [unrolled: 1-line block ×10, first 2 shown]
	s_mul_i32 s11, s11, s16
	s_add_i32 s3, s3, s0
	s_mov_b32 s1, 0
	s_add_i32 s0, s11, s3
	s_mov_b32 s3, 0xf4f8fafc
	s_mov_b32 s11, 0xc080604
	;; [unrolled: 1-line block ×3, first 2 shown]
	s_branch .LBB94_3
.LBB94_2:                               ;   in Loop: Header=BB94_3 Depth=1
	s_or_b32 exec_lo, exec_lo, s15
	s_waitcnt vmcnt(21)
	v_ashrrev_i32_e32 v99, 4, v20
	v_and_b32_e32 v100, 0x7070707, v21
	v_lshrrev_b32_e32 v109, 1, v21
	v_ashrrev_i32_e32 v114, 4, v19
	v_and_b32_e32 v110, 0x7070707, v20
	v_and_b32_e32 v111, 0x7070707, v99
	v_perm_b32 v112, s3, 0xfdfeff00, v100
	v_lshrrev_b32_e32 v99, 1, v99
	v_perm_b32 v100, s11, 0x3020100, v100
	v_and_or_b32 v109, v109, s12, 0x3020100
	v_perm_b32 v113, s3, 0xfdfeff00, v111
	v_perm_b32 v111, s11, 0x3020100, v111
	v_and_or_b32 v99, v99, s12, 0x3020100
	v_lshrrev_b32_e32 v20, 1, v20
	v_perm_b32 v100, v112, v100, v109
	v_and_b32_e32 v112, 0x7070707, v114
	v_lshrrev_b32_e32 v114, 1, v114
	v_perm_b32 v109, s3, 0xfdfeff00, v110
	v_perm_b32 v110, s11, 0x3020100, v110
	v_and_or_b32 v20, v20, s12, 0x3020100
	v_perm_b32 v99, v113, v111, v99
	v_perm_b32 v111, s3, 0xfdfeff00, v112
	;; [unrolled: 1-line block ×3, first 2 shown]
	v_and_or_b32 v113, v114, s12, 0x3020100
	v_perm_b32 v20, v109, v110, v20
	v_ashrrev_i32_e32 v110, 4, v18
	v_and_b32_e32 v109, 0x7070707, v19
	v_lshrrev_b32_e32 v19, 1, v19
	v_perm_b32 v111, v111, v112, v113
	v_and_b32_e32 v112, 0x7070707, v18
	v_lshrrev_b32_e32 v18, 1, v18
	v_and_b32_e32 v114, 0x7070707, v110
	v_lshrrev_b32_e32 v110, 1, v110
	v_perm_b32 v113, s3, 0xfdfeff00, v109
	v_perm_b32 v115, s3, 0xfdfeff00, v112
	;; [unrolled: 1-line block ×3, first 2 shown]
	v_and_or_b32 v18, v18, s12, 0x3020100
	v_perm_b32 v116, s3, 0xfdfeff00, v114
	v_perm_b32 v114, s11, 0x3020100, v114
	v_and_or_b32 v110, v110, s12, 0x3020100
	v_perm_b32 v109, s11, 0x3020100, v109
	v_perm_b32 v18, v115, v112, v18
	v_mov_b32_e32 v112, 0
	v_and_or_b32 v19, v19, s12, 0x3020100
	v_perm_b32 v110, v116, v114, v110
	v_ashrrev_i32_e32 v21, 4, v21
	s_waitcnt vmcnt(3)
	v_cvt_f32_f16_e32 v46, v46
	v_dot4c_i32_i8 v112, v18, v47
	v_perm_b32 v19, v113, v109, v19
	v_mov_b32_e32 v114, 0
	v_and_b32_e32 v47, 0x7070707, v21
	v_lshrrev_b32_e32 v21, 1, v21
	v_dot4c_i32_i8 v112, v110, v49
	v_cvt_f32_f16_e32 v38, v38
	v_dot4c_i32_i8 v114, v20, v51
	v_perm_b32 v49, s3, 0xfdfeff00, v47
	v_perm_b32 v47, s11, 0x3020100, v47
	v_dot4c_i32_i8 v112, v19, v48
	v_and_or_b32 v21, v21, s12, 0x3020100
	v_mul_f32_e32 v48, v106, v46
	v_dot4c_i32_i8 v114, v99, v53
	v_cvt_f32_f16_e32 v22, v22
	v_dot4c_i32_i8 v112, v111, v50
	v_perm_b32 v21, v49, v47, v21
	v_mov_b32_e32 v49, 0
	v_dot4c_i32_i8 v114, v100, v52
	v_mov_b32_e32 v50, 0
	v_cvt_f32_i32_e32 v47, v112
	v_mov_b32_e32 v52, 0
	s_waitcnt vmcnt(0)
	v_dot4c_i32_i8 v49, v18, v55
	v_dot4c_i32_i8 v114, v21, v105
	;; [unrolled: 1-line block ×3, first 2 shown]
	v_fma_f32 v47, v48, v47, 0
	v_mov_b32_e32 v48, 0
	v_dot4c_i32_i8 v49, v110, v57
	v_dot4c_i32_i8 v52, v20, v43
	;; [unrolled: 1-line block ×3, first 2 shown]
	v_cvt_f32_i32_e32 v51, v114
	v_dot4c_i32_i8 v48, v18, v39
	v_dot4c_i32_i8 v49, v19, v56
	;; [unrolled: 1-line block ×4, first 2 shown]
	v_cvt_f32_f16_e32 v39, v54
	v_dot4c_i32_i8 v48, v110, v41
	v_mov_b32_e32 v41, 0
	v_dot4c_i32_i8 v49, v111, v58
	v_dot4c_i32_i8 v52, v100, v44
	;; [unrolled: 1-line block ×5, first 2 shown]
	v_cvt_f32_i32_e32 v40, v49
	v_dot4c_i32_i8 v52, v21, v101
	v_mul_f32_e32 v31, v102, v38
	v_dot4c_i32_i8 v48, v111, v42
	v_mov_b32_e32 v42, 0
	v_dot4c_i32_i8 v41, v110, v33
	v_mul_f32_e32 v46, v108, v46
	v_cvt_f32_i32_e32 v44, v50
	v_cvt_f32_i32_e32 v43, v48
	v_dot4c_i32_i8 v42, v20, v35
	v_dot4c_i32_i8 v41, v19, v32
	v_mov_b32_e32 v32, 0
	v_cvt_f32_i32_e32 v35, v52
	v_fma_f32 v31, v31, v43, 0
	v_dot4c_i32_i8 v42, v99, v37
	v_mov_b32_e32 v37, 0
	v_dot4c_i32_i8 v41, v111, v34
	v_dot4c_i32_i8 v32, v20, v27
	v_mul_f32_e32 v33, v103, v38
	v_dot4c_i32_i8 v42, v100, v36
	v_dot4c_i32_i8 v37, v18, v23
	v_cvt_f32_f16_e32 v23, v30
	v_dot4c_i32_i8 v32, v99, v29
	v_mov_b32_e32 v29, 0
	v_dot4c_i32_i8 v42, v21, v95
	v_dot4c_i32_i8 v37, v110, v25
	v_cvt_f32_i32_e32 v25, v41
	v_mul_f32_e32 v27, v96, v23
	v_dot4c_i32_i8 v29, v18, v7
	v_dot4c_i32_i8 v32, v100, v28
	;; [unrolled: 1-line block ×3, first 2 shown]
	v_cvt_f32_i32_e32 v24, v42
	v_fma_f32 v25, v27, v25, 0
	v_mov_b32_e32 v27, 0
	v_dot4c_i32_i8 v29, v110, v9
	v_dot4c_i32_i8 v37, v111, v26
	v_mov_b32_e32 v26, 0
	v_dot4c_i32_i8 v32, v21, v92
	v_dot4c_i32_i8 v27, v20, v15
	;; [unrolled: 1-line block ×3, first 2 shown]
	v_cvt_f32_i32_e32 v28, v37
	v_dot4c_i32_i8 v26, v18, v11
	v_mul_f32_e32 v15, v93, v22
	v_dot4c_i32_i8 v27, v99, v17
	v_dot4c_i32_i8 v29, v111, v2
	v_cvt_f32_f16_e32 v2, v6
	v_dot4c_i32_i8 v26, v110, v13
	v_mov_b32_e32 v13, 0
	v_dot4c_i32_i8 v27, v100, v16
	v_cvt_f32_i32_e32 v9, v29
	v_mul_f32_e32 v23, v98, v23
	v_dot4c_i32_i8 v26, v19, v12
	v_dot4c_i32_i8 v13, v20, v3
	;; [unrolled: 1-line block ×3, first 2 shown]
	v_cvt_f32_i32_e32 v11, v32
	v_fma_f32 v7, v15, v28, 0
	v_dot4c_i32_i8 v26, v111, v14
	v_dot4c_i32_i8 v13, v99, v5
	v_cvt_f32_f16_e32 v5, v10
	v_mul_f32_e32 v10, v87, v2
	v_mul_f32_e32 v3, v94, v22
	v_cvt_f32_i32_e32 v8, v26
	v_dot4c_i32_i8 v13, v100, v4
	v_mul_f32_e32 v4, v90, v5
	v_cvt_f32_i32_e32 v6, v27
	v_mul_f32_e32 v5, v91, v5
	v_fma_f32 v9, v10, v9, 0
	v_dot4c_i32_i8 v13, v21, v86
	v_fma_f32 v4, v4, v8, 0
	v_mul_f32_e32 v8, v104, v39
	v_mul_f32_e32 v2, v88, v2
	;; [unrolled: 1-line block ×3, first 2 shown]
	v_cvt_f32_i32_e32 v12, v13
	v_add_nc_u32_e32 v75, 16, v75
	v_fma_f32 v8, v8, v40, 0
	v_fmac_f32_e32 v47, v46, v51
	v_fmac_f32_e32 v31, v33, v35
	;; [unrolled: 1-line block ×7, first 2 shown]
	v_add_co_u32 v64, vcc_lo, 0x480, v64
	v_add_co_ci_u32_e64 v65, null, 0, v65, vcc_lo
	v_cmp_le_u32_e32 vcc_lo, s10, v75
	v_add_f32_e32 v70, v70, v47
	v_add_f32_e32 v71, v71, v31
	;; [unrolled: 1-line block ×7, first 2 shown]
	v_add_nc_u32_e32 v79, 32, v79
	v_add_nc_u32_e32 v66, 32, v66
	;; [unrolled: 1-line block ×6, first 2 shown]
	s_or_b32 s1, vcc_lo, s1
	s_andn2_b32 exec_lo, exec_lo, s1
	s_cbranch_execz .LBB94_87
.LBB94_3:                               ; =>This Inner Loop Header: Depth=1
	v_add_nc_u32_e32 v2, s0, v75
	s_mov_b32 s13, 0
	v_mad_i64_i32 v[2:3], null, v2, 36, s[20:21]
	v_add_co_u32 v4, vcc_lo, v2, v77
	v_add_co_ci_u32_e64 v5, null, 0, v3, vcc_lo
	v_add_co_u32 v2, vcc_lo, v2, v82
	v_add_co_ci_u32_e64 v3, null, 0, v3, vcc_lo
	s_clause 0x1
	global_load_ushort v97, v[4:5], off
	global_load_dwordx4 v[18:21], v[2:3], off offset:4
	s_clause 0x2
	global_load_dword v86, v[64:65], off offset:32
	global_load_dwordx4 v[2:5], v[64:65], off offset:16
	global_load_dwordx4 v[6:9], v[64:65], off
	s_waitcnt vmcnt(4)
	v_bfe_u32 v10, v97, 3, 4
	v_cmp_gt_i16_sdwa s15, v97, v83 src0_sel:BYTE_0 src1_sel:DWORD
	v_cmp_eq_u32_e32 vcc_lo, 0, v10
	s_and_saveexec_b32 s16, s15
	s_xor_b32 s15, exec_lo, s16
; %bb.4:                                ;   in Loop: Header=BB94_3 Depth=1
	v_cmp_ne_u16_sdwa s13, v97, v84 src0_sel:BYTE_0 src1_sel:DWORD
	s_and_b32 s13, s13, exec_lo
; %bb.5:                                ;   in Loop: Header=BB94_3 Depth=1
	s_andn2_saveexec_b32 s15, s15
; %bb.6:                                ;   in Loop: Header=BB94_3 Depth=1
	v_cmp_ne_u16_sdwa s16, v97, v78 src0_sel:BYTE_0 src1_sel:DWORD
	s_andn2_b32 s13, s13, exec_lo
	s_and_b32 s16, s16, exec_lo
	s_or_b32 s13, s13, s16
; %bb.7:                                ;   in Loop: Header=BB94_3 Depth=1
	s_or_b32 exec_lo, exec_lo, s15
	v_and_b32_e32 v11, 7, v97
	v_add_nc_u32_e32 v10, -7, v10
	v_mov_b32_e32 v87, 0
	v_cvt_f32_ubyte0_e32 v11, v11
	v_cndmask_b32_e64 v10, v10, -9, vcc_lo
	v_fma_f32 v12, 0x3e000000, v11, 1.0
	v_cndmask_b32_e32 v11, v12, v11, vcc_lo
	v_ldexp_f32 v10, v11, v10
	v_mul_f32_e32 v99, 0.5, v10
	s_and_saveexec_b32 s15, s13
; %bb.8:                                ;   in Loop: Header=BB94_3 Depth=1
	v_mov_b32_e32 v87, v99
; %bb.9:                                ;   in Loop: Header=BB94_3 Depth=1
	s_or_b32 exec_lo, exec_lo, s15
	v_and_b32_sdwa v11, v85, v97 dst_sel:DWORD dst_unused:UNUSED_PAD src0_sel:DWORD src1_sel:BYTE_1
	v_cmp_gt_i16_sdwa s15, v97, v83 src0_sel:BYTE_1 src1_sel:DWORD
	s_mov_b32 s13, 0
	v_bfe_u32 v10, v11, 3, 4
	v_cmp_eq_u32_e32 vcc_lo, 0, v10
	s_and_saveexec_b32 s16, s15
	s_xor_b32 s15, exec_lo, s16
; %bb.10:                               ;   in Loop: Header=BB94_3 Depth=1
	v_cmp_ne_u16_sdwa s13, v97, v84 src0_sel:BYTE_1 src1_sel:DWORD
	s_and_b32 s13, s13, exec_lo
; %bb.11:                               ;   in Loop: Header=BB94_3 Depth=1
	s_andn2_saveexec_b32 s15, s15
; %bb.12:                               ;   in Loop: Header=BB94_3 Depth=1
	v_cmp_ne_u16_sdwa s16, v97, v78 src0_sel:BYTE_1 src1_sel:DWORD
	s_andn2_b32 s13, s13, exec_lo
	s_and_b32 s16, s16, exec_lo
	s_or_b32 s13, s13, s16
; %bb.13:                               ;   in Loop: Header=BB94_3 Depth=1
	s_or_b32 exec_lo, exec_lo, s15
	v_and_b32_e32 v11, 7, v11
	v_add_nc_u32_e32 v10, -7, v10
	v_mov_b32_e32 v88, 0
	v_cvt_f32_ubyte0_e32 v11, v11
	v_cndmask_b32_e64 v10, v10, -9, vcc_lo
	v_fma_f32 v12, 0x3e000000, v11, 1.0
	v_cndmask_b32_e32 v11, v12, v11, vcc_lo
	v_ldexp_f32 v10, v11, v10
	v_mul_f32_e32 v100, 0.5, v10
	s_and_saveexec_b32 s15, s13
; %bb.14:                               ;   in Loop: Header=BB94_3 Depth=1
	v_mov_b32_e32 v88, v100
; %bb.15:                               ;   in Loop: Header=BB94_3 Depth=1
	s_or_b32 exec_lo, exec_lo, s15
	v_mad_u64_u32 v[10:11], null, v81, 36, v[62:63]
	v_cmp_gt_i16_sdwa s15, v97, v83 src0_sel:BYTE_0 src1_sel:DWORD
	s_mov_b32 s13, 0
	s_clause 0x2
	global_load_dword v89, v[10:11], off offset:32
	global_load_dwordx4 v[14:17], v[10:11], off offset:16
	global_load_dwordx4 v[10:13], v[10:11], off
	s_and_saveexec_b32 s16, s15
	s_xor_b32 s15, exec_lo, s16
	s_cbranch_execnz .LBB94_62
; %bb.16:                               ;   in Loop: Header=BB94_3 Depth=1
	s_andn2_saveexec_b32 s15, s15
	s_cbranch_execnz .LBB94_63
.LBB94_17:                              ;   in Loop: Header=BB94_3 Depth=1
	s_or_b32 exec_lo, exec_lo, s15
	v_mov_b32_e32 v90, 0
	s_and_saveexec_b32 s15, s13
.LBB94_18:                              ;   in Loop: Header=BB94_3 Depth=1
	v_mov_b32_e32 v90, v99
.LBB94_19:                              ;   in Loop: Header=BB94_3 Depth=1
	s_or_b32 exec_lo, exec_lo, s15
	v_cmp_gt_i16_sdwa s15, v97, v83 src0_sel:BYTE_1 src1_sel:DWORD
	s_mov_b32 s13, 0
	s_and_saveexec_b32 s16, s15
	s_xor_b32 s15, exec_lo, s16
	s_cbranch_execnz .LBB94_64
; %bb.20:                               ;   in Loop: Header=BB94_3 Depth=1
	s_andn2_saveexec_b32 s15, s15
	s_cbranch_execnz .LBB94_65
.LBB94_21:                              ;   in Loop: Header=BB94_3 Depth=1
	s_or_b32 exec_lo, exec_lo, s15
	v_mov_b32_e32 v91, 0
	s_and_saveexec_b32 s15, s13
.LBB94_22:                              ;   in Loop: Header=BB94_3 Depth=1
	v_mov_b32_e32 v91, v100
.LBB94_23:                              ;   in Loop: Header=BB94_3 Depth=1
	s_or_b32 exec_lo, exec_lo, s15
	v_mad_u64_u32 v[22:23], null, v79, 36, v[62:63]
	v_cmp_gt_i16_sdwa s15, v97, v83 src0_sel:BYTE_0 src1_sel:DWORD
	s_mov_b32 s13, 0
	s_clause 0x2
	global_load_dword v92, v[22:23], off offset:32
	global_load_dwordx4 v[26:29], v[22:23], off offset:16
	global_load_dwordx4 v[22:25], v[22:23], off
	s_and_saveexec_b32 s16, s15
	s_xor_b32 s15, exec_lo, s16
	s_cbranch_execnz .LBB94_66
; %bb.24:                               ;   in Loop: Header=BB94_3 Depth=1
	s_andn2_saveexec_b32 s15, s15
	s_cbranch_execnz .LBB94_67
.LBB94_25:                              ;   in Loop: Header=BB94_3 Depth=1
	s_or_b32 exec_lo, exec_lo, s15
	v_mov_b32_e32 v93, 0
	s_and_saveexec_b32 s15, s13
.LBB94_26:                              ;   in Loop: Header=BB94_3 Depth=1
	v_mov_b32_e32 v93, v99
.LBB94_27:                              ;   in Loop: Header=BB94_3 Depth=1
	s_or_b32 exec_lo, exec_lo, s15
	v_cmp_gt_i16_sdwa s15, v97, v83 src0_sel:BYTE_1 src1_sel:DWORD
	s_mov_b32 s13, 0
	s_and_saveexec_b32 s16, s15
	s_xor_b32 s15, exec_lo, s16
	s_cbranch_execnz .LBB94_68
; %bb.28:                               ;   in Loop: Header=BB94_3 Depth=1
	s_andn2_saveexec_b32 s15, s15
	s_cbranch_execnz .LBB94_69
.LBB94_29:                              ;   in Loop: Header=BB94_3 Depth=1
	s_or_b32 exec_lo, exec_lo, s15
	v_mov_b32_e32 v94, 0
	s_and_saveexec_b32 s15, s13
.LBB94_30:                              ;   in Loop: Header=BB94_3 Depth=1
	v_mov_b32_e32 v94, v100
.LBB94_31:                              ;   in Loop: Header=BB94_3 Depth=1
	s_or_b32 exec_lo, exec_lo, s15
	v_mad_u64_u32 v[30:31], null, v66, 36, v[62:63]
	v_cmp_gt_i16_sdwa s15, v97, v83 src0_sel:BYTE_0 src1_sel:DWORD
	s_mov_b32 s13, 0
	s_clause 0x2
	global_load_dword v95, v[30:31], off offset:32
	global_load_dwordx4 v[34:37], v[30:31], off offset:16
	global_load_dwordx4 v[30:33], v[30:31], off
	s_and_saveexec_b32 s16, s15
	s_xor_b32 s15, exec_lo, s16
	s_cbranch_execnz .LBB94_70
; %bb.32:                               ;   in Loop: Header=BB94_3 Depth=1
	s_andn2_saveexec_b32 s15, s15
	s_cbranch_execnz .LBB94_71
.LBB94_33:                              ;   in Loop: Header=BB94_3 Depth=1
	s_or_b32 exec_lo, exec_lo, s15
	v_mov_b32_e32 v96, 0
	s_and_saveexec_b32 s15, s13
.LBB94_34:                              ;   in Loop: Header=BB94_3 Depth=1
	v_mov_b32_e32 v96, v99
.LBB94_35:                              ;   in Loop: Header=BB94_3 Depth=1
	s_or_b32 exec_lo, exec_lo, s15
	v_cmp_gt_i16_sdwa s15, v97, v83 src0_sel:BYTE_1 src1_sel:DWORD
	s_mov_b32 s13, 0
	s_and_saveexec_b32 s16, s15
	s_xor_b32 s15, exec_lo, s16
	s_cbranch_execnz .LBB94_72
; %bb.36:                               ;   in Loop: Header=BB94_3 Depth=1
	s_andn2_saveexec_b32 s15, s15
	s_cbranch_execnz .LBB94_73
.LBB94_37:                              ;   in Loop: Header=BB94_3 Depth=1
	s_or_b32 exec_lo, exec_lo, s15
	v_mov_b32_e32 v98, 0
	s_and_saveexec_b32 s15, s13
.LBB94_38:                              ;   in Loop: Header=BB94_3 Depth=1
	v_mov_b32_e32 v98, v100
.LBB94_39:                              ;   in Loop: Header=BB94_3 Depth=1
	s_or_b32 exec_lo, exec_lo, s15
	v_mad_u64_u32 v[38:39], null, v80, 36, v[62:63]
	v_cmp_gt_i16_sdwa s15, v97, v83 src0_sel:BYTE_0 src1_sel:DWORD
	s_mov_b32 s13, 0
	s_clause 0x2
	global_load_dword v101, v[38:39], off offset:32
	global_load_dwordx4 v[42:45], v[38:39], off offset:16
	global_load_dwordx4 v[38:41], v[38:39], off
	s_and_saveexec_b32 s16, s15
	s_xor_b32 s15, exec_lo, s16
	s_cbranch_execnz .LBB94_74
; %bb.40:                               ;   in Loop: Header=BB94_3 Depth=1
	s_andn2_saveexec_b32 s15, s15
	s_cbranch_execnz .LBB94_75
.LBB94_41:                              ;   in Loop: Header=BB94_3 Depth=1
	s_or_b32 exec_lo, exec_lo, s15
	v_mov_b32_e32 v102, 0
	s_and_saveexec_b32 s15, s13
.LBB94_42:                              ;   in Loop: Header=BB94_3 Depth=1
	v_mov_b32_e32 v102, v99
.LBB94_43:                              ;   in Loop: Header=BB94_3 Depth=1
	s_or_b32 exec_lo, exec_lo, s15
	v_cmp_gt_i16_sdwa s15, v97, v83 src0_sel:BYTE_1 src1_sel:DWORD
	s_mov_b32 s13, 0
	s_and_saveexec_b32 s16, s15
	s_xor_b32 s15, exec_lo, s16
	s_cbranch_execnz .LBB94_76
; %bb.44:                               ;   in Loop: Header=BB94_3 Depth=1
	s_andn2_saveexec_b32 s15, s15
	s_cbranch_execnz .LBB94_77
.LBB94_45:                              ;   in Loop: Header=BB94_3 Depth=1
	s_or_b32 exec_lo, exec_lo, s15
	v_mov_b32_e32 v103, 0
	s_and_saveexec_b32 s15, s13
.LBB94_46:                              ;   in Loop: Header=BB94_3 Depth=1
	v_mov_b32_e32 v103, v100
.LBB94_47:                              ;   in Loop: Header=BB94_3 Depth=1
	s_or_b32 exec_lo, exec_lo, s15
	v_mad_u64_u32 v[46:47], null, v67, 36, v[62:63]
	v_cmp_gt_i16_sdwa s15, v97, v83 src0_sel:BYTE_0 src1_sel:DWORD
	s_mov_b32 s13, 0
	s_clause 0x2
	global_load_dword v105, v[46:47], off offset:32
	global_load_dwordx4 v[50:53], v[46:47], off offset:16
	global_load_dwordx4 v[46:49], v[46:47], off
	s_and_saveexec_b32 s16, s15
	s_xor_b32 s15, exec_lo, s16
	s_cbranch_execnz .LBB94_78
; %bb.48:                               ;   in Loop: Header=BB94_3 Depth=1
	s_andn2_saveexec_b32 s15, s15
	s_cbranch_execnz .LBB94_79
.LBB94_49:                              ;   in Loop: Header=BB94_3 Depth=1
	s_or_b32 exec_lo, exec_lo, s15
	v_mov_b32_e32 v106, 0
	s_and_saveexec_b32 s15, s13
.LBB94_50:                              ;   in Loop: Header=BB94_3 Depth=1
	v_mov_b32_e32 v106, v99
.LBB94_51:                              ;   in Loop: Header=BB94_3 Depth=1
	s_or_b32 exec_lo, exec_lo, s15
	v_cmp_gt_i16_sdwa s15, v97, v83 src0_sel:BYTE_1 src1_sel:DWORD
	s_mov_b32 s13, 0
	s_and_saveexec_b32 s16, s15
	s_xor_b32 s15, exec_lo, s16
	s_cbranch_execnz .LBB94_80
; %bb.52:                               ;   in Loop: Header=BB94_3 Depth=1
	s_andn2_saveexec_b32 s15, s15
	s_cbranch_execnz .LBB94_81
.LBB94_53:                              ;   in Loop: Header=BB94_3 Depth=1
	s_or_b32 exec_lo, exec_lo, s15
	v_mov_b32_e32 v108, 0
	s_and_saveexec_b32 s15, s13
.LBB94_54:                              ;   in Loop: Header=BB94_3 Depth=1
	v_mov_b32_e32 v108, v100
.LBB94_55:                              ;   in Loop: Header=BB94_3 Depth=1
	s_or_b32 exec_lo, exec_lo, s15
	v_mad_u64_u32 v[54:55], null, v68, 36, v[62:63]
	v_cmp_gt_i16_sdwa s15, v97, v83 src0_sel:BYTE_0 src1_sel:DWORD
	s_mov_b32 s13, 0
	s_clause 0x2
	global_load_dword v107, v[54:55], off offset:32
	global_load_dwordx4 v[58:61], v[54:55], off offset:16
	global_load_dwordx4 v[54:57], v[54:55], off
	s_and_saveexec_b32 s16, s15
	s_xor_b32 s15, exec_lo, s16
	s_cbranch_execnz .LBB94_82
; %bb.56:                               ;   in Loop: Header=BB94_3 Depth=1
	s_andn2_saveexec_b32 s15, s15
	s_cbranch_execnz .LBB94_83
.LBB94_57:                              ;   in Loop: Header=BB94_3 Depth=1
	s_or_b32 exec_lo, exec_lo, s15
	v_mov_b32_e32 v104, 0
	s_and_saveexec_b32 s15, s13
.LBB94_58:                              ;   in Loop: Header=BB94_3 Depth=1
	v_mov_b32_e32 v104, v99
.LBB94_59:                              ;   in Loop: Header=BB94_3 Depth=1
	s_or_b32 exec_lo, exec_lo, s15
	v_cmp_gt_i16_sdwa s15, v97, v83 src0_sel:BYTE_1 src1_sel:DWORD
	s_mov_b32 s13, 0
	s_and_saveexec_b32 s16, s15
	s_xor_b32 s15, exec_lo, s16
	s_cbranch_execnz .LBB94_84
; %bb.60:                               ;   in Loop: Header=BB94_3 Depth=1
	s_andn2_saveexec_b32 s15, s15
	s_cbranch_execnz .LBB94_85
.LBB94_61:                              ;   in Loop: Header=BB94_3 Depth=1
	s_or_b32 exec_lo, exec_lo, s15
	v_mov_b32_e32 v97, 0
	s_and_saveexec_b32 s15, s13
	s_cbranch_execz .LBB94_2
	s_branch .LBB94_86
.LBB94_62:                              ;   in Loop: Header=BB94_3 Depth=1
	v_cmp_ne_u16_sdwa s13, v97, v84 src0_sel:BYTE_0 src1_sel:DWORD
	s_and_b32 s13, s13, exec_lo
	s_andn2_saveexec_b32 s15, s15
	s_cbranch_execz .LBB94_17
.LBB94_63:                              ;   in Loop: Header=BB94_3 Depth=1
	v_cmp_ne_u16_sdwa s16, v97, v78 src0_sel:BYTE_0 src1_sel:DWORD
	s_andn2_b32 s13, s13, exec_lo
	s_and_b32 s16, s16, exec_lo
	s_or_b32 s13, s13, s16
	s_or_b32 exec_lo, exec_lo, s15
	v_mov_b32_e32 v90, 0
	s_and_saveexec_b32 s15, s13
	s_cbranch_execnz .LBB94_18
	s_branch .LBB94_19
.LBB94_64:                              ;   in Loop: Header=BB94_3 Depth=1
	v_cmp_ne_u16_sdwa s13, v97, v84 src0_sel:BYTE_1 src1_sel:DWORD
	s_and_b32 s13, s13, exec_lo
	s_andn2_saveexec_b32 s15, s15
	s_cbranch_execz .LBB94_21
.LBB94_65:                              ;   in Loop: Header=BB94_3 Depth=1
	v_cmp_ne_u16_sdwa s16, v97, v78 src0_sel:BYTE_1 src1_sel:DWORD
	s_andn2_b32 s13, s13, exec_lo
	s_and_b32 s16, s16, exec_lo
	s_or_b32 s13, s13, s16
	s_or_b32 exec_lo, exec_lo, s15
	v_mov_b32_e32 v91, 0
	s_and_saveexec_b32 s15, s13
	s_cbranch_execnz .LBB94_22
	s_branch .LBB94_23
.LBB94_66:                              ;   in Loop: Header=BB94_3 Depth=1
	v_cmp_ne_u16_sdwa s13, v97, v84 src0_sel:BYTE_0 src1_sel:DWORD
	s_and_b32 s13, s13, exec_lo
	s_andn2_saveexec_b32 s15, s15
	s_cbranch_execz .LBB94_25
.LBB94_67:                              ;   in Loop: Header=BB94_3 Depth=1
	v_cmp_ne_u16_sdwa s16, v97, v78 src0_sel:BYTE_0 src1_sel:DWORD
	s_andn2_b32 s13, s13, exec_lo
	s_and_b32 s16, s16, exec_lo
	s_or_b32 s13, s13, s16
	s_or_b32 exec_lo, exec_lo, s15
	v_mov_b32_e32 v93, 0
	s_and_saveexec_b32 s15, s13
	s_cbranch_execnz .LBB94_26
	s_branch .LBB94_27
.LBB94_68:                              ;   in Loop: Header=BB94_3 Depth=1
	v_cmp_ne_u16_sdwa s13, v97, v84 src0_sel:BYTE_1 src1_sel:DWORD
	s_and_b32 s13, s13, exec_lo
	s_andn2_saveexec_b32 s15, s15
	s_cbranch_execz .LBB94_29
.LBB94_69:                              ;   in Loop: Header=BB94_3 Depth=1
	v_cmp_ne_u16_sdwa s16, v97, v78 src0_sel:BYTE_1 src1_sel:DWORD
	s_andn2_b32 s13, s13, exec_lo
	s_and_b32 s16, s16, exec_lo
	s_or_b32 s13, s13, s16
	s_or_b32 exec_lo, exec_lo, s15
	v_mov_b32_e32 v94, 0
	s_and_saveexec_b32 s15, s13
	s_cbranch_execnz .LBB94_30
	s_branch .LBB94_31
.LBB94_70:                              ;   in Loop: Header=BB94_3 Depth=1
	v_cmp_ne_u16_sdwa s13, v97, v84 src0_sel:BYTE_0 src1_sel:DWORD
	s_and_b32 s13, s13, exec_lo
	s_andn2_saveexec_b32 s15, s15
	s_cbranch_execz .LBB94_33
.LBB94_71:                              ;   in Loop: Header=BB94_3 Depth=1
	v_cmp_ne_u16_sdwa s16, v97, v78 src0_sel:BYTE_0 src1_sel:DWORD
	s_andn2_b32 s13, s13, exec_lo
	s_and_b32 s16, s16, exec_lo
	s_or_b32 s13, s13, s16
	s_or_b32 exec_lo, exec_lo, s15
	v_mov_b32_e32 v96, 0
	s_and_saveexec_b32 s15, s13
	s_cbranch_execnz .LBB94_34
	s_branch .LBB94_35
.LBB94_72:                              ;   in Loop: Header=BB94_3 Depth=1
	v_cmp_ne_u16_sdwa s13, v97, v84 src0_sel:BYTE_1 src1_sel:DWORD
	s_and_b32 s13, s13, exec_lo
	s_andn2_saveexec_b32 s15, s15
	s_cbranch_execz .LBB94_37
.LBB94_73:                              ;   in Loop: Header=BB94_3 Depth=1
	v_cmp_ne_u16_sdwa s16, v97, v78 src0_sel:BYTE_1 src1_sel:DWORD
	s_andn2_b32 s13, s13, exec_lo
	s_and_b32 s16, s16, exec_lo
	s_or_b32 s13, s13, s16
	s_or_b32 exec_lo, exec_lo, s15
	v_mov_b32_e32 v98, 0
	s_and_saveexec_b32 s15, s13
	s_cbranch_execnz .LBB94_38
	s_branch .LBB94_39
.LBB94_74:                              ;   in Loop: Header=BB94_3 Depth=1
	v_cmp_ne_u16_sdwa s13, v97, v84 src0_sel:BYTE_0 src1_sel:DWORD
	s_and_b32 s13, s13, exec_lo
	s_andn2_saveexec_b32 s15, s15
	s_cbranch_execz .LBB94_41
.LBB94_75:                              ;   in Loop: Header=BB94_3 Depth=1
	v_cmp_ne_u16_sdwa s16, v97, v78 src0_sel:BYTE_0 src1_sel:DWORD
	s_andn2_b32 s13, s13, exec_lo
	s_and_b32 s16, s16, exec_lo
	s_or_b32 s13, s13, s16
	s_or_b32 exec_lo, exec_lo, s15
	v_mov_b32_e32 v102, 0
	s_and_saveexec_b32 s15, s13
	s_cbranch_execnz .LBB94_42
	s_branch .LBB94_43
.LBB94_76:                              ;   in Loop: Header=BB94_3 Depth=1
	v_cmp_ne_u16_sdwa s13, v97, v84 src0_sel:BYTE_1 src1_sel:DWORD
	s_and_b32 s13, s13, exec_lo
	s_andn2_saveexec_b32 s15, s15
	s_cbranch_execz .LBB94_45
.LBB94_77:                              ;   in Loop: Header=BB94_3 Depth=1
	v_cmp_ne_u16_sdwa s16, v97, v78 src0_sel:BYTE_1 src1_sel:DWORD
	s_andn2_b32 s13, s13, exec_lo
	s_and_b32 s16, s16, exec_lo
	s_or_b32 s13, s13, s16
	s_or_b32 exec_lo, exec_lo, s15
	v_mov_b32_e32 v103, 0
	s_and_saveexec_b32 s15, s13
	s_cbranch_execnz .LBB94_46
	s_branch .LBB94_47
.LBB94_78:                              ;   in Loop: Header=BB94_3 Depth=1
	v_cmp_ne_u16_sdwa s13, v97, v84 src0_sel:BYTE_0 src1_sel:DWORD
	s_and_b32 s13, s13, exec_lo
	s_andn2_saveexec_b32 s15, s15
	s_cbranch_execz .LBB94_49
.LBB94_79:                              ;   in Loop: Header=BB94_3 Depth=1
	v_cmp_ne_u16_sdwa s16, v97, v78 src0_sel:BYTE_0 src1_sel:DWORD
	s_andn2_b32 s13, s13, exec_lo
	s_and_b32 s16, s16, exec_lo
	s_or_b32 s13, s13, s16
	s_or_b32 exec_lo, exec_lo, s15
	v_mov_b32_e32 v106, 0
	s_and_saveexec_b32 s15, s13
	s_cbranch_execnz .LBB94_50
	s_branch .LBB94_51
.LBB94_80:                              ;   in Loop: Header=BB94_3 Depth=1
	v_cmp_ne_u16_sdwa s13, v97, v84 src0_sel:BYTE_1 src1_sel:DWORD
	s_and_b32 s13, s13, exec_lo
	s_andn2_saveexec_b32 s15, s15
	s_cbranch_execz .LBB94_53
.LBB94_81:                              ;   in Loop: Header=BB94_3 Depth=1
	v_cmp_ne_u16_sdwa s16, v97, v78 src0_sel:BYTE_1 src1_sel:DWORD
	s_andn2_b32 s13, s13, exec_lo
	s_and_b32 s16, s16, exec_lo
	s_or_b32 s13, s13, s16
	s_or_b32 exec_lo, exec_lo, s15
	v_mov_b32_e32 v108, 0
	s_and_saveexec_b32 s15, s13
	s_cbranch_execnz .LBB94_54
	s_branch .LBB94_55
.LBB94_82:                              ;   in Loop: Header=BB94_3 Depth=1
	v_cmp_ne_u16_sdwa s13, v97, v84 src0_sel:BYTE_0 src1_sel:DWORD
	s_and_b32 s13, s13, exec_lo
	s_andn2_saveexec_b32 s15, s15
	s_cbranch_execz .LBB94_57
.LBB94_83:                              ;   in Loop: Header=BB94_3 Depth=1
	v_cmp_ne_u16_sdwa s16, v97, v78 src0_sel:BYTE_0 src1_sel:DWORD
	s_andn2_b32 s13, s13, exec_lo
	s_and_b32 s16, s16, exec_lo
	s_or_b32 s13, s13, s16
	s_or_b32 exec_lo, exec_lo, s15
	v_mov_b32_e32 v104, 0
	s_and_saveexec_b32 s15, s13
	s_cbranch_execnz .LBB94_58
	s_branch .LBB94_59
.LBB94_84:                              ;   in Loop: Header=BB94_3 Depth=1
	v_cmp_ne_u16_sdwa s13, v97, v84 src0_sel:BYTE_1 src1_sel:DWORD
                                        ; implicit-def: $vgpr97
	s_and_b32 s13, s13, exec_lo
	s_andn2_saveexec_b32 s15, s15
	s_cbranch_execz .LBB94_61
.LBB94_85:                              ;   in Loop: Header=BB94_3 Depth=1
	v_cmp_ne_u16_sdwa s16, v97, v78 src0_sel:BYTE_1 src1_sel:DWORD
	s_andn2_b32 s13, s13, exec_lo
	s_and_b32 s16, s16, exec_lo
	s_or_b32 s13, s13, s16
	s_or_b32 exec_lo, exec_lo, s15
	v_mov_b32_e32 v97, 0
	s_and_saveexec_b32 s15, s13
	s_cbranch_execz .LBB94_2
.LBB94_86:                              ;   in Loop: Header=BB94_3 Depth=1
	v_mov_b32_e32 v97, v100
	s_branch .LBB94_2
.LBB94_87:
	s_or_b32 exec_lo, exec_lo, s1
.LBB94_88:
	s_or_b32 exec_lo, exec_lo, s9
	s_mov_b32 s1, 0
	; wave barrier
	buffer_gl0_inv
	s_mov_b32 s0, exec_lo
	v_cmpx_eq_u32_e32 0, v1
	s_cbranch_execz .LBB94_103
; %bb.89:
	v_mbcnt_lo_u32_b32 v5, -1, 0
	s_load_dwordx2 s[4:5], s[4:5], 0x38
	s_mul_i32 s0, s14, s7
	s_mul_i32 s3, s18, s8
	s_add_i32 s0, s0, s6
	v_xor_b32_e32 v1, 16, v5
	v_xor_b32_e32 v2, 8, v5
	;; [unrolled: 1-line block ×3, first 2 shown]
	s_add_i32 s0, s0, s3
	s_lshl_b64 s[0:1], s[0:1], 2
	v_cmp_gt_i32_e32 vcc_lo, 32, v1
	v_cndmask_b32_e32 v1, v5, v1, vcc_lo
	v_cmp_gt_i32_e32 vcc_lo, 32, v2
	v_lshlrev_b32_e32 v1, 2, v1
	v_cndmask_b32_e32 v2, v5, v2, vcc_lo
	s_waitcnt lgkmcnt(0)
	s_add_u32 s0, s4, s0
	s_addc_u32 s1, s5, s1
	ds_bpermute_b32 v3, v1, v76
	v_lshlrev_b32_e32 v2, 2, v2
	s_waitcnt lgkmcnt(0)
	v_add_f32_e32 v4, v76, v3
	v_xor_b32_e32 v3, 4, v5
	ds_bpermute_b32 v6, v2, v4
	v_cmp_gt_i32_e32 vcc_lo, 32, v3
	v_cndmask_b32_e32 v3, v5, v3, vcc_lo
	v_lshlrev_b32_e32 v3, 2, v3
	s_waitcnt lgkmcnt(0)
	v_add_f32_e32 v6, v4, v6
	v_xor_b32_e32 v4, 2, v5
	ds_bpermute_b32 v7, v3, v6
	v_cmp_gt_i32_e32 vcc_lo, 32, v4
	v_cndmask_b32_e32 v4, v5, v4, vcc_lo
	v_cmp_gt_i32_e32 vcc_lo, 32, v8
	v_lshlrev_b32_e32 v4, 2, v4
	v_cndmask_b32_e32 v5, v5, v8, vcc_lo
	v_cmp_eq_u32_e32 vcc_lo, 0, v0
	v_lshlrev_b32_e32 v5, 2, v5
	s_waitcnt lgkmcnt(0)
	v_add_f32_e32 v6, v6, v7
	ds_bpermute_b32 v7, v4, v6
	s_waitcnt lgkmcnt(0)
	v_add_f32_e32 v6, v6, v7
	ds_bpermute_b32 v7, v5, v6
	s_and_saveexec_b32 s3, vcc_lo
	s_cbranch_execz .LBB94_91
; %bb.90:
	s_waitcnt lgkmcnt(0)
	v_add_f32_e32 v0, v6, v7
	v_mov_b32_e32 v6, 0
	global_store_dword v6, v0, s[0:1]
.LBB94_91:
	s_or_b32 exec_lo, exec_lo, s3
	ds_bpermute_b32 v0, v1, v74
	s_waitcnt lgkmcnt(0)
	v_add_f32_e32 v0, v74, v0
	ds_bpermute_b32 v6, v2, v0
	s_waitcnt lgkmcnt(0)
	v_add_f32_e32 v0, v0, v6
	ds_bpermute_b32 v6, v3, v0
	s_waitcnt lgkmcnt(0)
	v_add_f32_e32 v0, v0, v6
	ds_bpermute_b32 v6, v4, v0
	s_waitcnt lgkmcnt(0)
	v_add_f32_e32 v0, v0, v6
	ds_bpermute_b32 v6, v5, v0
	s_and_saveexec_b32 s4, vcc_lo
	s_cbranch_execz .LBB94_93
; %bb.92:
	s_mov_b32 s3, 0
	s_waitcnt lgkmcnt(0)
	v_add_f32_e32 v0, v0, v6
	s_lshl_b64 s[6:7], s[2:3], 2
	v_mov_b32_e32 v6, 0
	s_add_u32 s6, s0, s6
	s_addc_u32 s7, s1, s7
	global_store_dword v6, v0, s[6:7]
.LBB94_93:
	s_or_b32 exec_lo, exec_lo, s4
	ds_bpermute_b32 v0, v1, v73
	s_waitcnt lgkmcnt(0)
	v_add_f32_e32 v0, v73, v0
	ds_bpermute_b32 v6, v2, v0
	s_waitcnt lgkmcnt(0)
	v_add_f32_e32 v0, v0, v6
	;; [unrolled: 3-line block ×4, first 2 shown]
	ds_bpermute_b32 v6, v5, v0
	s_and_saveexec_b32 s3, vcc_lo
	s_cbranch_execz .LBB94_95
; %bb.94:
	s_lshl_b32 s4, s2, 1
	s_mov_b32 s5, 0
	s_waitcnt lgkmcnt(0)
	v_add_f32_e32 v0, v0, v6
	s_lshl_b64 s[4:5], s[4:5], 2
	v_mov_b32_e32 v6, 0
	s_add_u32 s4, s0, s4
	s_addc_u32 s5, s1, s5
	global_store_dword v6, v0, s[4:5]
.LBB94_95:
	s_or_b32 exec_lo, exec_lo, s3
	ds_bpermute_b32 v0, v1, v72
	s_waitcnt lgkmcnt(0)
	v_add_f32_e32 v0, v72, v0
	ds_bpermute_b32 v6, v2, v0
	s_waitcnt lgkmcnt(0)
	v_add_f32_e32 v0, v0, v6
	;; [unrolled: 3-line block ×4, first 2 shown]
	ds_bpermute_b32 v6, v5, v0
	s_and_saveexec_b32 s3, vcc_lo
	s_cbranch_execz .LBB94_97
; %bb.96:
	s_mul_i32 s4, s2, 3
	s_mov_b32 s5, 0
	s_waitcnt lgkmcnt(0)
	v_add_f32_e32 v0, v0, v6
	s_lshl_b64 s[4:5], s[4:5], 2
	v_mov_b32_e32 v6, 0
	s_add_u32 s4, s0, s4
	s_addc_u32 s5, s1, s5
	global_store_dword v6, v0, s[4:5]
.LBB94_97:
	s_or_b32 exec_lo, exec_lo, s3
	ds_bpermute_b32 v0, v1, v71
	s_waitcnt lgkmcnt(0)
	v_add_f32_e32 v0, v71, v0
	ds_bpermute_b32 v6, v2, v0
	s_waitcnt lgkmcnt(0)
	v_add_f32_e32 v0, v0, v6
	;; [unrolled: 3-line block ×4, first 2 shown]
	ds_bpermute_b32 v6, v5, v0
	s_and_saveexec_b32 s3, vcc_lo
	s_cbranch_execz .LBB94_99
; %bb.98:
	s_lshl_b32 s4, s2, 2
	s_mov_b32 s5, 0
	s_waitcnt lgkmcnt(0)
	v_add_f32_e32 v0, v0, v6
	s_lshl_b64 s[4:5], s[4:5], 2
	v_mov_b32_e32 v6, 0
	s_add_u32 s4, s0, s4
	s_addc_u32 s5, s1, s5
	global_store_dword v6, v0, s[4:5]
.LBB94_99:
	s_or_b32 exec_lo, exec_lo, s3
	ds_bpermute_b32 v0, v1, v70
	s_waitcnt lgkmcnt(0)
	v_add_f32_e32 v0, v70, v0
	ds_bpermute_b32 v6, v2, v0
	s_waitcnt lgkmcnt(0)
	v_add_f32_e32 v0, v0, v6
	;; [unrolled: 3-line block ×4, first 2 shown]
	ds_bpermute_b32 v6, v5, v0
	s_and_saveexec_b32 s3, vcc_lo
	s_cbranch_execz .LBB94_101
; %bb.100:
	s_mul_i32 s4, s2, 5
	s_mov_b32 s5, 0
	s_waitcnt lgkmcnt(0)
	v_add_f32_e32 v0, v0, v6
	s_lshl_b64 s[4:5], s[4:5], 2
	v_mov_b32_e32 v6, 0
	s_add_u32 s4, s0, s4
	s_addc_u32 s5, s1, s5
	global_store_dword v6, v0, s[4:5]
.LBB94_101:
	s_or_b32 exec_lo, exec_lo, s3
	ds_bpermute_b32 v0, v1, v69
	s_waitcnt lgkmcnt(0)
	v_add_f32_e32 v0, v69, v0
	ds_bpermute_b32 v1, v2, v0
	s_waitcnt lgkmcnt(0)
	v_add_f32_e32 v0, v0, v1
	;; [unrolled: 3-line block ×4, first 2 shown]
	ds_bpermute_b32 v1, v5, v0
	s_and_b32 exec_lo, exec_lo, vcc_lo
	s_cbranch_execz .LBB94_103
; %bb.102:
	s_mul_i32 s2, s2, 6
	s_mov_b32 s3, 0
	s_waitcnt lgkmcnt(0)
	v_add_f32_e32 v0, v0, v1
	s_lshl_b64 s[2:3], s[2:3], 2
	v_mov_b32_e32 v1, 0
	s_add_u32 s0, s0, s2
	s_addc_u32 s1, s1, s3
	global_store_dword v1, v0, s[0:1]
.LBB94_103:
	s_endpgm
	.section	.rodata,"a",@progbits
	.p2align	6, 0x0
	.amdhsa_kernel _ZL13mul_mat_vec_qIL9ggml_type40ELi7ELb0ELb0EEvPKvS2_PKi31ggml_cuda_mm_fusion_args_devicePfj15HIP_vector_typeIjLj3EEjjjS8_jjjS8_jjjj
		.amdhsa_group_segment_fixed_size 0
		.amdhsa_private_segment_fixed_size 0
		.amdhsa_kernarg_size 144
		.amdhsa_user_sgpr_count 6
		.amdhsa_user_sgpr_private_segment_buffer 1
		.amdhsa_user_sgpr_dispatch_ptr 0
		.amdhsa_user_sgpr_queue_ptr 0
		.amdhsa_user_sgpr_kernarg_segment_ptr 1
		.amdhsa_user_sgpr_dispatch_id 0
		.amdhsa_user_sgpr_flat_scratch_init 0
		.amdhsa_user_sgpr_private_segment_size 0
		.amdhsa_wavefront_size32 1
		.amdhsa_uses_dynamic_stack 0
		.amdhsa_system_sgpr_private_segment_wavefront_offset 0
		.amdhsa_system_sgpr_workgroup_id_x 1
		.amdhsa_system_sgpr_workgroup_id_y 1
		.amdhsa_system_sgpr_workgroup_id_z 1
		.amdhsa_system_sgpr_workgroup_info 0
		.amdhsa_system_vgpr_workitem_id 1
		.amdhsa_next_free_vgpr 117
		.amdhsa_next_free_sgpr 28
		.amdhsa_reserve_vcc 1
		.amdhsa_reserve_flat_scratch 0
		.amdhsa_float_round_mode_32 0
		.amdhsa_float_round_mode_16_64 0
		.amdhsa_float_denorm_mode_32 3
		.amdhsa_float_denorm_mode_16_64 3
		.amdhsa_dx10_clamp 1
		.amdhsa_ieee_mode 1
		.amdhsa_fp16_overflow 0
		.amdhsa_workgroup_processor_mode 1
		.amdhsa_memory_ordered 1
		.amdhsa_forward_progress 1
		.amdhsa_shared_vgpr_count 0
		.amdhsa_exception_fp_ieee_invalid_op 0
		.amdhsa_exception_fp_denorm_src 0
		.amdhsa_exception_fp_ieee_div_zero 0
		.amdhsa_exception_fp_ieee_overflow 0
		.amdhsa_exception_fp_ieee_underflow 0
		.amdhsa_exception_fp_ieee_inexact 0
		.amdhsa_exception_int_div_zero 0
	.end_amdhsa_kernel
	.section	.text._ZL13mul_mat_vec_qIL9ggml_type40ELi7ELb0ELb0EEvPKvS2_PKi31ggml_cuda_mm_fusion_args_devicePfj15HIP_vector_typeIjLj3EEjjjS8_jjjS8_jjjj,"axG",@progbits,_ZL13mul_mat_vec_qIL9ggml_type40ELi7ELb0ELb0EEvPKvS2_PKi31ggml_cuda_mm_fusion_args_devicePfj15HIP_vector_typeIjLj3EEjjjS8_jjjS8_jjjj,comdat
.Lfunc_end94:
	.size	_ZL13mul_mat_vec_qIL9ggml_type40ELi7ELb0ELb0EEvPKvS2_PKi31ggml_cuda_mm_fusion_args_devicePfj15HIP_vector_typeIjLj3EEjjjS8_jjjS8_jjjj, .Lfunc_end94-_ZL13mul_mat_vec_qIL9ggml_type40ELi7ELb0ELb0EEvPKvS2_PKi31ggml_cuda_mm_fusion_args_devicePfj15HIP_vector_typeIjLj3EEjjjS8_jjjS8_jjjj
                                        ; -- End function
	.set _ZL13mul_mat_vec_qIL9ggml_type40ELi7ELb0ELb0EEvPKvS2_PKi31ggml_cuda_mm_fusion_args_devicePfj15HIP_vector_typeIjLj3EEjjjS8_jjjS8_jjjj.num_vgpr, 117
	.set _ZL13mul_mat_vec_qIL9ggml_type40ELi7ELb0ELb0EEvPKvS2_PKi31ggml_cuda_mm_fusion_args_devicePfj15HIP_vector_typeIjLj3EEjjjS8_jjjS8_jjjj.num_agpr, 0
	.set _ZL13mul_mat_vec_qIL9ggml_type40ELi7ELb0ELb0EEvPKvS2_PKi31ggml_cuda_mm_fusion_args_devicePfj15HIP_vector_typeIjLj3EEjjjS8_jjjS8_jjjj.numbered_sgpr, 28
	.set _ZL13mul_mat_vec_qIL9ggml_type40ELi7ELb0ELb0EEvPKvS2_PKi31ggml_cuda_mm_fusion_args_devicePfj15HIP_vector_typeIjLj3EEjjjS8_jjjS8_jjjj.num_named_barrier, 0
	.set _ZL13mul_mat_vec_qIL9ggml_type40ELi7ELb0ELb0EEvPKvS2_PKi31ggml_cuda_mm_fusion_args_devicePfj15HIP_vector_typeIjLj3EEjjjS8_jjjS8_jjjj.private_seg_size, 0
	.set _ZL13mul_mat_vec_qIL9ggml_type40ELi7ELb0ELb0EEvPKvS2_PKi31ggml_cuda_mm_fusion_args_devicePfj15HIP_vector_typeIjLj3EEjjjS8_jjjS8_jjjj.uses_vcc, 1
	.set _ZL13mul_mat_vec_qIL9ggml_type40ELi7ELb0ELb0EEvPKvS2_PKi31ggml_cuda_mm_fusion_args_devicePfj15HIP_vector_typeIjLj3EEjjjS8_jjjS8_jjjj.uses_flat_scratch, 0
	.set _ZL13mul_mat_vec_qIL9ggml_type40ELi7ELb0ELb0EEvPKvS2_PKi31ggml_cuda_mm_fusion_args_devicePfj15HIP_vector_typeIjLj3EEjjjS8_jjjS8_jjjj.has_dyn_sized_stack, 0
	.set _ZL13mul_mat_vec_qIL9ggml_type40ELi7ELb0ELb0EEvPKvS2_PKi31ggml_cuda_mm_fusion_args_devicePfj15HIP_vector_typeIjLj3EEjjjS8_jjjS8_jjjj.has_recursion, 0
	.set _ZL13mul_mat_vec_qIL9ggml_type40ELi7ELb0ELb0EEvPKvS2_PKi31ggml_cuda_mm_fusion_args_devicePfj15HIP_vector_typeIjLj3EEjjjS8_jjjS8_jjjj.has_indirect_call, 0
	.section	.AMDGPU.csdata,"",@progbits
; Kernel info:
; codeLenInByte = 4460
; TotalNumSgprs: 30
; NumVgprs: 117
; ScratchSize: 0
; MemoryBound: 0
; FloatMode: 240
; IeeeMode: 1
; LDSByteSize: 0 bytes/workgroup (compile time only)
; SGPRBlocks: 0
; VGPRBlocks: 14
; NumSGPRsForWavesPerEU: 30
; NumVGPRsForWavesPerEU: 117
; Occupancy: 8
; WaveLimiterHint : 0
; COMPUTE_PGM_RSRC2:SCRATCH_EN: 0
; COMPUTE_PGM_RSRC2:USER_SGPR: 6
; COMPUTE_PGM_RSRC2:TRAP_HANDLER: 0
; COMPUTE_PGM_RSRC2:TGID_X_EN: 1
; COMPUTE_PGM_RSRC2:TGID_Y_EN: 1
; COMPUTE_PGM_RSRC2:TGID_Z_EN: 1
; COMPUTE_PGM_RSRC2:TIDIG_COMP_CNT: 1
	.section	.text._ZL13mul_mat_vec_qIL9ggml_type40ELi8ELb0ELb0EEvPKvS2_PKi31ggml_cuda_mm_fusion_args_devicePfj15HIP_vector_typeIjLj3EEjjjS8_jjjS8_jjjj,"axG",@progbits,_ZL13mul_mat_vec_qIL9ggml_type40ELi8ELb0ELb0EEvPKvS2_PKi31ggml_cuda_mm_fusion_args_devicePfj15HIP_vector_typeIjLj3EEjjjS8_jjjS8_jjjj,comdat
	.globl	_ZL13mul_mat_vec_qIL9ggml_type40ELi8ELb0ELb0EEvPKvS2_PKi31ggml_cuda_mm_fusion_args_devicePfj15HIP_vector_typeIjLj3EEjjjS8_jjjS8_jjjj ; -- Begin function _ZL13mul_mat_vec_qIL9ggml_type40ELi8ELb0ELb0EEvPKvS2_PKi31ggml_cuda_mm_fusion_args_devicePfj15HIP_vector_typeIjLj3EEjjjS8_jjjS8_jjjj
	.p2align	8
	.type	_ZL13mul_mat_vec_qIL9ggml_type40ELi8ELb0ELb0EEvPKvS2_PKi31ggml_cuda_mm_fusion_args_devicePfj15HIP_vector_typeIjLj3EEjjjS8_jjjS8_jjjj,@function
_ZL13mul_mat_vec_qIL9ggml_type40ELi8ELb0ELb0EEvPKvS2_PKi31ggml_cuda_mm_fusion_args_devicePfj15HIP_vector_typeIjLj3EEjjjS8_jjjS8_jjjj: ; @_ZL13mul_mat_vec_qIL9ggml_type40ELi8ELb0ELb0EEvPKvS2_PKi31ggml_cuda_mm_fusion_args_devicePfj15HIP_vector_typeIjLj3EEjjjS8_jjjS8_jjjj
; %bb.0:
	s_clause 0x5
	s_load_dwordx4 s[16:19], s[4:5], 0x80
	s_load_dword s9, s[4:5], 0x40
	s_load_dwordx4 s[0:3], s[4:5], 0x50
	s_load_dword s11, s[4:5], 0x60
	;; [unrolled: 2-line block ×3, first 2 shown]
	v_lshl_or_b32 v2, v1, 5, v0
	v_mov_b32_e32 v74, 0
	v_mov_b32_e32 v75, 0
	v_mov_b32_e32 v76, 0
	v_mov_b32_e32 v77, 0
	v_lshrrev_b16 v3, 1, v2
	v_mov_b32_e32 v78, 0
	v_mov_b32_e32 v79, 0
	;; [unrolled: 1-line block ×4, first 2 shown]
	v_and_b32_e32 v81, 0xffff, v3
	s_waitcnt lgkmcnt(0)
	s_lshr_b32 s10, s9, 6
	s_mov_b32 s9, exec_lo
	v_cmpx_gt_u32_e64 s10, v81
	s_cbranch_execz .LBB95_100
; %bb.1:
	v_lshrrev_b32_e32 v2, 1, v2
	s_mul_i32 s13, s13, s7
	s_load_dwordx4 s[20:23], s[4:5], 0x0
	s_mul_hi_u32 s27, s13, 36
	s_mul_i32 s26, s13, 36
	s_mul_i32 s17, s17, s8
	v_mad_u64_u32 v[2:3], null, 0x48, v2, s[26:27]
	v_and_b32_e32 v5, 1, v0
	v_lshlrev_b32_e32 v4, 2, v0
	s_mul_i32 s19, s17, 36
	s_mul_hi_u32 s13, s15, s8
	s_mul_hi_u32 s15, s17, 36
	;; [unrolled: 1-line block ×3, first 2 shown]
	v_mad_u64_u32 v[2:3], null, s17, 36, v[2:3]
	v_and_b32_e32 v4, 4, v4
	s_mul_i32 s0, s0, s6
	v_mov_b32_e32 v84, 0
	v_lshlrev_b32_e32 v85, 1, v81
	v_mov_b32_e32 v87, 0x7e
	v_lshrrev_b32_e32 v83, 1, v4
	v_mad_u64_u32 v[2:3], null, v5, 36, v[2:3]
	s_waitcnt lgkmcnt(0)
	s_add_u32 s17, s22, s19
	s_addc_u32 s15, s23, s15
	s_add_u32 s26, s17, s26
	s_addc_u32 s27, s15, s27
	s_add_i32 s3, s7, s3
	s_add_i32 s13, s8, s13
	s_lshr_b32 s3, s3, s11
	v_mad_u64_u32 v[70:71], null, v5, 36, s[26:27]
	v_add_co_u32 v72, vcc_lo, s22, v2
	s_lshr_b32 s11, s13, s24
	s_mul_i32 s3, s3, s12
	v_add_co_ci_u32_e64 v73, null, s23, v3, vcc_lo
	v_lshlrev_b32_e32 v86, 2, v4
	v_mov_b32_e32 v88, 0x7f
	v_mov_b32_e32 v89, 0xffff
	;; [unrolled: 1-line block ×10, first 2 shown]
	s_mul_i32 s11, s11, s16
	s_add_i32 s3, s3, s0
	s_lshl_b32 s12, s1, 2
	s_add_i32 s0, s11, s3
	s_lshl_b32 s3, s1, 1
	s_mul_i32 s11, s1, 3
	s_mul_i32 s13, s1, 5
	;; [unrolled: 1-line block ×4, first 2 shown]
	s_mov_b32 s16, 0
	s_mov_b32 s19, 0xf4f8fafc
	;; [unrolled: 1-line block ×4, first 2 shown]
	s_branch .LBB95_3
.LBB95_2:                               ;   in Loop: Header=BB95_3 Depth=1
	s_or_b32 exec_lo, exec_lo, s25
	s_waitcnt vmcnt(24)
	v_ashrrev_i32_e32 v103, 4, v29
	v_add_nc_u32_e32 v81, 16, v81
	v_add_co_u32 v72, vcc_lo, 0x480, v72
	v_add_co_ci_u32_e64 v73, null, 0, v73, vcc_lo
	v_and_b32_e32 v104, 0x7070707, v103
	v_lshrrev_b32_e32 v103, 1, v103
	v_cmp_le_u32_e32 vcc_lo, s10, v81
	s_add_i32 s3, s3, 32
	s_add_i32 s11, s11, 32
	v_perm_b32 v116, s19, 0xfdfeff00, v104
	v_perm_b32 v104, s22, 0x3020100, v104
	v_and_or_b32 v103, v103, s23, 0x3020100
	s_add_i32 s12, s12, 32
	s_add_i32 s13, s13, 32
	;; [unrolled: 1-line block ×4, first 2 shown]
	v_perm_b32 v103, v116, v104, v103
	v_and_b32_e32 v104, 0x7070707, v29
	v_lshrrev_b32_e32 v29, 1, v29
	s_add_i32 s1, s1, 32
	s_or_b32 s16, vcc_lo, s16
	v_perm_b32 v116, s19, 0xfdfeff00, v104
	v_perm_b32 v104, s22, 0x3020100, v104
	v_and_or_b32 v29, v29, s23, 0x3020100
	v_perm_b32 v29, v116, v104, v29
	v_ashrrev_i32_e32 v104, 4, v28
	v_and_b32_e32 v116, 0x7070707, v104
	v_lshrrev_b32_e32 v104, 1, v104
	v_perm_b32 v117, s19, 0xfdfeff00, v116
	v_perm_b32 v116, s22, 0x3020100, v116
	v_and_or_b32 v104, v104, s23, 0x3020100
	v_perm_b32 v104, v117, v116, v104
	v_and_b32_e32 v116, 0x7070707, v28
	v_lshrrev_b32_e32 v28, 1, v28
	v_perm_b32 v117, s19, 0xfdfeff00, v116
	v_perm_b32 v116, s22, 0x3020100, v116
	v_and_or_b32 v28, v28, s23, 0x3020100
	v_perm_b32 v28, v117, v116, v28
	v_ashrrev_i32_e32 v116, 4, v27
	v_and_b32_e32 v117, 0x7070707, v116
	v_lshrrev_b32_e32 v116, 1, v116
	v_perm_b32 v118, s19, 0xfdfeff00, v117
	v_perm_b32 v117, s22, 0x3020100, v117
	v_and_or_b32 v116, v116, s23, 0x3020100
	v_perm_b32 v116, v118, v117, v116
	v_and_b32_e32 v117, 0x7070707, v27
	v_lshrrev_b32_e32 v27, 1, v27
	v_perm_b32 v118, s19, 0xfdfeff00, v117
	v_perm_b32 v117, s22, 0x3020100, v117
	v_and_or_b32 v27, v27, s23, 0x3020100
	v_perm_b32 v27, v118, v117, v27
	v_ashrrev_i32_e32 v117, 4, v26
	v_and_b32_e32 v118, 0x7070707, v117
	v_lshrrev_b32_e32 v117, 1, v117
	v_perm_b32 v119, s19, 0xfdfeff00, v118
	v_perm_b32 v118, s22, 0x3020100, v118
	v_and_or_b32 v117, v117, s23, 0x3020100
	v_perm_b32 v117, v119, v118, v117
	v_and_b32_e32 v118, 0x7070707, v26
	v_lshrrev_b32_e32 v26, 1, v26
	v_perm_b32 v119, s19, 0xfdfeff00, v118
	v_perm_b32 v118, s22, 0x3020100, v118
	v_and_or_b32 v26, v26, s23, 0x3020100
	v_perm_b32 v26, v119, v118, v26
	v_mov_b32_e32 v118, 0
	s_waitcnt vmcnt(4)
	v_dot4c_i32_i8 v118, v28, v55
	s_waitcnt vmcnt(3)
	v_cvt_f32_f16_e32 v55, v58
	v_dot4c_i32_i8 v118, v104, v57
	v_mul_f32_e32 v57, v112, v55
	v_mul_f32_e32 v55, v115, v55
	v_dot4c_i32_i8 v118, v29, v56
	v_mov_b32_e32 v56, 0
	v_dot4c_i32_i8 v118, v103, v113
	v_dot4c_i32_i8 v56, v26, v59
	;; [unrolled: 1-line block ×5, first 2 shown]
	v_cvt_f32_i32_e32 v54, v56
	v_cvt_f32_i32_e32 v56, v118
	v_fma_f32 v54, v57, v54, 0
	v_mov_b32_e32 v57, 0
	v_fmac_f32_e32 v54, v55, v56
	v_dot4c_i32_i8 v57, v28, v47
	v_cvt_f32_f16_e32 v47, v50
	v_mov_b32_e32 v56, 0
	s_waitcnt vmcnt(0)
	v_cvt_f32_f16_e32 v55, v66
	v_add_f32_e32 v75, v75, v54
	v_dot4c_i32_i8 v57, v104, v49
	v_mul_f32_e32 v49, v109, v47
	v_mul_f32_e32 v47, v111, v47
	v_mov_b32_e32 v54, 0
	v_dot4c_i32_i8 v56, v26, v67
	v_dot4c_i32_i8 v57, v29, v48
	v_mov_b32_e32 v48, 0
	v_dot4c_i32_i8 v54, v28, v63
	v_dot4c_i32_i8 v56, v117, v69
	;; [unrolled: 1-line block ×11, first 2 shown]
	v_cvt_f32_i32_e32 v56, v56
	v_dot4c_i32_i8 v48, v116, v46
	v_cvt_f32_i32_e32 v54, v54
	v_cvt_f32_i32_e32 v46, v48
	;; [unrolled: 1-line block ×3, first 2 shown]
	v_fma_f32 v46, v49, v46, 0
	v_fmac_f32_e32 v46, v47, v48
	v_add_f32_e32 v76, v76, v46
	v_mov_b32_e32 v46, 0
	v_dot4c_i32_i8 v46, v28, v39
	v_cvt_f32_f16_e32 v39, v42
	v_dot4c_i32_i8 v46, v104, v41
	v_mul_f32_e32 v41, v105, v39
	v_mul_f32_e32 v39, v107, v39
	v_dot4c_i32_i8 v46, v29, v40
	v_mov_b32_e32 v40, 0
	v_dot4c_i32_i8 v46, v103, v106
	v_dot4c_i32_i8 v40, v26, v43
	v_dot4c_i32_i8 v40, v117, v45
	v_dot4c_i32_i8 v40, v27, v44
	v_dot4c_i32_i8 v40, v116, v38
	v_cvt_f32_i32_e32 v38, v40
	v_cvt_f32_i32_e32 v40, v46
	v_fma_f32 v38, v41, v38, 0
	v_fmac_f32_e32 v38, v39, v40
	v_add_f32_e32 v77, v77, v38
	v_mov_b32_e32 v38, 0
	v_dot4c_i32_i8 v38, v28, v31
	v_cvt_f32_f16_e32 v31, v34
	v_dot4c_i32_i8 v38, v104, v33
	v_mul_f32_e32 v33, v100, v31
	v_mul_f32_e32 v31, v102, v31
	v_dot4c_i32_i8 v38, v29, v32
	v_mov_b32_e32 v32, 0
	v_dot4c_i32_i8 v38, v103, v99
	v_dot4c_i32_i8 v32, v26, v35
	v_dot4c_i32_i8 v32, v117, v37
	v_dot4c_i32_i8 v32, v27, v36
	v_dot4c_i32_i8 v32, v116, v30
	v_cvt_f32_i32_e32 v30, v32
	v_cvt_f32_i32_e32 v32, v38
	;; [unrolled: 18-line block ×5, first 2 shown]
	v_fma_f32 v2, v5, v2, 0
	v_fmac_f32_e32 v2, v3, v4
	v_mul_f32_e32 v3, v101, v55
	v_add_f32_e32 v82, v82, v2
	v_mul_f32_e32 v2, v108, v55
	v_fma_f32 v2, v2, v56, 0
	v_fmac_f32_e32 v2, v3, v54
	v_add_f32_e32 v74, v74, v2
	s_andn2_b32 exec_lo, exec_lo, s16
	s_cbranch_execz .LBB95_99
.LBB95_3:                               ; =>This Inner Loop Header: Depth=1
	v_add_nc_u32_e32 v2, s0, v81
	s_mov_b32 s24, 0
	v_mad_i64_i32 v[2:3], null, v2, 36, s[20:21]
	v_add_co_u32 v4, vcc_lo, v2, v83
	v_add_co_ci_u32_e64 v5, null, 0, v3, vcc_lo
	v_add_co_u32 v2, vcc_lo, v2, v86
	v_add_co_ci_u32_e64 v3, null, 0, v3, vcc_lo
	s_clause 0x1
	global_load_ushort v101, v[4:5], off
	global_load_dwordx4 v[26:29], v[2:3], off offset:4
	s_clause 0x2
	global_load_dword v91, v[72:73], off offset:32
	global_load_dwordx4 v[2:5], v[72:73], off offset:16
	global_load_dwordx4 v[6:9], v[72:73], off
	s_waitcnt vmcnt(4)
	v_bfe_u32 v10, v101, 3, 4
	v_cmp_gt_i16_sdwa s25, v101, v87 src0_sel:BYTE_0 src1_sel:DWORD
	v_cmp_eq_u32_e32 vcc_lo, 0, v10
	s_and_saveexec_b32 s26, s25
	s_xor_b32 s25, exec_lo, s26
; %bb.4:                                ;   in Loop: Header=BB95_3 Depth=1
	v_cmp_ne_u16_sdwa s24, v101, v88 src0_sel:BYTE_0 src1_sel:DWORD
	s_and_b32 s24, s24, exec_lo
; %bb.5:                                ;   in Loop: Header=BB95_3 Depth=1
	s_andn2_saveexec_b32 s25, s25
; %bb.6:                                ;   in Loop: Header=BB95_3 Depth=1
	v_cmp_ne_u16_sdwa s26, v101, v84 src0_sel:BYTE_0 src1_sel:DWORD
	s_andn2_b32 s24, s24, exec_lo
	s_and_b32 s26, s26, exec_lo
	s_or_b32 s24, s24, s26
; %bb.7:                                ;   in Loop: Header=BB95_3 Depth=1
	s_or_b32 exec_lo, exec_lo, s25
	v_and_b32_e32 v11, 7, v101
	v_add_nc_u32_e32 v10, -7, v10
	v_mov_b32_e32 v90, 0
	v_cvt_f32_ubyte0_e32 v11, v11
	v_cndmask_b32_e64 v10, v10, -9, vcc_lo
	v_fma_f32 v12, 0x3e000000, v11, 1.0
	v_cndmask_b32_e32 v11, v12, v11, vcc_lo
	v_ldexp_f32 v10, v11, v10
	v_mul_f32_e32 v103, 0.5, v10
	s_and_saveexec_b32 s25, s24
; %bb.8:                                ;   in Loop: Header=BB95_3 Depth=1
	v_mov_b32_e32 v90, v103
; %bb.9:                                ;   in Loop: Header=BB95_3 Depth=1
	s_or_b32 exec_lo, exec_lo, s25
	v_and_b32_sdwa v11, v89, v101 dst_sel:DWORD dst_unused:UNUSED_PAD src0_sel:DWORD src1_sel:BYTE_1
	v_cmp_gt_i16_sdwa s25, v101, v87 src0_sel:BYTE_1 src1_sel:DWORD
	s_mov_b32 s24, 0
	v_bfe_u32 v10, v11, 3, 4
	v_cmp_eq_u32_e32 vcc_lo, 0, v10
	s_and_saveexec_b32 s26, s25
	s_xor_b32 s25, exec_lo, s26
; %bb.10:                               ;   in Loop: Header=BB95_3 Depth=1
	v_cmp_ne_u16_sdwa s24, v101, v88 src0_sel:BYTE_1 src1_sel:DWORD
	s_and_b32 s24, s24, exec_lo
; %bb.11:                               ;   in Loop: Header=BB95_3 Depth=1
	s_andn2_saveexec_b32 s25, s25
; %bb.12:                               ;   in Loop: Header=BB95_3 Depth=1
	v_cmp_ne_u16_sdwa s26, v101, v84 src0_sel:BYTE_1 src1_sel:DWORD
	s_andn2_b32 s24, s24, exec_lo
	s_and_b32 s26, s26, exec_lo
	s_or_b32 s24, s24, s26
; %bb.13:                               ;   in Loop: Header=BB95_3 Depth=1
	s_or_b32 exec_lo, exec_lo, s25
	v_and_b32_e32 v11, 7, v11
	v_add_nc_u32_e32 v10, -7, v10
	v_mov_b32_e32 v92, 0
	v_cvt_f32_ubyte0_e32 v11, v11
	v_cndmask_b32_e64 v10, v10, -9, vcc_lo
	v_fma_f32 v12, 0x3e000000, v11, 1.0
	v_cndmask_b32_e32 v11, v12, v11, vcc_lo
	v_ldexp_f32 v10, v11, v10
	v_mul_f32_e32 v104, 0.5, v10
	s_and_saveexec_b32 s25, s24
; %bb.14:                               ;   in Loop: Header=BB95_3 Depth=1
	v_mov_b32_e32 v92, v104
; %bb.15:                               ;   in Loop: Header=BB95_3 Depth=1
	s_or_b32 exec_lo, exec_lo, s25
	v_add_nc_u32_e32 v10, s1, v85
	v_cmp_gt_i16_sdwa s25, v101, v87 src0_sel:BYTE_0 src1_sel:DWORD
	s_mov_b32 s24, 0
	v_mad_u64_u32 v[14:15], null, v10, 36, v[70:71]
	s_clause 0x2
	global_load_dword v93, v[14:15], off offset:32
	global_load_dwordx4 v[10:13], v[14:15], off offset:16
	global_load_dwordx4 v[14:17], v[14:15], off
	s_and_saveexec_b32 s26, s25
	s_xor_b32 s25, exec_lo, s26
	s_cbranch_execnz .LBB95_70
; %bb.16:                               ;   in Loop: Header=BB95_3 Depth=1
	s_andn2_saveexec_b32 s25, s25
	s_cbranch_execnz .LBB95_71
.LBB95_17:                              ;   in Loop: Header=BB95_3 Depth=1
	s_or_b32 exec_lo, exec_lo, s25
	v_mov_b32_e32 v94, 0
	s_and_saveexec_b32 s25, s24
.LBB95_18:                              ;   in Loop: Header=BB95_3 Depth=1
	v_mov_b32_e32 v94, v103
.LBB95_19:                              ;   in Loop: Header=BB95_3 Depth=1
	s_or_b32 exec_lo, exec_lo, s25
	v_cmp_gt_i16_sdwa s25, v101, v87 src0_sel:BYTE_1 src1_sel:DWORD
	s_mov_b32 s24, 0
	s_and_saveexec_b32 s26, s25
	s_xor_b32 s25, exec_lo, s26
	s_cbranch_execnz .LBB95_72
; %bb.20:                               ;   in Loop: Header=BB95_3 Depth=1
	s_andn2_saveexec_b32 s25, s25
	s_cbranch_execnz .LBB95_73
.LBB95_21:                              ;   in Loop: Header=BB95_3 Depth=1
	s_or_b32 exec_lo, exec_lo, s25
	v_mov_b32_e32 v95, 0
	s_and_saveexec_b32 s25, s24
.LBB95_22:                              ;   in Loop: Header=BB95_3 Depth=1
	v_mov_b32_e32 v95, v104
.LBB95_23:                              ;   in Loop: Header=BB95_3 Depth=1
	s_or_b32 exec_lo, exec_lo, s25
	v_add_nc_u32_e32 v18, s3, v85
	v_cmp_gt_i16_sdwa s25, v101, v87 src0_sel:BYTE_0 src1_sel:DWORD
	s_mov_b32 s24, 0
	v_mad_u64_u32 v[22:23], null, v18, 36, v[70:71]
	s_clause 0x2
	global_load_dword v97, v[22:23], off offset:32
	global_load_dwordx4 v[18:21], v[22:23], off offset:16
	global_load_dwordx4 v[22:25], v[22:23], off
	s_and_saveexec_b32 s26, s25
	s_xor_b32 s25, exec_lo, s26
	s_cbranch_execnz .LBB95_74
; %bb.24:                               ;   in Loop: Header=BB95_3 Depth=1
	s_andn2_saveexec_b32 s25, s25
	s_cbranch_execnz .LBB95_75
.LBB95_25:                              ;   in Loop: Header=BB95_3 Depth=1
	s_or_b32 exec_lo, exec_lo, s25
	v_mov_b32_e32 v96, 0
	s_and_saveexec_b32 s25, s24
.LBB95_26:                              ;   in Loop: Header=BB95_3 Depth=1
	v_mov_b32_e32 v96, v103
.LBB95_27:                              ;   in Loop: Header=BB95_3 Depth=1
	s_or_b32 exec_lo, exec_lo, s25
	v_cmp_gt_i16_sdwa s25, v101, v87 src0_sel:BYTE_1 src1_sel:DWORD
	s_mov_b32 s24, 0
	s_and_saveexec_b32 s26, s25
	s_xor_b32 s25, exec_lo, s26
	s_cbranch_execnz .LBB95_76
; %bb.28:                               ;   in Loop: Header=BB95_3 Depth=1
	s_andn2_saveexec_b32 s25, s25
	s_cbranch_execnz .LBB95_77
.LBB95_29:                              ;   in Loop: Header=BB95_3 Depth=1
	s_or_b32 exec_lo, exec_lo, s25
	v_mov_b32_e32 v98, 0
	s_and_saveexec_b32 s25, s24
.LBB95_30:                              ;   in Loop: Header=BB95_3 Depth=1
	v_mov_b32_e32 v98, v104
.LBB95_31:                              ;   in Loop: Header=BB95_3 Depth=1
	s_or_b32 exec_lo, exec_lo, s25
	v_add_nc_u32_e32 v30, s11, v85
	v_cmp_gt_i16_sdwa s25, v101, v87 src0_sel:BYTE_0 src1_sel:DWORD
	s_mov_b32 s24, 0
	v_mad_u64_u32 v[34:35], null, v30, 36, v[70:71]
	s_clause 0x2
	global_load_dword v99, v[34:35], off offset:32
	global_load_dwordx4 v[30:33], v[34:35], off offset:16
	global_load_dwordx4 v[34:37], v[34:35], off
	s_and_saveexec_b32 s26, s25
	s_xor_b32 s25, exec_lo, s26
	s_cbranch_execnz .LBB95_78
; %bb.32:                               ;   in Loop: Header=BB95_3 Depth=1
	s_andn2_saveexec_b32 s25, s25
	s_cbranch_execnz .LBB95_79
.LBB95_33:                              ;   in Loop: Header=BB95_3 Depth=1
	s_or_b32 exec_lo, exec_lo, s25
	v_mov_b32_e32 v100, 0
	s_and_saveexec_b32 s25, s24
.LBB95_34:                              ;   in Loop: Header=BB95_3 Depth=1
	v_mov_b32_e32 v100, v103
.LBB95_35:                              ;   in Loop: Header=BB95_3 Depth=1
	s_or_b32 exec_lo, exec_lo, s25
	v_cmp_gt_i16_sdwa s25, v101, v87 src0_sel:BYTE_1 src1_sel:DWORD
	s_mov_b32 s24, 0
	s_and_saveexec_b32 s26, s25
	s_xor_b32 s25, exec_lo, s26
	s_cbranch_execnz .LBB95_80
; %bb.36:                               ;   in Loop: Header=BB95_3 Depth=1
	s_andn2_saveexec_b32 s25, s25
	s_cbranch_execnz .LBB95_81
.LBB95_37:                              ;   in Loop: Header=BB95_3 Depth=1
	s_or_b32 exec_lo, exec_lo, s25
	v_mov_b32_e32 v102, 0
	s_and_saveexec_b32 s25, s24
.LBB95_38:                              ;   in Loop: Header=BB95_3 Depth=1
	v_mov_b32_e32 v102, v104
.LBB95_39:                              ;   in Loop: Header=BB95_3 Depth=1
	s_or_b32 exec_lo, exec_lo, s25
	v_add_nc_u32_e32 v38, s12, v85
	v_cmp_gt_i16_sdwa s25, v101, v87 src0_sel:BYTE_0 src1_sel:DWORD
	s_mov_b32 s24, 0
	v_mad_u64_u32 v[42:43], null, v38, 36, v[70:71]
	s_clause 0x2
	global_load_dword v106, v[42:43], off offset:32
	global_load_dwordx4 v[38:41], v[42:43], off offset:16
	global_load_dwordx4 v[42:45], v[42:43], off
	s_and_saveexec_b32 s26, s25
	s_xor_b32 s25, exec_lo, s26
	s_cbranch_execnz .LBB95_82
; %bb.40:                               ;   in Loop: Header=BB95_3 Depth=1
	s_andn2_saveexec_b32 s25, s25
	s_cbranch_execnz .LBB95_83
.LBB95_41:                              ;   in Loop: Header=BB95_3 Depth=1
	s_or_b32 exec_lo, exec_lo, s25
	v_mov_b32_e32 v105, 0
	s_and_saveexec_b32 s25, s24
.LBB95_42:                              ;   in Loop: Header=BB95_3 Depth=1
	v_mov_b32_e32 v105, v103
.LBB95_43:                              ;   in Loop: Header=BB95_3 Depth=1
	s_or_b32 exec_lo, exec_lo, s25
	v_cmp_gt_i16_sdwa s25, v101, v87 src0_sel:BYTE_1 src1_sel:DWORD
	s_mov_b32 s24, 0
	s_and_saveexec_b32 s26, s25
	s_xor_b32 s25, exec_lo, s26
	s_cbranch_execnz .LBB95_84
; %bb.44:                               ;   in Loop: Header=BB95_3 Depth=1
	s_andn2_saveexec_b32 s25, s25
	s_cbranch_execnz .LBB95_85
.LBB95_45:                              ;   in Loop: Header=BB95_3 Depth=1
	s_or_b32 exec_lo, exec_lo, s25
	v_mov_b32_e32 v107, 0
	s_and_saveexec_b32 s25, s24
.LBB95_46:                              ;   in Loop: Header=BB95_3 Depth=1
	v_mov_b32_e32 v107, v104
.LBB95_47:                              ;   in Loop: Header=BB95_3 Depth=1
	s_or_b32 exec_lo, exec_lo, s25
	v_add_nc_u32_e32 v46, s13, v85
	v_cmp_gt_i16_sdwa s25, v101, v87 src0_sel:BYTE_0 src1_sel:DWORD
	s_mov_b32 s24, 0
	v_mad_u64_u32 v[50:51], null, v46, 36, v[70:71]
	s_clause 0x2
	global_load_dword v110, v[50:51], off offset:32
	global_load_dwordx4 v[46:49], v[50:51], off offset:16
	global_load_dwordx4 v[50:53], v[50:51], off
	s_and_saveexec_b32 s26, s25
	s_xor_b32 s25, exec_lo, s26
	s_cbranch_execnz .LBB95_86
; %bb.48:                               ;   in Loop: Header=BB95_3 Depth=1
	s_andn2_saveexec_b32 s25, s25
	s_cbranch_execnz .LBB95_87
.LBB95_49:                              ;   in Loop: Header=BB95_3 Depth=1
	s_or_b32 exec_lo, exec_lo, s25
	v_mov_b32_e32 v109, 0
	s_and_saveexec_b32 s25, s24
.LBB95_50:                              ;   in Loop: Header=BB95_3 Depth=1
	v_mov_b32_e32 v109, v103
.LBB95_51:                              ;   in Loop: Header=BB95_3 Depth=1
	s_or_b32 exec_lo, exec_lo, s25
	v_cmp_gt_i16_sdwa s25, v101, v87 src0_sel:BYTE_1 src1_sel:DWORD
	s_mov_b32 s24, 0
	s_and_saveexec_b32 s26, s25
	s_xor_b32 s25, exec_lo, s26
	s_cbranch_execnz .LBB95_88
; %bb.52:                               ;   in Loop: Header=BB95_3 Depth=1
	s_andn2_saveexec_b32 s25, s25
	s_cbranch_execnz .LBB95_89
.LBB95_53:                              ;   in Loop: Header=BB95_3 Depth=1
	s_or_b32 exec_lo, exec_lo, s25
	v_mov_b32_e32 v111, 0
	s_and_saveexec_b32 s25, s24
.LBB95_54:                              ;   in Loop: Header=BB95_3 Depth=1
	v_mov_b32_e32 v111, v104
.LBB95_55:                              ;   in Loop: Header=BB95_3 Depth=1
	s_or_b32 exec_lo, exec_lo, s25
	v_add_nc_u32_e32 v54, s15, v85
	v_cmp_gt_i16_sdwa s25, v101, v87 src0_sel:BYTE_0 src1_sel:DWORD
	s_mov_b32 s24, 0
	v_mad_u64_u32 v[58:59], null, v54, 36, v[70:71]
	s_clause 0x2
	global_load_dword v113, v[58:59], off offset:32
	global_load_dwordx4 v[54:57], v[58:59], off offset:16
	global_load_dwordx4 v[58:61], v[58:59], off
	s_and_saveexec_b32 s26, s25
	s_xor_b32 s25, exec_lo, s26
	s_cbranch_execnz .LBB95_90
; %bb.56:                               ;   in Loop: Header=BB95_3 Depth=1
	s_andn2_saveexec_b32 s25, s25
	s_cbranch_execnz .LBB95_91
.LBB95_57:                              ;   in Loop: Header=BB95_3 Depth=1
	s_or_b32 exec_lo, exec_lo, s25
	v_mov_b32_e32 v112, 0
	s_and_saveexec_b32 s25, s24
.LBB95_58:                              ;   in Loop: Header=BB95_3 Depth=1
	v_mov_b32_e32 v112, v103
.LBB95_59:                              ;   in Loop: Header=BB95_3 Depth=1
	s_or_b32 exec_lo, exec_lo, s25
	v_cmp_gt_i16_sdwa s25, v101, v87 src0_sel:BYTE_1 src1_sel:DWORD
	s_mov_b32 s24, 0
	s_and_saveexec_b32 s26, s25
	s_xor_b32 s25, exec_lo, s26
	s_cbranch_execnz .LBB95_92
; %bb.60:                               ;   in Loop: Header=BB95_3 Depth=1
	s_andn2_saveexec_b32 s25, s25
	s_cbranch_execnz .LBB95_93
.LBB95_61:                              ;   in Loop: Header=BB95_3 Depth=1
	s_or_b32 exec_lo, exec_lo, s25
	v_mov_b32_e32 v115, 0
	s_and_saveexec_b32 s25, s24
.LBB95_62:                              ;   in Loop: Header=BB95_3 Depth=1
	v_mov_b32_e32 v115, v104
.LBB95_63:                              ;   in Loop: Header=BB95_3 Depth=1
	s_or_b32 exec_lo, exec_lo, s25
	v_add_nc_u32_e32 v62, s17, v85
	v_cmp_gt_i16_sdwa s25, v101, v87 src0_sel:BYTE_0 src1_sel:DWORD
	s_mov_b32 s24, 0
	v_mad_u64_u32 v[66:67], null, v62, 36, v[70:71]
	s_clause 0x2
	global_load_dword v114, v[66:67], off offset:32
	global_load_dwordx4 v[62:65], v[66:67], off offset:16
	global_load_dwordx4 v[66:69], v[66:67], off
	s_and_saveexec_b32 s26, s25
	s_xor_b32 s25, exec_lo, s26
	s_cbranch_execnz .LBB95_94
; %bb.64:                               ;   in Loop: Header=BB95_3 Depth=1
	s_andn2_saveexec_b32 s25, s25
	s_cbranch_execnz .LBB95_95
.LBB95_65:                              ;   in Loop: Header=BB95_3 Depth=1
	s_or_b32 exec_lo, exec_lo, s25
	v_mov_b32_e32 v108, 0
	s_and_saveexec_b32 s25, s24
.LBB95_66:                              ;   in Loop: Header=BB95_3 Depth=1
	v_mov_b32_e32 v108, v103
.LBB95_67:                              ;   in Loop: Header=BB95_3 Depth=1
	s_or_b32 exec_lo, exec_lo, s25
	v_cmp_gt_i16_sdwa s25, v101, v87 src0_sel:BYTE_1 src1_sel:DWORD
	s_mov_b32 s24, 0
	s_and_saveexec_b32 s26, s25
	s_xor_b32 s25, exec_lo, s26
	s_cbranch_execnz .LBB95_96
; %bb.68:                               ;   in Loop: Header=BB95_3 Depth=1
	s_andn2_saveexec_b32 s25, s25
	s_cbranch_execnz .LBB95_97
.LBB95_69:                              ;   in Loop: Header=BB95_3 Depth=1
	s_or_b32 exec_lo, exec_lo, s25
	v_mov_b32_e32 v101, 0
	s_and_saveexec_b32 s25, s24
	s_cbranch_execz .LBB95_2
	s_branch .LBB95_98
.LBB95_70:                              ;   in Loop: Header=BB95_3 Depth=1
	v_cmp_ne_u16_sdwa s24, v101, v88 src0_sel:BYTE_0 src1_sel:DWORD
	s_and_b32 s24, s24, exec_lo
	s_andn2_saveexec_b32 s25, s25
	s_cbranch_execz .LBB95_17
.LBB95_71:                              ;   in Loop: Header=BB95_3 Depth=1
	v_cmp_ne_u16_sdwa s26, v101, v84 src0_sel:BYTE_0 src1_sel:DWORD
	s_andn2_b32 s24, s24, exec_lo
	s_and_b32 s26, s26, exec_lo
	s_or_b32 s24, s24, s26
	s_or_b32 exec_lo, exec_lo, s25
	v_mov_b32_e32 v94, 0
	s_and_saveexec_b32 s25, s24
	s_cbranch_execnz .LBB95_18
	s_branch .LBB95_19
.LBB95_72:                              ;   in Loop: Header=BB95_3 Depth=1
	v_cmp_ne_u16_sdwa s24, v101, v88 src0_sel:BYTE_1 src1_sel:DWORD
	s_and_b32 s24, s24, exec_lo
	s_andn2_saveexec_b32 s25, s25
	s_cbranch_execz .LBB95_21
.LBB95_73:                              ;   in Loop: Header=BB95_3 Depth=1
	v_cmp_ne_u16_sdwa s26, v101, v84 src0_sel:BYTE_1 src1_sel:DWORD
	s_andn2_b32 s24, s24, exec_lo
	s_and_b32 s26, s26, exec_lo
	s_or_b32 s24, s24, s26
	s_or_b32 exec_lo, exec_lo, s25
	v_mov_b32_e32 v95, 0
	s_and_saveexec_b32 s25, s24
	s_cbranch_execnz .LBB95_22
	s_branch .LBB95_23
.LBB95_74:                              ;   in Loop: Header=BB95_3 Depth=1
	v_cmp_ne_u16_sdwa s24, v101, v88 src0_sel:BYTE_0 src1_sel:DWORD
	s_and_b32 s24, s24, exec_lo
	s_andn2_saveexec_b32 s25, s25
	s_cbranch_execz .LBB95_25
.LBB95_75:                              ;   in Loop: Header=BB95_3 Depth=1
	v_cmp_ne_u16_sdwa s26, v101, v84 src0_sel:BYTE_0 src1_sel:DWORD
	s_andn2_b32 s24, s24, exec_lo
	s_and_b32 s26, s26, exec_lo
	s_or_b32 s24, s24, s26
	s_or_b32 exec_lo, exec_lo, s25
	v_mov_b32_e32 v96, 0
	s_and_saveexec_b32 s25, s24
	s_cbranch_execnz .LBB95_26
	s_branch .LBB95_27
.LBB95_76:                              ;   in Loop: Header=BB95_3 Depth=1
	v_cmp_ne_u16_sdwa s24, v101, v88 src0_sel:BYTE_1 src1_sel:DWORD
	s_and_b32 s24, s24, exec_lo
	s_andn2_saveexec_b32 s25, s25
	s_cbranch_execz .LBB95_29
.LBB95_77:                              ;   in Loop: Header=BB95_3 Depth=1
	v_cmp_ne_u16_sdwa s26, v101, v84 src0_sel:BYTE_1 src1_sel:DWORD
	s_andn2_b32 s24, s24, exec_lo
	s_and_b32 s26, s26, exec_lo
	s_or_b32 s24, s24, s26
	s_or_b32 exec_lo, exec_lo, s25
	v_mov_b32_e32 v98, 0
	s_and_saveexec_b32 s25, s24
	s_cbranch_execnz .LBB95_30
	s_branch .LBB95_31
.LBB95_78:                              ;   in Loop: Header=BB95_3 Depth=1
	v_cmp_ne_u16_sdwa s24, v101, v88 src0_sel:BYTE_0 src1_sel:DWORD
	s_and_b32 s24, s24, exec_lo
	s_andn2_saveexec_b32 s25, s25
	s_cbranch_execz .LBB95_33
.LBB95_79:                              ;   in Loop: Header=BB95_3 Depth=1
	v_cmp_ne_u16_sdwa s26, v101, v84 src0_sel:BYTE_0 src1_sel:DWORD
	s_andn2_b32 s24, s24, exec_lo
	s_and_b32 s26, s26, exec_lo
	s_or_b32 s24, s24, s26
	s_or_b32 exec_lo, exec_lo, s25
	v_mov_b32_e32 v100, 0
	s_and_saveexec_b32 s25, s24
	s_cbranch_execnz .LBB95_34
	s_branch .LBB95_35
.LBB95_80:                              ;   in Loop: Header=BB95_3 Depth=1
	v_cmp_ne_u16_sdwa s24, v101, v88 src0_sel:BYTE_1 src1_sel:DWORD
	s_and_b32 s24, s24, exec_lo
	s_andn2_saveexec_b32 s25, s25
	s_cbranch_execz .LBB95_37
.LBB95_81:                              ;   in Loop: Header=BB95_3 Depth=1
	v_cmp_ne_u16_sdwa s26, v101, v84 src0_sel:BYTE_1 src1_sel:DWORD
	s_andn2_b32 s24, s24, exec_lo
	s_and_b32 s26, s26, exec_lo
	s_or_b32 s24, s24, s26
	s_or_b32 exec_lo, exec_lo, s25
	v_mov_b32_e32 v102, 0
	s_and_saveexec_b32 s25, s24
	s_cbranch_execnz .LBB95_38
	s_branch .LBB95_39
.LBB95_82:                              ;   in Loop: Header=BB95_3 Depth=1
	v_cmp_ne_u16_sdwa s24, v101, v88 src0_sel:BYTE_0 src1_sel:DWORD
	s_and_b32 s24, s24, exec_lo
	s_andn2_saveexec_b32 s25, s25
	s_cbranch_execz .LBB95_41
.LBB95_83:                              ;   in Loop: Header=BB95_3 Depth=1
	v_cmp_ne_u16_sdwa s26, v101, v84 src0_sel:BYTE_0 src1_sel:DWORD
	s_andn2_b32 s24, s24, exec_lo
	s_and_b32 s26, s26, exec_lo
	s_or_b32 s24, s24, s26
	s_or_b32 exec_lo, exec_lo, s25
	v_mov_b32_e32 v105, 0
	s_and_saveexec_b32 s25, s24
	s_cbranch_execnz .LBB95_42
	s_branch .LBB95_43
.LBB95_84:                              ;   in Loop: Header=BB95_3 Depth=1
	v_cmp_ne_u16_sdwa s24, v101, v88 src0_sel:BYTE_1 src1_sel:DWORD
	s_and_b32 s24, s24, exec_lo
	s_andn2_saveexec_b32 s25, s25
	s_cbranch_execz .LBB95_45
.LBB95_85:                              ;   in Loop: Header=BB95_3 Depth=1
	v_cmp_ne_u16_sdwa s26, v101, v84 src0_sel:BYTE_1 src1_sel:DWORD
	s_andn2_b32 s24, s24, exec_lo
	s_and_b32 s26, s26, exec_lo
	s_or_b32 s24, s24, s26
	s_or_b32 exec_lo, exec_lo, s25
	v_mov_b32_e32 v107, 0
	s_and_saveexec_b32 s25, s24
	s_cbranch_execnz .LBB95_46
	s_branch .LBB95_47
.LBB95_86:                              ;   in Loop: Header=BB95_3 Depth=1
	v_cmp_ne_u16_sdwa s24, v101, v88 src0_sel:BYTE_0 src1_sel:DWORD
	s_and_b32 s24, s24, exec_lo
	s_andn2_saveexec_b32 s25, s25
	s_cbranch_execz .LBB95_49
.LBB95_87:                              ;   in Loop: Header=BB95_3 Depth=1
	v_cmp_ne_u16_sdwa s26, v101, v84 src0_sel:BYTE_0 src1_sel:DWORD
	s_andn2_b32 s24, s24, exec_lo
	s_and_b32 s26, s26, exec_lo
	s_or_b32 s24, s24, s26
	s_or_b32 exec_lo, exec_lo, s25
	v_mov_b32_e32 v109, 0
	s_and_saveexec_b32 s25, s24
	s_cbranch_execnz .LBB95_50
	s_branch .LBB95_51
.LBB95_88:                              ;   in Loop: Header=BB95_3 Depth=1
	v_cmp_ne_u16_sdwa s24, v101, v88 src0_sel:BYTE_1 src1_sel:DWORD
	s_and_b32 s24, s24, exec_lo
	s_andn2_saveexec_b32 s25, s25
	s_cbranch_execz .LBB95_53
.LBB95_89:                              ;   in Loop: Header=BB95_3 Depth=1
	v_cmp_ne_u16_sdwa s26, v101, v84 src0_sel:BYTE_1 src1_sel:DWORD
	s_andn2_b32 s24, s24, exec_lo
	s_and_b32 s26, s26, exec_lo
	s_or_b32 s24, s24, s26
	s_or_b32 exec_lo, exec_lo, s25
	v_mov_b32_e32 v111, 0
	s_and_saveexec_b32 s25, s24
	s_cbranch_execnz .LBB95_54
	s_branch .LBB95_55
.LBB95_90:                              ;   in Loop: Header=BB95_3 Depth=1
	v_cmp_ne_u16_sdwa s24, v101, v88 src0_sel:BYTE_0 src1_sel:DWORD
	s_and_b32 s24, s24, exec_lo
	s_andn2_saveexec_b32 s25, s25
	s_cbranch_execz .LBB95_57
.LBB95_91:                              ;   in Loop: Header=BB95_3 Depth=1
	v_cmp_ne_u16_sdwa s26, v101, v84 src0_sel:BYTE_0 src1_sel:DWORD
	s_andn2_b32 s24, s24, exec_lo
	s_and_b32 s26, s26, exec_lo
	s_or_b32 s24, s24, s26
	s_or_b32 exec_lo, exec_lo, s25
	v_mov_b32_e32 v112, 0
	s_and_saveexec_b32 s25, s24
	s_cbranch_execnz .LBB95_58
	s_branch .LBB95_59
.LBB95_92:                              ;   in Loop: Header=BB95_3 Depth=1
	v_cmp_ne_u16_sdwa s24, v101, v88 src0_sel:BYTE_1 src1_sel:DWORD
	s_and_b32 s24, s24, exec_lo
	s_andn2_saveexec_b32 s25, s25
	s_cbranch_execz .LBB95_61
.LBB95_93:                              ;   in Loop: Header=BB95_3 Depth=1
	v_cmp_ne_u16_sdwa s26, v101, v84 src0_sel:BYTE_1 src1_sel:DWORD
	s_andn2_b32 s24, s24, exec_lo
	s_and_b32 s26, s26, exec_lo
	s_or_b32 s24, s24, s26
	s_or_b32 exec_lo, exec_lo, s25
	v_mov_b32_e32 v115, 0
	s_and_saveexec_b32 s25, s24
	s_cbranch_execnz .LBB95_62
	s_branch .LBB95_63
.LBB95_94:                              ;   in Loop: Header=BB95_3 Depth=1
	v_cmp_ne_u16_sdwa s24, v101, v88 src0_sel:BYTE_0 src1_sel:DWORD
	s_and_b32 s24, s24, exec_lo
	s_andn2_saveexec_b32 s25, s25
	s_cbranch_execz .LBB95_65
.LBB95_95:                              ;   in Loop: Header=BB95_3 Depth=1
	v_cmp_ne_u16_sdwa s26, v101, v84 src0_sel:BYTE_0 src1_sel:DWORD
	s_andn2_b32 s24, s24, exec_lo
	s_and_b32 s26, s26, exec_lo
	s_or_b32 s24, s24, s26
	s_or_b32 exec_lo, exec_lo, s25
	v_mov_b32_e32 v108, 0
	s_and_saveexec_b32 s25, s24
	s_cbranch_execnz .LBB95_66
	s_branch .LBB95_67
.LBB95_96:                              ;   in Loop: Header=BB95_3 Depth=1
	v_cmp_ne_u16_sdwa s24, v101, v88 src0_sel:BYTE_1 src1_sel:DWORD
                                        ; implicit-def: $vgpr101
	s_and_b32 s24, s24, exec_lo
	s_andn2_saveexec_b32 s25, s25
	s_cbranch_execz .LBB95_69
.LBB95_97:                              ;   in Loop: Header=BB95_3 Depth=1
	v_cmp_ne_u16_sdwa s26, v101, v84 src0_sel:BYTE_1 src1_sel:DWORD
	s_andn2_b32 s24, s24, exec_lo
	s_and_b32 s26, s26, exec_lo
	s_or_b32 s24, s24, s26
	s_or_b32 exec_lo, exec_lo, s25
	v_mov_b32_e32 v101, 0
	s_and_saveexec_b32 s25, s24
	s_cbranch_execz .LBB95_2
.LBB95_98:                              ;   in Loop: Header=BB95_3 Depth=1
	v_mov_b32_e32 v101, v104
	s_branch .LBB95_2
.LBB95_99:
	s_or_b32 exec_lo, exec_lo, s16
.LBB95_100:
	s_or_b32 exec_lo, exec_lo, s9
	s_mov_b32 s1, 0
	; wave barrier
	buffer_gl0_inv
	s_mov_b32 s0, exec_lo
	v_cmpx_eq_u32_e32 0, v1
	s_cbranch_execz .LBB95_117
; %bb.101:
	v_mbcnt_lo_u32_b32 v5, -1, 0
	s_load_dwordx2 s[4:5], s[4:5], 0x38
	s_mul_i32 s0, s14, s7
	s_mul_i32 s3, s18, s8
	s_add_i32 s0, s0, s6
	v_xor_b32_e32 v1, 16, v5
	v_xor_b32_e32 v2, 8, v5
	;; [unrolled: 1-line block ×3, first 2 shown]
	s_add_i32 s0, s0, s3
	s_lshl_b64 s[0:1], s[0:1], 2
	v_cmp_gt_i32_e32 vcc_lo, 32, v1
	v_cndmask_b32_e32 v1, v5, v1, vcc_lo
	v_cmp_gt_i32_e32 vcc_lo, 32, v2
	v_lshlrev_b32_e32 v1, 2, v1
	v_cndmask_b32_e32 v2, v5, v2, vcc_lo
	s_waitcnt lgkmcnt(0)
	s_add_u32 s0, s4, s0
	s_addc_u32 s1, s5, s1
	ds_bpermute_b32 v3, v1, v82
	v_lshlrev_b32_e32 v2, 2, v2
	s_waitcnt lgkmcnt(0)
	v_add_f32_e32 v4, v82, v3
	v_xor_b32_e32 v3, 4, v5
	ds_bpermute_b32 v6, v2, v4
	v_cmp_gt_i32_e32 vcc_lo, 32, v3
	v_cndmask_b32_e32 v3, v5, v3, vcc_lo
	v_lshlrev_b32_e32 v3, 2, v3
	s_waitcnt lgkmcnt(0)
	v_add_f32_e32 v6, v4, v6
	v_xor_b32_e32 v4, 2, v5
	ds_bpermute_b32 v7, v3, v6
	v_cmp_gt_i32_e32 vcc_lo, 32, v4
	v_cndmask_b32_e32 v4, v5, v4, vcc_lo
	v_cmp_gt_i32_e32 vcc_lo, 32, v8
	v_lshlrev_b32_e32 v4, 2, v4
	v_cndmask_b32_e32 v5, v5, v8, vcc_lo
	v_cmp_eq_u32_e32 vcc_lo, 0, v0
	v_lshlrev_b32_e32 v5, 2, v5
	s_waitcnt lgkmcnt(0)
	v_add_f32_e32 v6, v6, v7
	ds_bpermute_b32 v7, v4, v6
	s_waitcnt lgkmcnt(0)
	v_add_f32_e32 v6, v6, v7
	ds_bpermute_b32 v7, v5, v6
	s_and_saveexec_b32 s3, vcc_lo
	s_cbranch_execz .LBB95_103
; %bb.102:
	s_waitcnt lgkmcnt(0)
	v_add_f32_e32 v0, v6, v7
	v_mov_b32_e32 v6, 0
	global_store_dword v6, v0, s[0:1]
.LBB95_103:
	s_or_b32 exec_lo, exec_lo, s3
	ds_bpermute_b32 v0, v1, v80
	s_waitcnt lgkmcnt(0)
	v_add_f32_e32 v0, v80, v0
	ds_bpermute_b32 v6, v2, v0
	s_waitcnt lgkmcnt(0)
	v_add_f32_e32 v0, v0, v6
	;; [unrolled: 3-line block ×4, first 2 shown]
	ds_bpermute_b32 v6, v5, v0
	s_and_saveexec_b32 s4, vcc_lo
	s_cbranch_execz .LBB95_105
; %bb.104:
	s_mov_b32 s3, 0
	s_waitcnt lgkmcnt(0)
	v_add_f32_e32 v0, v0, v6
	s_lshl_b64 s[6:7], s[2:3], 2
	v_mov_b32_e32 v6, 0
	s_add_u32 s6, s0, s6
	s_addc_u32 s7, s1, s7
	global_store_dword v6, v0, s[6:7]
.LBB95_105:
	s_or_b32 exec_lo, exec_lo, s4
	ds_bpermute_b32 v0, v1, v79
	s_waitcnt lgkmcnt(0)
	v_add_f32_e32 v0, v79, v0
	ds_bpermute_b32 v6, v2, v0
	s_waitcnt lgkmcnt(0)
	v_add_f32_e32 v0, v0, v6
	;; [unrolled: 3-line block ×4, first 2 shown]
	ds_bpermute_b32 v6, v5, v0
	s_and_saveexec_b32 s3, vcc_lo
	s_cbranch_execz .LBB95_107
; %bb.106:
	s_lshl_b32 s4, s2, 1
	s_mov_b32 s5, 0
	s_waitcnt lgkmcnt(0)
	v_add_f32_e32 v0, v0, v6
	s_lshl_b64 s[4:5], s[4:5], 2
	v_mov_b32_e32 v6, 0
	s_add_u32 s4, s0, s4
	s_addc_u32 s5, s1, s5
	global_store_dword v6, v0, s[4:5]
.LBB95_107:
	s_or_b32 exec_lo, exec_lo, s3
	ds_bpermute_b32 v0, v1, v78
	s_waitcnt lgkmcnt(0)
	v_add_f32_e32 v0, v78, v0
	ds_bpermute_b32 v6, v2, v0
	s_waitcnt lgkmcnt(0)
	v_add_f32_e32 v0, v0, v6
	;; [unrolled: 3-line block ×4, first 2 shown]
	ds_bpermute_b32 v6, v5, v0
	s_and_saveexec_b32 s3, vcc_lo
	s_cbranch_execz .LBB95_109
; %bb.108:
	s_mul_i32 s4, s2, 3
	s_mov_b32 s5, 0
	s_waitcnt lgkmcnt(0)
	v_add_f32_e32 v0, v0, v6
	s_lshl_b64 s[4:5], s[4:5], 2
	v_mov_b32_e32 v6, 0
	s_add_u32 s4, s0, s4
	s_addc_u32 s5, s1, s5
	global_store_dword v6, v0, s[4:5]
.LBB95_109:
	s_or_b32 exec_lo, exec_lo, s3
	ds_bpermute_b32 v0, v1, v77
	s_waitcnt lgkmcnt(0)
	v_add_f32_e32 v0, v77, v0
	ds_bpermute_b32 v6, v2, v0
	s_waitcnt lgkmcnt(0)
	v_add_f32_e32 v0, v0, v6
	;; [unrolled: 3-line block ×4, first 2 shown]
	ds_bpermute_b32 v6, v5, v0
	s_and_saveexec_b32 s3, vcc_lo
	s_cbranch_execz .LBB95_111
; %bb.110:
	s_lshl_b32 s4, s2, 2
	s_mov_b32 s5, 0
	s_waitcnt lgkmcnt(0)
	v_add_f32_e32 v0, v0, v6
	s_lshl_b64 s[4:5], s[4:5], 2
	v_mov_b32_e32 v6, 0
	s_add_u32 s4, s0, s4
	s_addc_u32 s5, s1, s5
	global_store_dword v6, v0, s[4:5]
.LBB95_111:
	s_or_b32 exec_lo, exec_lo, s3
	ds_bpermute_b32 v0, v1, v76
	s_waitcnt lgkmcnt(0)
	v_add_f32_e32 v0, v76, v0
	ds_bpermute_b32 v6, v2, v0
	s_waitcnt lgkmcnt(0)
	v_add_f32_e32 v0, v0, v6
	;; [unrolled: 3-line block ×4, first 2 shown]
	ds_bpermute_b32 v6, v5, v0
	s_and_saveexec_b32 s3, vcc_lo
	s_cbranch_execz .LBB95_113
; %bb.112:
	s_mul_i32 s4, s2, 5
	s_mov_b32 s5, 0
	s_waitcnt lgkmcnt(0)
	v_add_f32_e32 v0, v0, v6
	s_lshl_b64 s[4:5], s[4:5], 2
	v_mov_b32_e32 v6, 0
	s_add_u32 s4, s0, s4
	s_addc_u32 s5, s1, s5
	global_store_dword v6, v0, s[4:5]
.LBB95_113:
	s_or_b32 exec_lo, exec_lo, s3
	ds_bpermute_b32 v0, v1, v75
	s_waitcnt lgkmcnt(0)
	v_add_f32_e32 v0, v75, v0
	ds_bpermute_b32 v6, v2, v0
	s_waitcnt lgkmcnt(0)
	v_add_f32_e32 v0, v0, v6
	ds_bpermute_b32 v6, v3, v0
	s_waitcnt lgkmcnt(0)
	v_add_f32_e32 v0, v0, v6
	ds_bpermute_b32 v6, v4, v0
	s_waitcnt lgkmcnt(0)
	v_add_f32_e32 v0, v0, v6
	ds_bpermute_b32 v6, v5, v0
	s_and_saveexec_b32 s3, vcc_lo
	s_cbranch_execz .LBB95_115
; %bb.114:
	s_mul_i32 s4, s2, 6
	s_mov_b32 s5, 0
	s_waitcnt lgkmcnt(0)
	v_add_f32_e32 v0, v0, v6
	s_lshl_b64 s[4:5], s[4:5], 2
	v_mov_b32_e32 v6, 0
	s_add_u32 s4, s0, s4
	s_addc_u32 s5, s1, s5
	global_store_dword v6, v0, s[4:5]
.LBB95_115:
	s_or_b32 exec_lo, exec_lo, s3
	ds_bpermute_b32 v0, v1, v74
	s_waitcnt lgkmcnt(0)
	v_add_f32_e32 v0, v74, v0
	ds_bpermute_b32 v1, v2, v0
	s_waitcnt lgkmcnt(0)
	v_add_f32_e32 v0, v0, v1
	;; [unrolled: 3-line block ×4, first 2 shown]
	ds_bpermute_b32 v1, v5, v0
	s_and_b32 exec_lo, exec_lo, vcc_lo
	s_cbranch_execz .LBB95_117
; %bb.116:
	s_mul_i32 s2, s2, 7
	s_mov_b32 s3, 0
	s_waitcnt lgkmcnt(0)
	v_add_f32_e32 v0, v0, v1
	s_lshl_b64 s[2:3], s[2:3], 2
	v_mov_b32_e32 v1, 0
	s_add_u32 s0, s0, s2
	s_addc_u32 s1, s1, s3
	global_store_dword v1, v0, s[0:1]
.LBB95_117:
	s_endpgm
	.section	.rodata,"a",@progbits
	.p2align	6, 0x0
	.amdhsa_kernel _ZL13mul_mat_vec_qIL9ggml_type40ELi8ELb0ELb0EEvPKvS2_PKi31ggml_cuda_mm_fusion_args_devicePfj15HIP_vector_typeIjLj3EEjjjS8_jjjS8_jjjj
		.amdhsa_group_segment_fixed_size 0
		.amdhsa_private_segment_fixed_size 0
		.amdhsa_kernarg_size 144
		.amdhsa_user_sgpr_count 6
		.amdhsa_user_sgpr_private_segment_buffer 1
		.amdhsa_user_sgpr_dispatch_ptr 0
		.amdhsa_user_sgpr_queue_ptr 0
		.amdhsa_user_sgpr_kernarg_segment_ptr 1
		.amdhsa_user_sgpr_dispatch_id 0
		.amdhsa_user_sgpr_flat_scratch_init 0
		.amdhsa_user_sgpr_private_segment_size 0
		.amdhsa_wavefront_size32 1
		.amdhsa_uses_dynamic_stack 0
		.amdhsa_system_sgpr_private_segment_wavefront_offset 0
		.amdhsa_system_sgpr_workgroup_id_x 1
		.amdhsa_system_sgpr_workgroup_id_y 1
		.amdhsa_system_sgpr_workgroup_id_z 1
		.amdhsa_system_sgpr_workgroup_info 0
		.amdhsa_system_vgpr_workitem_id 1
		.amdhsa_next_free_vgpr 120
		.amdhsa_next_free_sgpr 28
		.amdhsa_reserve_vcc 1
		.amdhsa_reserve_flat_scratch 0
		.amdhsa_float_round_mode_32 0
		.amdhsa_float_round_mode_16_64 0
		.amdhsa_float_denorm_mode_32 3
		.amdhsa_float_denorm_mode_16_64 3
		.amdhsa_dx10_clamp 1
		.amdhsa_ieee_mode 1
		.amdhsa_fp16_overflow 0
		.amdhsa_workgroup_processor_mode 1
		.amdhsa_memory_ordered 1
		.amdhsa_forward_progress 1
		.amdhsa_shared_vgpr_count 0
		.amdhsa_exception_fp_ieee_invalid_op 0
		.amdhsa_exception_fp_denorm_src 0
		.amdhsa_exception_fp_ieee_div_zero 0
		.amdhsa_exception_fp_ieee_overflow 0
		.amdhsa_exception_fp_ieee_underflow 0
		.amdhsa_exception_fp_ieee_inexact 0
		.amdhsa_exception_int_div_zero 0
	.end_amdhsa_kernel
	.section	.text._ZL13mul_mat_vec_qIL9ggml_type40ELi8ELb0ELb0EEvPKvS2_PKi31ggml_cuda_mm_fusion_args_devicePfj15HIP_vector_typeIjLj3EEjjjS8_jjjS8_jjjj,"axG",@progbits,_ZL13mul_mat_vec_qIL9ggml_type40ELi8ELb0ELb0EEvPKvS2_PKi31ggml_cuda_mm_fusion_args_devicePfj15HIP_vector_typeIjLj3EEjjjS8_jjjS8_jjjj,comdat
.Lfunc_end95:
	.size	_ZL13mul_mat_vec_qIL9ggml_type40ELi8ELb0ELb0EEvPKvS2_PKi31ggml_cuda_mm_fusion_args_devicePfj15HIP_vector_typeIjLj3EEjjjS8_jjjS8_jjjj, .Lfunc_end95-_ZL13mul_mat_vec_qIL9ggml_type40ELi8ELb0ELb0EEvPKvS2_PKi31ggml_cuda_mm_fusion_args_devicePfj15HIP_vector_typeIjLj3EEjjjS8_jjjS8_jjjj
                                        ; -- End function
	.set _ZL13mul_mat_vec_qIL9ggml_type40ELi8ELb0ELb0EEvPKvS2_PKi31ggml_cuda_mm_fusion_args_devicePfj15HIP_vector_typeIjLj3EEjjjS8_jjjS8_jjjj.num_vgpr, 120
	.set _ZL13mul_mat_vec_qIL9ggml_type40ELi8ELb0ELb0EEvPKvS2_PKi31ggml_cuda_mm_fusion_args_devicePfj15HIP_vector_typeIjLj3EEjjjS8_jjjS8_jjjj.num_agpr, 0
	.set _ZL13mul_mat_vec_qIL9ggml_type40ELi8ELb0ELb0EEvPKvS2_PKi31ggml_cuda_mm_fusion_args_devicePfj15HIP_vector_typeIjLj3EEjjjS8_jjjS8_jjjj.numbered_sgpr, 28
	.set _ZL13mul_mat_vec_qIL9ggml_type40ELi8ELb0ELb0EEvPKvS2_PKi31ggml_cuda_mm_fusion_args_devicePfj15HIP_vector_typeIjLj3EEjjjS8_jjjS8_jjjj.num_named_barrier, 0
	.set _ZL13mul_mat_vec_qIL9ggml_type40ELi8ELb0ELb0EEvPKvS2_PKi31ggml_cuda_mm_fusion_args_devicePfj15HIP_vector_typeIjLj3EEjjjS8_jjjS8_jjjj.private_seg_size, 0
	.set _ZL13mul_mat_vec_qIL9ggml_type40ELi8ELb0ELb0EEvPKvS2_PKi31ggml_cuda_mm_fusion_args_devicePfj15HIP_vector_typeIjLj3EEjjjS8_jjjS8_jjjj.uses_vcc, 1
	.set _ZL13mul_mat_vec_qIL9ggml_type40ELi8ELb0ELb0EEvPKvS2_PKi31ggml_cuda_mm_fusion_args_devicePfj15HIP_vector_typeIjLj3EEjjjS8_jjjS8_jjjj.uses_flat_scratch, 0
	.set _ZL13mul_mat_vec_qIL9ggml_type40ELi8ELb0ELb0EEvPKvS2_PKi31ggml_cuda_mm_fusion_args_devicePfj15HIP_vector_typeIjLj3EEjjjS8_jjjS8_jjjj.has_dyn_sized_stack, 0
	.set _ZL13mul_mat_vec_qIL9ggml_type40ELi8ELb0ELb0EEvPKvS2_PKi31ggml_cuda_mm_fusion_args_devicePfj15HIP_vector_typeIjLj3EEjjjS8_jjjS8_jjjj.has_recursion, 0
	.set _ZL13mul_mat_vec_qIL9ggml_type40ELi8ELb0ELb0EEvPKvS2_PKi31ggml_cuda_mm_fusion_args_devicePfj15HIP_vector_typeIjLj3EEjjjS8_jjjS8_jjjj.has_indirect_call, 0
	.section	.AMDGPU.csdata,"",@progbits
; Kernel info:
; codeLenInByte = 4944
; TotalNumSgprs: 30
; NumVgprs: 120
; ScratchSize: 0
; MemoryBound: 0
; FloatMode: 240
; IeeeMode: 1
; LDSByteSize: 0 bytes/workgroup (compile time only)
; SGPRBlocks: 0
; VGPRBlocks: 14
; NumSGPRsForWavesPerEU: 30
; NumVGPRsForWavesPerEU: 120
; Occupancy: 8
; WaveLimiterHint : 0
; COMPUTE_PGM_RSRC2:SCRATCH_EN: 0
; COMPUTE_PGM_RSRC2:USER_SGPR: 6
; COMPUTE_PGM_RSRC2:TRAP_HANDLER: 0
; COMPUTE_PGM_RSRC2:TGID_X_EN: 1
; COMPUTE_PGM_RSRC2:TGID_Y_EN: 1
; COMPUTE_PGM_RSRC2:TGID_Z_EN: 1
; COMPUTE_PGM_RSRC2:TIDIG_COMP_CNT: 1
	.section	.text._ZL17mul_mat_vec_q_moeIL9ggml_type10ELi2EEvPKvS2_PKiPfj15HIP_vector_typeIjLj3EEjjjjjjjjj,"axG",@progbits,_ZL17mul_mat_vec_q_moeIL9ggml_type10ELi2EEvPKvS2_PKiPfj15HIP_vector_typeIjLj3EEjjjjjjjjj,comdat
	.globl	_ZL17mul_mat_vec_q_moeIL9ggml_type10ELi2EEvPKvS2_PKiPfj15HIP_vector_typeIjLj3EEjjjjjjjjj ; -- Begin function _ZL17mul_mat_vec_q_moeIL9ggml_type10ELi2EEvPKvS2_PKiPfj15HIP_vector_typeIjLj3EEjjjjjjjjj
	.p2align	8
	.type	_ZL17mul_mat_vec_q_moeIL9ggml_type10ELi2EEvPKvS2_PKiPfj15HIP_vector_typeIjLj3EEjjjjjjjjj,@function
_ZL17mul_mat_vec_q_moeIL9ggml_type10ELi2EEvPKvS2_PKiPfj15HIP_vector_typeIjLj3EEjjjjjjjjj: ; @_ZL17mul_mat_vec_q_moeIL9ggml_type10ELi2EEvPKvS2_PKiPfj15HIP_vector_typeIjLj3EEjjjjjjjjj
; %bb.0:
	s_load_dwordx8 s[16:23], s[4:5], 0x30
	s_mov_b32 s0, exec_lo
	s_waitcnt lgkmcnt(0)
	v_cmpx_gt_u32_e64 s23, v1
	s_cbranch_execz .LBB96_7
; %bb.1:
	s_clause 0x2
	s_load_dword s1, s[4:5], 0x20
	s_load_dword s0, s[4:5], 0x50
	s_load_dwordx8 s[8:15], s[4:5], 0x0
	v_lshrrev_b32_e32 v8, 4, v0
	v_mov_b32_e32 v2, 0
	v_mov_b32_e32 v3, 0
	s_mov_b32 s2, s7
	s_waitcnt lgkmcnt(0)
	s_lshr_b32 s3, s1, 8
	s_lshl_b32 s1, s6, 1
	s_mov_b32 s6, exec_lo
	v_cmpx_gt_u32_e64 s3, v8
	s_cbranch_execz .LBB96_5
; %bb.2:
	v_mad_u64_u32 v[2:3], null, s0, v1, s[2:3]
	v_mov_b32_e32 v3, 0
	s_load_dwordx4 s[24:27], s[4:5], 0x24
	v_lshrrev_b32_e32 v10, 4, v0
	v_mul_lo_u32 v6, s18, v1
	v_and_b32_e32 v13, 15, v0
	v_and_b32_e32 v7, 7, v0
	v_lshlrev_b64 v[4:5], 2, v[2:3]
	v_bfe_u32 v9, v0, 2, 1
	s_add_i32 s4, s1, 1
	v_and_or_b32 v9, v0, 8, v9
	v_add_co_u32 v4, vcc_lo, s12, v4
	v_add_co_ci_u32_e64 v5, null, s13, v5, vcc_lo
	global_load_dword v2, v[4:5], off
	v_bfe_u32 v4, v0, 3, 1
	s_waitcnt lgkmcnt(0)
	s_mul_hi_u32 s0, s24, s2
	s_add_i32 s0, s2, s0
	v_mul_hi_u32_u24_e32 v5, 0x90, v4
	v_mul_u32_u24_e32 v4, 0x90, v4
	s_lshr_b32 s0, s0, s25
	s_mul_i32 s0, s0, s26
	v_mad_u64_u32 v[4:5], null, 0x120, v10, v[4:5]
	s_sub_i32 s0, s2, s0
	v_lshlrev_b32_e32 v10, 2, v7
	s_mul_i32 s0, s0, s21
	s_mul_i32 s5, s0, 36
	s_mul_hi_u32 s0, s0, 36
	v_mad_u64_u32 v[11:12], null, v6, 36, v[4:5]
	s_add_u32 s5, s10, s5
	s_addc_u32 s0, s11, s0
	s_waitcnt vmcnt(0)
	v_mul_lo_u32 v2, v2, s20
	v_mad_u64_u32 v[4:5], null, s1, s17, v[2:3]
	v_mad_u64_u32 v[5:6], null, s17, s4, v[2:3]
	v_add_co_u32 v6, vcc_lo, s5, v11
	v_add_co_ci_u32_e64 v7, null, s0, v12, vcc_lo
	v_lshlrev_b32_e32 v11, 2, v13
	v_mov_b32_e32 v2, v3
	s_mov_b32 s4, 0
.LBB96_3:                               ; =>This Inner Loop Header: Depth=1
	v_add_nc_u32_e32 v14, v4, v8
	v_add_co_u32 v12, vcc_lo, v6, v10
	v_add_co_ci_u32_e64 v13, null, 0, v7, vcc_lo
	v_add_nc_u32_e32 v16, v5, v8
	v_mad_i64_i32 v[14:15], null, 0x54, v14, s[8:9]
	s_clause 0x7
	global_load_dword v24, v[6:7], off
	global_load_dword v25, v[6:7], off offset:36
	global_load_dword v26, v[6:7], off offset:72
	;; [unrolled: 1-line block ×7, first 2 shown]
	v_mad_i64_i32 v[12:13], null, 0x54, v16, s[8:9]
	v_mov_b32_e32 v40, 0
	v_mov_b32_e32 v41, 0
	v_add_co_u32 v16, vcc_lo, v14, v11
	v_add_co_ci_u32_e64 v17, null, 0, v15, vcc_lo
	v_add_co_u32 v18, vcc_lo, v14, v9
	v_add_co_ci_u32_e64 v19, null, 0, v15, vcc_lo
	;; [unrolled: 2-line block ×4, first 2 shown]
	s_clause 0xb
	global_load_dword v16, v[16:17], off offset:16
	global_load_ubyte v17, v[18:19], off
	global_load_ubyte v32, v[18:19], off offset:2
	global_load_ubyte v33, v[18:19], off offset:4
	global_load_ubyte v34, v[22:23], off
	global_load_ubyte v35, v[22:23], off offset:2
	global_load_ubyte v36, v[22:23], off offset:4
	;; [unrolled: 1-line block ×4, first 2 shown]
	global_load_dword v19, v[20:21], off offset:16
	global_load_dword v12, v[12:13], off offset:80
	;; [unrolled: 1-line block ×3, first 2 shown]
	v_mov_b32_e32 v14, 0
	v_mov_b32_e32 v20, 0
	;; [unrolled: 1-line block ×14, first 2 shown]
	v_add_nc_u32_e32 v8, 2, v8
	v_add_co_u32 v6, vcc_lo, 0x240, v6
	v_add_co_ci_u32_e64 v7, null, 0, v7, vcc_lo
	v_cmp_le_u32_e64 s0, s3, v8
	s_or_b32 s4, s0, s4
	s_waitcnt vmcnt(11)
	v_and_b32_e32 v48, 0x3030303, v16
	s_waitcnt vmcnt(10)
	v_and_b32_e32 v49, 15, v17
	v_lshrrev_b32_e32 v17, 4, v17
	v_lshrrev_b32_e32 v50, 2, v16
	s_waitcnt vmcnt(7)
	v_and_b32_e32 v57, 15, v34
	v_lshrrev_b32_e32 v34, 4, v34
	v_dot4c_i32_i8 v14, v48, v28
	v_and_b32_e32 v51, 15, v32
	v_lshrrev_b32_e32 v32, 4, v32
	s_waitcnt vmcnt(2)
	v_and_b32_e32 v56, 0x3030303, v19
	v_lshrrev_b32_e32 v52, 4, v16
	v_and_b32_e32 v53, 15, v33
	v_lshrrev_b32_e32 v33, 4, v33
	v_lshrrev_b32_e32 v16, 6, v16
	;; [unrolled: 1-line block ×3, first 2 shown]
	v_and_b32_e32 v48, 15, v35
	v_lshrrev_b32_e32 v35, 4, v35
	v_mul_lo_u32 v14, v49, v14
	v_and_b32_e32 v49, 15, v36
	v_lshrrev_b32_e32 v36, 4, v36
	v_and_b32_e32 v50, 0x3030303, v50
	v_mul_lo_u32 v17, 0x1010101, v17
	v_mul_lo_u32 v34, 0x1010101, v34
	v_dot4c_i32_i8 v40, v56, v28
	v_lshrrev_b32_e32 v56, 4, v19
	v_and_b32_e32 v54, 15, v18
	v_lshrrev_b32_e32 v18, 4, v18
	v_dot4c_i32_i8 v20, v50, v29
	v_and_b32_e32 v50, 15, v22
	v_lshrrev_b32_e32 v22, 4, v22
	v_mul_lo_u32 v32, 0x1010101, v32
	v_mul_lo_u32 v33, 0x1010101, v33
	v_and_b32_e32 v16, 0x3030303, v16
	v_and_b32_e32 v58, 0x3030303, v58
	v_mul_lo_u32 v35, 0x1010101, v35
	v_mul_lo_u32 v36, 0x1010101, v36
	v_lshrrev_b32_e32 v19, 6, v19
	v_and_b32_e32 v52, 0x3030303, v52
	v_and_b32_e32 v56, 0x3030303, v56
	v_dot4c_i32_i8 v15, v17, v28
	v_dot4c_i32_i8 v41, v34, v28
	v_mul_lo_u32 v18, 0x1010101, v18
	v_mul_lo_u32 v22, 0x1010101, v22
	v_dot4c_i32_i8 v38, v16, v31
	v_mul_lo_u32 v16, v57, v40
	v_dot4c_i32_i8 v42, v58, v29
	v_dot4c_i32_i8 v23, v52, v30
	v_and_b32_e32 v19, 0x3030303, v19
	v_dot4c_i32_i8 v44, v56, v30
	v_dot4c_i32_i8 v21, v32, v29
	;; [unrolled: 1-line block ×5, first 2 shown]
	v_cvt_f32_i32_e32 v15, v15
	v_cvt_f32_i32_e32 v30, v41
	v_mul_lo_u32 v17, v51, v20
	v_mul_lo_u32 v20, v48, v42
	v_dot4c_i32_i8 v46, v19, v31
	v_dot4c_i32_i8 v39, v18, v31
	;; [unrolled: 1-line block ×3, first 2 shown]
	v_cvt_f32_i32_e32 v14, v14
	v_cvt_f32_i32_e32 v21, v21
	;; [unrolled: 1-line block ×4, first 2 shown]
	v_fma_mix_f32 v15, v24, v15, 0 op_sel_hi:[1,0,0]
	v_fma_mix_f32 v30, v24, v30, 0 op_sel_hi:[1,0,0]
	v_mul_lo_u32 v18, v53, v23
	v_mul_lo_u32 v22, v49, v44
	v_cvt_f32_i32_e32 v28, v37
	v_cvt_f32_i32_e32 v32, v45
	v_fma_mix_f32 v14, v24, v14, 0 op_sel_hi:[1,0,0]
	v_cvt_f32_i32_e32 v17, v17
	v_fma_mix_f32 v16, v24, v16, 0 op_sel_hi:[1,0,0]
	;; [unrolled: 2-line block ×3, first 2 shown]
	v_fma_mix_f32 v21, v25, v31, v30 op_sel_hi:[1,0,0]
	v_mul_lo_u32 v19, v54, v38
	v_mul_lo_u32 v23, v50, v46
	v_cvt_f32_i32_e32 v29, v39
	v_cvt_f32_i32_e32 v33, v47
	;; [unrolled: 1-line block ×4, first 2 shown]
	v_fma_mix_f32 v14, v25, v17, v14 op_sel_hi:[1,0,0]
	v_fma_mix_f32 v16, v25, v20, v16 op_sel_hi:[1,0,0]
	;; [unrolled: 1-line block ×4, first 2 shown]
	s_waitcnt vmcnt(0)
	v_cvt_f32_f16_sdwa v55, v13 dst_sel:DWORD dst_unused:UNUSED_PAD src0_sel:WORD_1
	v_cvt_f32_f16_sdwa v52, v12 dst_sel:DWORD dst_unused:UNUSED_PAD src0_sel:WORD_1
	v_cvt_f32_i32_e32 v19, v19
	v_cvt_f32_i32_e32 v20, v23
	v_fma_mix_f32 v14, v26, v18, v14 op_sel_hi:[1,0,0]
	v_fma_mix_f32 v16, v26, v22, v16 op_sel_hi:[1,0,0]
	;; [unrolled: 1-line block ×6, first 2 shown]
	v_mul_f32_e32 v15, v15, v55
	v_mul_f32_e32 v17, v17, v52
	v_fma_mix_f32 v13, v14, v13, -v15 op_sel_hi:[0,1,0]
	v_fma_mix_f32 v12, v16, v12, -v17 op_sel_hi:[0,1,0]
	v_add_f32_e32 v3, v3, v13
	v_add_f32_e32 v2, v2, v12
	s_andn2_b32 exec_lo, exec_lo, s4
	s_cbranch_execnz .LBB96_3
; %bb.4:
	s_or_b32 exec_lo, exec_lo, s4
.LBB96_5:
	s_or_b32 exec_lo, exec_lo, s6
	v_mbcnt_lo_u32_b32 v4, -1, 0
	v_xor_b32_e32 v5, 16, v4
	v_xor_b32_e32 v7, 8, v4
	v_cmp_gt_i32_e32 vcc_lo, 32, v5
	v_cndmask_b32_e32 v5, v4, v5, vcc_lo
	v_cmp_gt_i32_e32 vcc_lo, 32, v7
	v_lshlrev_b32_e32 v5, 2, v5
	v_cndmask_b32_e32 v7, v4, v7, vcc_lo
	ds_bpermute_b32 v6, v5, v3
	ds_bpermute_b32 v5, v5, v2
	v_lshlrev_b32_e32 v7, 2, v7
	s_waitcnt lgkmcnt(1)
	v_add_f32_e32 v3, v3, v6
	s_waitcnt lgkmcnt(0)
	v_add_f32_e32 v2, v2, v5
	ds_bpermute_b32 v5, v7, v3
	ds_bpermute_b32 v6, v7, v2
	v_xor_b32_e32 v7, 4, v4
	v_cmp_gt_i32_e32 vcc_lo, 32, v7
	v_cndmask_b32_e32 v7, v4, v7, vcc_lo
	v_lshlrev_b32_e32 v7, 2, v7
	s_waitcnt lgkmcnt(1)
	v_add_f32_e32 v3, v3, v5
	s_waitcnt lgkmcnt(0)
	v_add_f32_e32 v2, v2, v6
	ds_bpermute_b32 v5, v7, v3
	ds_bpermute_b32 v6, v7, v2
	v_xor_b32_e32 v7, 2, v4
	v_cmp_gt_i32_e32 vcc_lo, 32, v7
	v_cndmask_b32_e32 v7, v4, v7, vcc_lo
	;; [unrolled: 10-line block ×3, first 2 shown]
	v_cmp_gt_u32_e32 vcc_lo, 2, v0
	v_lshlrev_b32_e32 v7, 2, v4
	s_waitcnt lgkmcnt(1)
	v_add_f32_e32 v2, v3, v2
	s_waitcnt lgkmcnt(0)
	v_add_f32_e32 v3, v5, v6
	v_add_nc_u32_e32 v6, s1, v0
	ds_bpermute_b32 v4, v7, v2
	ds_bpermute_b32 v5, v7, v3
	v_cmp_gt_u32_e64 s0, s16, v6
	s_and_b32 s0, vcc_lo, s0
	s_and_b32 exec_lo, exec_lo, s0
	s_cbranch_execz .LBB96_7
; %bb.6:
	v_mul_lo_u32 v1, s19, v1
	v_or_b32_e32 v6, s1, v0
	s_mul_i32 s0, s22, s2
	v_mov_b32_e32 v7, 0
	s_waitcnt lgkmcnt(1)
	v_add_f32_e32 v4, v2, v4
	s_waitcnt lgkmcnt(0)
	v_add_f32_e32 v3, v3, v5
	v_cmp_eq_u32_e32 vcc_lo, 1, v0
	v_add3_u32 v6, v6, v1, s0
	v_cndmask_b32_e32 v3, v4, v3, vcc_lo
	v_lshlrev_b64 v[1:2], 2, v[6:7]
	v_add_co_u32 v0, vcc_lo, s14, v1
	v_add_co_ci_u32_e64 v1, null, s15, v2, vcc_lo
	global_store_dword v[0:1], v3, off
.LBB96_7:
	s_endpgm
	.section	.rodata,"a",@progbits
	.p2align	6, 0x0
	.amdhsa_kernel _ZL17mul_mat_vec_q_moeIL9ggml_type10ELi2EEvPKvS2_PKiPfj15HIP_vector_typeIjLj3EEjjjjjjjjj
		.amdhsa_group_segment_fixed_size 0
		.amdhsa_private_segment_fixed_size 0
		.amdhsa_kernarg_size 84
		.amdhsa_user_sgpr_count 6
		.amdhsa_user_sgpr_private_segment_buffer 1
		.amdhsa_user_sgpr_dispatch_ptr 0
		.amdhsa_user_sgpr_queue_ptr 0
		.amdhsa_user_sgpr_kernarg_segment_ptr 1
		.amdhsa_user_sgpr_dispatch_id 0
		.amdhsa_user_sgpr_flat_scratch_init 0
		.amdhsa_user_sgpr_private_segment_size 0
		.amdhsa_wavefront_size32 1
		.amdhsa_uses_dynamic_stack 0
		.amdhsa_system_sgpr_private_segment_wavefront_offset 0
		.amdhsa_system_sgpr_workgroup_id_x 1
		.amdhsa_system_sgpr_workgroup_id_y 1
		.amdhsa_system_sgpr_workgroup_id_z 0
		.amdhsa_system_sgpr_workgroup_info 0
		.amdhsa_system_vgpr_workitem_id 1
		.amdhsa_next_free_vgpr 59
		.amdhsa_next_free_sgpr 28
		.amdhsa_reserve_vcc 1
		.amdhsa_reserve_flat_scratch 0
		.amdhsa_float_round_mode_32 0
		.amdhsa_float_round_mode_16_64 0
		.amdhsa_float_denorm_mode_32 3
		.amdhsa_float_denorm_mode_16_64 3
		.amdhsa_dx10_clamp 1
		.amdhsa_ieee_mode 1
		.amdhsa_fp16_overflow 0
		.amdhsa_workgroup_processor_mode 1
		.amdhsa_memory_ordered 1
		.amdhsa_forward_progress 1
		.amdhsa_shared_vgpr_count 0
		.amdhsa_exception_fp_ieee_invalid_op 0
		.amdhsa_exception_fp_denorm_src 0
		.amdhsa_exception_fp_ieee_div_zero 0
		.amdhsa_exception_fp_ieee_overflow 0
		.amdhsa_exception_fp_ieee_underflow 0
		.amdhsa_exception_fp_ieee_inexact 0
		.amdhsa_exception_int_div_zero 0
	.end_amdhsa_kernel
	.section	.text._ZL17mul_mat_vec_q_moeIL9ggml_type10ELi2EEvPKvS2_PKiPfj15HIP_vector_typeIjLj3EEjjjjjjjjj,"axG",@progbits,_ZL17mul_mat_vec_q_moeIL9ggml_type10ELi2EEvPKvS2_PKiPfj15HIP_vector_typeIjLj3EEjjjjjjjjj,comdat
.Lfunc_end96:
	.size	_ZL17mul_mat_vec_q_moeIL9ggml_type10ELi2EEvPKvS2_PKiPfj15HIP_vector_typeIjLj3EEjjjjjjjjj, .Lfunc_end96-_ZL17mul_mat_vec_q_moeIL9ggml_type10ELi2EEvPKvS2_PKiPfj15HIP_vector_typeIjLj3EEjjjjjjjjj
                                        ; -- End function
	.set _ZL17mul_mat_vec_q_moeIL9ggml_type10ELi2EEvPKvS2_PKiPfj15HIP_vector_typeIjLj3EEjjjjjjjjj.num_vgpr, 59
	.set _ZL17mul_mat_vec_q_moeIL9ggml_type10ELi2EEvPKvS2_PKiPfj15HIP_vector_typeIjLj3EEjjjjjjjjj.num_agpr, 0
	.set _ZL17mul_mat_vec_q_moeIL9ggml_type10ELi2EEvPKvS2_PKiPfj15HIP_vector_typeIjLj3EEjjjjjjjjj.numbered_sgpr, 28
	.set _ZL17mul_mat_vec_q_moeIL9ggml_type10ELi2EEvPKvS2_PKiPfj15HIP_vector_typeIjLj3EEjjjjjjjjj.num_named_barrier, 0
	.set _ZL17mul_mat_vec_q_moeIL9ggml_type10ELi2EEvPKvS2_PKiPfj15HIP_vector_typeIjLj3EEjjjjjjjjj.private_seg_size, 0
	.set _ZL17mul_mat_vec_q_moeIL9ggml_type10ELi2EEvPKvS2_PKiPfj15HIP_vector_typeIjLj3EEjjjjjjjjj.uses_vcc, 1
	.set _ZL17mul_mat_vec_q_moeIL9ggml_type10ELi2EEvPKvS2_PKiPfj15HIP_vector_typeIjLj3EEjjjjjjjjj.uses_flat_scratch, 0
	.set _ZL17mul_mat_vec_q_moeIL9ggml_type10ELi2EEvPKvS2_PKiPfj15HIP_vector_typeIjLj3EEjjjjjjjjj.has_dyn_sized_stack, 0
	.set _ZL17mul_mat_vec_q_moeIL9ggml_type10ELi2EEvPKvS2_PKiPfj15HIP_vector_typeIjLj3EEjjjjjjjjj.has_recursion, 0
	.set _ZL17mul_mat_vec_q_moeIL9ggml_type10ELi2EEvPKvS2_PKiPfj15HIP_vector_typeIjLj3EEjjjjjjjjj.has_indirect_call, 0
	.section	.AMDGPU.csdata,"",@progbits
; Kernel info:
; codeLenInByte = 1720
; TotalNumSgprs: 30
; NumVgprs: 59
; ScratchSize: 0
; MemoryBound: 0
; FloatMode: 240
; IeeeMode: 1
; LDSByteSize: 0 bytes/workgroup (compile time only)
; SGPRBlocks: 0
; VGPRBlocks: 7
; NumSGPRsForWavesPerEU: 30
; NumVGPRsForWavesPerEU: 59
; Occupancy: 16
; WaveLimiterHint : 1
; COMPUTE_PGM_RSRC2:SCRATCH_EN: 0
; COMPUTE_PGM_RSRC2:USER_SGPR: 6
; COMPUTE_PGM_RSRC2:TRAP_HANDLER: 0
; COMPUTE_PGM_RSRC2:TGID_X_EN: 1
; COMPUTE_PGM_RSRC2:TGID_Y_EN: 1
; COMPUTE_PGM_RSRC2:TGID_Z_EN: 0
; COMPUTE_PGM_RSRC2:TIDIG_COMP_CNT: 1
	.section	.text._ZL13mul_mat_vec_qIL9ggml_type10ELi1ELb1ELb1EEvPKvS2_PKi31ggml_cuda_mm_fusion_args_devicePfj15HIP_vector_typeIjLj3EEjjjS8_jjjS8_jjjj,"axG",@progbits,_ZL13mul_mat_vec_qIL9ggml_type10ELi1ELb1ELb1EEvPKvS2_PKi31ggml_cuda_mm_fusion_args_devicePfj15HIP_vector_typeIjLj3EEjjjS8_jjjS8_jjjj,comdat
	.globl	_ZL13mul_mat_vec_qIL9ggml_type10ELi1ELb1ELb1EEvPKvS2_PKi31ggml_cuda_mm_fusion_args_devicePfj15HIP_vector_typeIjLj3EEjjjS8_jjjS8_jjjj ; -- Begin function _ZL13mul_mat_vec_qIL9ggml_type10ELi1ELb1ELb1EEvPKvS2_PKi31ggml_cuda_mm_fusion_args_devicePfj15HIP_vector_typeIjLj3EEjjjS8_jjjS8_jjjj
	.p2align	8
	.type	_ZL13mul_mat_vec_qIL9ggml_type10ELi1ELb1ELb1EEvPKvS2_PKi31ggml_cuda_mm_fusion_args_devicePfj15HIP_vector_typeIjLj3EEjjjS8_jjjS8_jjjj,@function
_ZL13mul_mat_vec_qIL9ggml_type10ELi1ELb1ELb1EEvPKvS2_PKi31ggml_cuda_mm_fusion_args_devicePfj15HIP_vector_typeIjLj3EEjjjS8_jjjS8_jjjj: ; @_ZL13mul_mat_vec_qIL9ggml_type10ELi1ELb1ELb1EEvPKvS2_PKi31ggml_cuda_mm_fusion_args_devicePfj15HIP_vector_typeIjLj3EEjjjS8_jjjS8_jjjj
; %bb.0:
	s_clause 0x3
	s_load_dwordx8 s[12:19], s[4:5], 0x0
	s_load_dwordx4 s[28:31], s[4:5], 0x20
	s_load_dwordx4 s[36:39], s[4:5], 0x40
	;; [unrolled: 1-line block ×3, first 2 shown]
	s_mov_b32 s10, s7
	s_waitcnt lgkmcnt(0)
	s_cmp_lg_u64 s[16:17], 0
	s_cselect_b32 s0, -1, 0
	s_cmp_eq_u64 s[16:17], 0
	s_cbranch_scc1 .LBB97_5
; %bb.1:
	s_mov_b32 s11, 0
	s_lshl_b64 s[2:3], s[10:11], 2
	s_add_u32 s2, s16, s2
	s_addc_u32 s3, s17, s3
	s_load_dword s33, s[2:3], 0x0
	s_clause 0x1
	s_load_dword s35, s[4:5], 0x50
	s_load_dword s34, s[4:5], 0x78
	s_cbranch_execnz .LBB97_3
.LBB97_2:
	s_load_dwordx2 s[2:3], s[4:5], 0x5c
	s_waitcnt lgkmcnt(0)
	s_mul_hi_u32 s1, s2, s10
	s_add_i32 s1, s10, s1
	s_lshr_b32 s33, s1, s3
.LBB97_3:
	s_andn2_b32 vcc_lo, exec_lo, s0
	s_cbranch_vccnz .LBB97_6
; %bb.4:
	s_mul_hi_u32 s0, s37, s10
	s_waitcnt lgkmcnt(0)
	s_mov_b32 s1, s33
	s_add_i32 s0, s10, s0
	s_lshr_b32 s0, s0, s38
	s_mul_i32 s0, s0, s39
	s_sub_i32 s11, s10, s0
	s_branch .LBB97_7
.LBB97_5:
                                        ; implicit-def: $sgpr33
	s_clause 0x1
	s_load_dword s35, s[4:5], 0x50
	s_load_dword s34, s[4:5], 0x78
	s_branch .LBB97_2
.LBB97_6:
	s_mov_b32 s1, s10
	s_mov_b32 s11, s10
.LBB97_7:
	s_load_dwordx4 s[24:27], s[4:5], 0x80
	v_or_b32_e32 v2, v0, v1
	s_cmp_lg_u64 s[18:19], 0
	v_mov_b32_e32 v4, 0
	v_mov_b32_e32 v5, 0
	s_cselect_b32 s0, -1, 0
	v_cmp_eq_u32_e32 vcc_lo, 0, v2
	s_mov_b32 s17, 0
	s_mul_i32 s2, s1, s22
	s_and_b32 s3, s0, vcc_lo
	s_and_saveexec_b32 s1, s3
	s_cbranch_execz .LBB97_9
; %bb.8:
	s_waitcnt lgkmcnt(0)
	s_mul_i32 s16, s26, s8
	s_mov_b32 s3, s17
	s_lshl_b64 s[38:39], s[16:17], 2
	v_lshlrev_b32_e32 v2, 2, v0
	s_add_u32 s7, s18, s38
	s_addc_u32 s9, s19, s39
	s_lshl_b64 s[16:17], s[2:3], 2
	s_add_u32 s3, s7, s16
	s_addc_u32 s9, s9, s17
	s_ashr_i32 s7, s6, 31
	s_lshl_b64 s[16:17], s[6:7], 2
	s_add_u32 s16, s3, s16
	s_addc_u32 s17, s9, s17
	global_load_dword v5, v2, s[16:17]
.LBB97_9:
	s_or_b32 exec_lo, exec_lo, s1
	s_cmp_lg_u64 s[28:29], 0
	s_cselect_b32 s9, -1, 0
	s_cmp_lg_u64 s[30:31], 0
	s_cselect_b32 s1, -1, 0
	s_and_b32 s3, s1, s9
	s_and_b32 s3, s3, vcc_lo
	s_and_saveexec_b32 s16, s3
	s_cbranch_execz .LBB97_11
; %bb.10:
	s_waitcnt lgkmcnt(0)
	s_mul_i32 s18, s26, s8
	s_mov_b32 s19, 0
	v_lshlrev_b32_e32 v2, 2, v0
	s_lshl_b64 s[38:39], s[18:19], 2
	s_mov_b32 s3, s19
	s_add_u32 s7, s30, s38
	s_addc_u32 s17, s31, s39
	s_lshl_b64 s[2:3], s[2:3], 2
	s_add_u32 s18, s7, s2
	s_addc_u32 s17, s17, s3
	s_ashr_i32 s7, s6, 31
	s_lshl_b64 s[2:3], s[6:7], 2
	s_add_u32 s2, s18, s2
	s_addc_u32 s3, s17, s3
	global_load_dword v4, v2, s[2:3]
.LBB97_11:
	s_or_b32 exec_lo, exec_lo, s16
	v_lshl_or_b32 v2, v1, 5, v0
	v_mov_b32_e32 v8, 0
	v_cndmask_b32_e64 v6, 0, 1, s9
	v_mov_b32_e32 v7, 0
	s_lshr_b32 s3, s36, 8
	v_lshrrev_b32_e32 v9, 4, v2
	s_mov_b32 s7, exec_lo
	v_cmpx_gt_u32_e64 s3, v9
	s_cbranch_execz .LBB97_17
; %bb.12:
	v_bfe_u32 v8, v0, 3, 1
	s_mul_hi_u32 s2, s23, s8
	v_lshrrev_b32_e32 v12, 4, v2
	s_add_i32 s2, s8, s2
	s_waitcnt lgkmcnt(0)
	s_mul_i32 s35, s35, s6
	v_mul_hi_u32_u24_e32 v3, 0x90, v8
	v_mul_u32_u24_e32 v2, 0x90, v8
	s_lshr_b32 s2, s2, s34
	s_mul_i32 s16, s33, s20
	s_mul_i32 s2, s2, s24
	;; [unrolled: 1-line block ×3, first 2 shown]
	s_add_i32 s2, s2, s35
	v_mad_u64_u32 v[2:3], null, 0x120, v12, v[2:3]
	s_mul_i32 s18, s11, s21
	s_add_i32 s11, s16, s2
	s_mul_i32 s16, s17, 36
	s_mul_hi_u32 s17, s17, 36
	s_mul_hi_u32 s2, s18, 36
	s_mul_i32 s18, s18, 36
	s_add_u32 s14, s14, s16
	v_and_b32_e32 v7, 15, v0
	v_and_b32_e32 v11, 7, v0
	v_bfe_u32 v10, v0, 2, 1
	s_addc_u32 s15, s15, s17
	s_add_u32 s14, s14, s18
	s_addc_u32 s2, s15, s2
	v_add_co_u32 v2, vcc_lo, s14, v2
	v_mov_b32_e32 v8, 0
	v_and_or_b32 v10, v0, 8, v10
	v_lshlrev_b32_e32 v11, 2, v11
	v_add_co_ci_u32_e64 v3, null, s2, v3, vcc_lo
	v_lshlrev_b32_e32 v12, 2, v7
	v_mov_b32_e32 v7, 0
	s_mov_b32 s14, 0
	s_branch .LBB97_14
.LBB97_13:                              ;   in Loop: Header=BB97_14 Depth=1
	s_waitcnt vmcnt(5)
	v_and_b32_e32 v27, 0x3030303, v21
	v_mov_b32_e32 v28, 0
	s_waitcnt vmcnt(3)
	v_bfe_u32 v29, v26, 4, 4
	v_and_b32_e32 v26, 15, v26
	v_lshrrev_b32_e32 v30, 2, v21
	v_mov_b32_e32 v31, 0
	v_dot4c_i32_i8 v28, v27, v23
	v_mul_lo_u32 v27, 0x1010101, v29
	v_mov_b32_e32 v29, 0
	v_mov_b32_e32 v32, 0
	v_add_nc_u32_e32 v9, 2, v9
	v_mul_lo_u32 v26, v26, v28
	s_waitcnt vmcnt(2)
	v_and_b32_e32 v28, 15, v25
	v_bfe_u32 v25, v25, 4, 4
	v_add_co_u32 v2, s2, 0x240, v2
	v_dot4c_i32_i8 v29, v27, v23
	v_and_b32_e32 v23, 0x3030303, v30
	v_lshrrev_b32_e32 v27, 4, v21
	v_cvt_f32_i32_e32 v26, v26
	v_mul_lo_u32 v25, 0x1010101, v25
	v_cvt_f32_i32_e32 v29, v29
	v_dot4c_i32_i8 v31, v23, v20
	v_mov_b32_e32 v23, 0
	v_and_b32_e32 v27, 0x3030303, v27
	v_fma_f32 v26, v24, v26, 0
	v_fma_f32 v24, v24, v29, 0
	s_waitcnt vmcnt(1)
	v_bfe_u32 v29, v22, 4, 4
	v_dot4c_i32_i8 v32, v25, v20
	v_dot4c_i32_i8 v23, v27, v15
	v_lshrrev_b32_e32 v20, 6, v21
	v_and_b32_e32 v21, 15, v22
	v_mul_lo_u32 v22, 0x1010101, v29
	s_waitcnt vmcnt(0)
	v_bfe_u32 v27, v19, 4, 4
	v_mov_b32_e32 v25, 0
	v_mul_lo_u32 v28, v28, v31
	v_and_b32_e32 v20, 0x3030303, v20
	v_mov_b32_e32 v29, 0
	v_mul_lo_u32 v21, v21, v23
	v_mul_lo_u32 v23, 0x1010101, v27
	v_cvt_f32_i32_e32 v30, v32
	v_dot4c_i32_i8 v25, v22, v15
	v_mov_b32_e32 v15, 0
	v_dot4c_i32_i8 v29, v20, v14
	v_and_b32_e32 v19, 15, v19
	v_cvt_f32_i32_e32 v20, v28
	v_fmac_f32_e32 v24, v18, v30
	v_cvt_f32_i32_e32 v22, v25
	v_dot4c_i32_i8 v15, v23, v14
	v_mul_lo_u32 v14, v19, v29
	v_fmac_f32_e32 v26, v18, v20
	v_cvt_f32_i32_e32 v18, v21
	v_fmac_f32_e32 v24, v17, v22
	v_cvt_f32_i32_e32 v15, v15
	v_cmp_le_u32_e32 vcc_lo, s3, v9
	v_add_co_ci_u32_e64 v3, null, 0, v3, s2
	v_fmac_f32_e32 v26, v17, v18
	v_cvt_f32_i32_e32 v14, v14
	v_fmac_f32_e32 v24, v16, v15
	v_cvt_f32_f16_sdwa v15, v13 dst_sel:DWORD dst_unused:UNUSED_PAD src0_sel:WORD_1
	s_or_b32 s14, vcc_lo, s14
	v_fmac_f32_e32 v26, v16, v14
	v_mul_f32_e32 v14, v24, v15
	v_fma_mix_f32 v13, v26, v13, -v14 op_sel_hi:[0,1,0]
	v_add_f32_e32 v8, v8, v13
	s_andn2_b32 exec_lo, exec_lo, s14
	s_cbranch_execz .LBB97_16
.LBB97_14:                              ; =>This Inner Loop Header: Depth=1
	v_add_nc_u32_e32 v27, s11, v9
	v_add_co_u32 v13, vcc_lo, v2, v11
	v_add_co_ci_u32_e64 v14, null, 0, v3, vcc_lo
	v_mad_i64_i32 v[16:17], null, 0x54, v27, s[12:13]
	s_clause 0x3
	global_load_dword v23, v[13:14], off offset:4
	global_load_dword v20, v[13:14], off offset:40
	;; [unrolled: 1-line block ×4, first 2 shown]
	v_add_co_u32 v18, vcc_lo, v16, v12
	v_add_co_ci_u32_e64 v19, null, 0, v17, vcc_lo
	v_add_co_u32 v28, vcc_lo, v16, v10
	v_add_co_ci_u32_e64 v29, null, 0, v17, vcc_lo
	s_clause 0x3
	global_load_dword v24, v[2:3], off
	global_load_dword v30, v[2:3], off offset:36
	global_load_dword v31, v[2:3], off offset:72
	;; [unrolled: 1-line block ×3, first 2 shown]
	s_clause 0x5
	global_load_dword v21, v[18:19], off offset:16
	global_load_dword v13, v[16:17], off offset:80
	global_load_ubyte v26, v[28:29], off
	global_load_ubyte v25, v[28:29], off offset:2
	global_load_ubyte v22, v[28:29], off offset:4
	;; [unrolled: 1-line block ×3, first 2 shown]
	s_andn2_b32 vcc_lo, exec_lo, s9
	s_waitcnt vmcnt(9)
	v_cvt_f32_f16_e32 v24, v24
	s_waitcnt vmcnt(8)
	v_cvt_f32_f16_e32 v18, v30
	;; [unrolled: 2-line block ×4, first 2 shown]
	s_cbranch_vccnz .LBB97_13
; %bb.15:                               ;   in Loop: Header=BB97_14 Depth=1
	v_mad_i64_i32 v[27:28], null, 0x54, v27, s[28:29]
	v_mov_b32_e32 v35, 0
	v_mov_b32_e32 v36, 0
	;; [unrolled: 1-line block ×6, first 2 shown]
	v_add_co_u32 v29, vcc_lo, v27, v12
	v_add_co_ci_u32_e64 v30, null, 0, v28, vcc_lo
	v_add_co_u32 v31, vcc_lo, v27, v10
	v_add_co_ci_u32_e64 v32, null, 0, v28, vcc_lo
	s_clause 0x5
	global_load_dword v29, v[29:30], off offset:16
	global_load_ubyte v30, v[31:32], off
	global_load_ubyte v33, v[31:32], off offset:2
	global_load_ubyte v34, v[31:32], off offset:4
	;; [unrolled: 1-line block ×3, first 2 shown]
	global_load_dword v27, v[27:28], off offset:80
	v_mov_b32_e32 v28, 0
	v_mov_b32_e32 v32, 0
	s_waitcnt vmcnt(5)
	v_and_b32_e32 v41, 0x3030303, v29
	s_waitcnt vmcnt(4)
	v_and_b32_e32 v42, 15, v30
	v_lshrrev_b32_e32 v30, 4, v30
	v_lshrrev_b32_e32 v43, 2, v29
	s_waitcnt vmcnt(3)
	v_and_b32_e32 v44, 15, v33
	v_lshrrev_b32_e32 v33, 4, v33
	v_lshrrev_b32_e32 v45, 4, v29
	v_mul_lo_u32 v30, 0x1010101, v30
	v_lshrrev_b32_e32 v29, 6, v29
	s_waitcnt vmcnt(2)
	v_and_b32_e32 v46, 15, v34
	v_lshrrev_b32_e32 v34, 4, v34
	v_dot4c_i32_i8 v28, v41, v23
	v_and_b32_e32 v41, 0x3030303, v43
	v_mul_lo_u32 v33, 0x1010101, v33
	s_waitcnt vmcnt(1)
	v_and_b32_e32 v47, 15, v31
	v_lshrrev_b32_e32 v31, 4, v31
	v_and_b32_e32 v29, 0x3030303, v29
	v_dot4c_i32_i8 v32, v30, v23
	v_and_b32_e32 v43, 0x3030303, v45
	v_mul_lo_u32 v34, 0x1010101, v34
	v_mul_lo_u32 v28, v42, v28
	v_dot4c_i32_i8 v35, v41, v20
	v_mul_lo_u32 v31, 0x1010101, v31
	v_dot4c_i32_i8 v39, v29, v14
	v_dot4c_i32_i8 v36, v33, v20
	v_cvt_f32_i32_e32 v29, v32
	v_dot4c_i32_i8 v37, v43, v15
	v_mul_lo_u32 v30, v44, v35
	v_dot4c_i32_i8 v38, v34, v15
	v_cvt_f32_i32_e32 v28, v28
	v_cvt_f32_i32_e32 v32, v36
	v_fma_f32 v29, v24, v29, 0
	v_dot4c_i32_i8 v40, v31, v14
	v_mul_lo_u32 v31, v46, v37
	v_cvt_f32_i32_e32 v34, v38
	v_fma_f32 v28, v24, v28, 0
	v_cvt_f32_i32_e32 v30, v30
	v_fmac_f32_e32 v29, v18, v32
	v_mul_lo_u32 v33, v47, v39
	v_cvt_f32_i32_e32 v32, v40
	v_cvt_f32_i32_e32 v31, v31
	v_fmac_f32_e32 v28, v18, v30
	v_fmac_f32_e32 v29, v17, v34
	v_cvt_f32_i32_e32 v30, v33
	v_fmac_f32_e32 v28, v17, v31
	v_fmac_f32_e32 v29, v16, v32
	s_waitcnt vmcnt(0)
	v_cvt_f32_f16_sdwa v31, v27 dst_sel:DWORD dst_unused:UNUSED_PAD src0_sel:WORD_1
	v_fmac_f32_e32 v28, v16, v30
	v_mul_f32_e32 v29, v29, v31
	v_fma_mix_f32 v27, v28, v27, -v29 op_sel_hi:[0,1,0]
	v_add_f32_e32 v7, v7, v27
	s_branch .LBB97_13
.LBB97_16:
	s_or_b32 exec_lo, exec_lo, s14
.LBB97_17:
	s_or_b32 exec_lo, exec_lo, s7
	s_load_dword s2, s[4:5], 0x30
	s_waitcnt vmcnt(0) lgkmcnt(0)
	; wave barrier
	buffer_gl0_inv
	s_mov_b32 s3, exec_lo
	v_cmpx_eq_u32_e32 0, v1
	s_cbranch_execz .LBB97_44
; %bb.18:
	v_mbcnt_lo_u32_b32 v2, -1, 0
	v_xor_b32_e32 v1, 16, v2
	v_xor_b32_e32 v9, 8, v2
	v_cmp_gt_i32_e32 vcc_lo, 32, v1
	v_cndmask_b32_e32 v1, v2, v1, vcc_lo
	v_cmp_gt_i32_e32 vcc_lo, 32, v9
	v_lshlrev_b32_e32 v1, 2, v1
	v_cndmask_b32_e32 v9, v2, v9, vcc_lo
	ds_bpermute_b32 v3, v1, v8
	v_lshlrev_b32_e32 v9, 2, v9
	s_waitcnt lgkmcnt(0)
	v_add_f32_e32 v3, v8, v3
	v_xor_b32_e32 v8, 4, v2
	ds_bpermute_b32 v10, v9, v3
	v_cmp_gt_i32_e32 vcc_lo, 32, v8
	v_cndmask_b32_e32 v8, v2, v8, vcc_lo
	v_lshlrev_b32_e32 v8, 2, v8
	s_waitcnt lgkmcnt(0)
	v_add_f32_e32 v3, v3, v10
	v_xor_b32_e32 v10, 2, v2
	ds_bpermute_b32 v11, v8, v3
	v_cmp_gt_i32_e32 vcc_lo, 32, v10
	v_cndmask_b32_e32 v10, v2, v10, vcc_lo
	;; [unrolled: 7-line block ×3, first 2 shown]
	v_cmp_ne_u32_e32 vcc_lo, 1, v6
	v_lshlrev_b32_e32 v11, 2, v2
	s_waitcnt lgkmcnt(0)
	v_add_f32_e32 v2, v3, v12
	ds_bpermute_b32 v3, v11, v2
	s_cbranch_vccnz .LBB97_20
; %bb.19:
	ds_bpermute_b32 v1, v1, v7
	s_waitcnt lgkmcnt(0)
	v_add_f32_e32 v1, v7, v1
	ds_bpermute_b32 v7, v9, v1
	s_waitcnt lgkmcnt(0)
	v_add_f32_e32 v1, v1, v7
	;; [unrolled: 3-line block ×5, first 2 shown]
.LBB97_20:
	v_cmp_eq_u32_e32 vcc_lo, 0, v0
	s_and_b32 exec_lo, exec_lo, vcc_lo
	s_cbranch_execz .LBB97_44
; %bb.21:
	s_waitcnt lgkmcnt(0)
	v_add_f32_e32 v1, v2, v3
	v_cmp_ne_u32_e32 vcc_lo, 1, v6
	v_add_f32_e32 v2, v5, v1
	v_cndmask_b32_e64 v1, v1, v2, s0
	s_cbranch_vccnz .LBB97_43
; %bb.22:
	v_add_f32_e32 v2, v4, v7
	s_cmp_lt_i32 s2, 2
	s_mov_b32 s0, 0
	v_cndmask_b32_e64 v2, v7, v2, s1
	s_cbranch_scc1 .LBB97_26
; %bb.23:
	s_cmp_gt_i32 s2, 2
	s_cbranch_scc0 .LBB97_27
; %bb.24:
	s_cmp_eq_u32 s2, 3
	s_cbranch_scc0 .LBB97_28
; %bb.25:
	v_max_f32_e32 v3, v2, v2
	s_mov_b32 s1, 0
	v_min_f32_e32 v3, 0x40e00000, v3
	v_mul_f32_e32 v4, 0xbfd9db23, v3
	v_mul_f32_e32 v5, 0x3fb8aa3b, v4
	v_cmp_ngt_f32_e32 vcc_lo, 0xc2ce8ed0, v4
	v_fma_f32 v6, 0x3fb8aa3b, v4, -v5
	v_rndne_f32_e32 v7, v5
	v_fmamk_f32 v6, v4, 0x32a5705f, v6
	v_sub_f32_e32 v5, v5, v7
	v_add_f32_e32 v5, v5, v6
	v_cvt_i32_f32_e32 v6, v7
	v_exp_f32_e32 v5, v5
	v_ldexp_f32 v5, v5, v6
	v_cndmask_b32_e32 v5, 0, v5, vcc_lo
	v_cmp_nlt_f32_e32 vcc_lo, 0x42b17218, v4
	v_cndmask_b32_e32 v4, 0x7f800000, v5, vcc_lo
	v_add_f32_e32 v4, 1.0, v4
	v_div_scale_f32 v5, null, v4, v4, v3
	v_div_scale_f32 v8, vcc_lo, v3, v4, v3
	v_rcp_f32_e32 v6, v5
	v_fma_f32 v7, -v5, v6, 1.0
	v_fmac_f32_e32 v6, v7, v6
	v_mul_f32_e32 v7, v8, v6
	v_fma_f32 v9, -v5, v7, v8
	v_fmac_f32_e32 v7, v9, v6
	v_max_f32_e32 v9, v1, v1
	v_fma_f32 v5, -v5, v7, v8
	v_min_f32_e32 v8, 0x40e00000, v9
	v_div_fmas_f32 v5, v5, v6, v7
	v_max_f32_e32 v6, 0xc0e00000, v8
	v_div_fixup_f32 v3, v5, v4, v3
	v_add_f32_e32 v4, 1.0, v6
	v_mul_f32_e32 v3, v4, v3
	s_branch .LBB97_29
.LBB97_26:
	s_mov_b32 s1, 0
                                        ; implicit-def: $vgpr3
	s_cbranch_execnz .LBB97_33
	s_branch .LBB97_34
.LBB97_27:
	s_mov_b32 s3, -1
	s_mov_b32 s1, 0
                                        ; implicit-def: $vgpr3
	s_branch .LBB97_30
.LBB97_28:
	s_mov_b32 s1, -1
                                        ; implicit-def: $vgpr3
.LBB97_29:
	s_mov_b32 s3, 0
.LBB97_30:
	s_and_b32 vcc_lo, exec_lo, s3
	s_cbranch_vccz .LBB97_32
; %bb.31:
	v_mul_f32_e32 v3, 0xbfb8aa3b, v2
	v_cmp_nlt_f32_e32 vcc_lo, 0x42ce8ed0, v2
	v_rndne_f32_e32 v4, v3
	v_fma_f32 v5, 0xbfb8aa3b, v2, -v3
	v_sub_f32_e32 v3, v3, v4
	v_fmamk_f32 v5, v2, 0xb2a5705f, v5
	v_cvt_i32_f32_e32 v4, v4
	v_add_f32_e32 v3, v3, v5
	v_exp_f32_e32 v3, v3
	v_ldexp_f32 v3, v3, v4
	v_cndmask_b32_e32 v3, 0, v3, vcc_lo
	v_cmp_ngt_f32_e32 vcc_lo, 0xc2b17218, v2
	v_cndmask_b32_e32 v3, 0x7f800000, v3, vcc_lo
	v_add_f32_e32 v3, 1.0, v3
	v_div_scale_f32 v4, null, v3, v3, v2
	v_rcp_f32_e32 v5, v4
	v_fma_f32 v6, -v4, v5, 1.0
	v_fmac_f32_e32 v5, v6, v5
	v_div_scale_f32 v6, vcc_lo, v2, v3, v2
	v_mul_f32_e32 v7, v6, v5
	v_fma_f32 v8, -v4, v7, v6
	v_fmac_f32_e32 v7, v8, v5
	v_fma_f32 v4, -v4, v7, v6
	v_div_fmas_f32 v4, v4, v5, v7
	v_div_fixup_f32 v3, v4, v3, v2
	v_mul_f32_e32 v3, v1, v3
.LBB97_32:
	s_branch .LBB97_34
.LBB97_33:
	s_cmp_lg_u32 s2, 1
	s_mov_b32 s0, -1
	s_cselect_b32 s1, -1, 0
.LBB97_34:
	s_andn2_b32 vcc_lo, exec_lo, s1
	s_cbranch_vccz .LBB97_36
; %bb.35:
	s_andn2_b32 vcc_lo, exec_lo, s0
	s_cbranch_vccz .LBB97_37
	s_branch .LBB97_42
.LBB97_36:
	v_mul_f32_e32 v3, v2, v1
	s_cbranch_execnz .LBB97_42
.LBB97_37:
	v_mul_f32_e32 v3, 0x3d372713, v2
	v_mul_f32_e32 v4, 0x3f4c422a, v2
	v_fma_f32 v3, v2, v3, 1.0
	v_mul_f32_e32 v3, v4, v3
                                        ; implicit-def: $vgpr4
	v_cmp_ngt_f32_e64 s0, 0x3f200000, |v3|
	s_and_saveexec_b32 s1, s0
	s_xor_b32 s0, exec_lo, s1
	s_cbranch_execz .LBB97_39
; %bb.38:
	v_add_f32_e64 v4, |v3|, |v3|
	v_mul_f32_e32 v5, 0x3fb8aa3b, v4
	v_cmp_ngt_f32_e32 vcc_lo, 0xc2ce8ed0, v4
	v_rndne_f32_e32 v6, v5
	v_fma_f32 v7, 0x3fb8aa3b, v4, -v5
	v_sub_f32_e32 v5, v5, v6
	v_fmamk_f32 v7, v4, 0x32a5705f, v7
	v_cvt_i32_f32_e32 v6, v6
	v_add_f32_e32 v5, v5, v7
	v_exp_f32_e32 v5, v5
	v_ldexp_f32 v5, v5, v6
	v_cndmask_b32_e32 v5, 0, v5, vcc_lo
	v_cmp_nlt_f32_e32 vcc_lo, 0x42b17218, v4
	v_cndmask_b32_e32 v4, 0x7f800000, v5, vcc_lo
	v_add_f32_e32 v4, 1.0, v4
	v_rcp_f32_e32 v4, v4
	v_fma_f32 v4, v4, -2.0, 1.0
.LBB97_39:
	s_andn2_saveexec_b32 s0, s0
	s_cbranch_execz .LBB97_41
; %bb.40:
	v_mul_f32_e32 v4, v3, v3
	s_mov_b32 s1, 0xbbbac73d
	v_fmaak_f32 v5, s1, v4, 0x3ca908c9
	v_fmaak_f32 v5, v4, v5, 0xbd5c1c4e
	;; [unrolled: 1-line block ×4, first 2 shown]
	v_mul_f32_e64 v5, |v3|, v5
	v_fma_f32 v4, v4, v5, |v3|
.LBB97_41:
	s_or_b32 exec_lo, exec_lo, s0
	v_bfi_b32 v3, 0x7fffffff, v4, v3
	v_mul_f32_e32 v2, 0.5, v2
	v_add_f32_e32 v3, 1.0, v3
	v_mul_f32_e32 v2, v2, v3
	v_mul_f32_e32 v3, v1, v2
.LBB97_42:
	v_mov_b32_e32 v1, v3
.LBB97_43:
	s_load_dwordx2 s[0:1], s[4:5], 0x38
	s_mul_i32 s2, s22, s10
	s_mul_i32 s3, s26, s8
	s_add_i32 s2, s2, s6
	v_lshlrev_b32_e32 v0, 2, v0
	s_add_i32 s2, s2, s3
	s_mov_b32 s3, 0
	s_lshl_b64 s[2:3], s[2:3], 2
	s_waitcnt lgkmcnt(0)
	s_add_u32 s0, s0, s2
	s_addc_u32 s1, s1, s3
	global_store_dword v0, v1, s[0:1]
.LBB97_44:
	s_endpgm
	.section	.rodata,"a",@progbits
	.p2align	6, 0x0
	.amdhsa_kernel _ZL13mul_mat_vec_qIL9ggml_type10ELi1ELb1ELb1EEvPKvS2_PKi31ggml_cuda_mm_fusion_args_devicePfj15HIP_vector_typeIjLj3EEjjjS8_jjjS8_jjjj
		.amdhsa_group_segment_fixed_size 0
		.amdhsa_private_segment_fixed_size 0
		.amdhsa_kernarg_size 144
		.amdhsa_user_sgpr_count 6
		.amdhsa_user_sgpr_private_segment_buffer 1
		.amdhsa_user_sgpr_dispatch_ptr 0
		.amdhsa_user_sgpr_queue_ptr 0
		.amdhsa_user_sgpr_kernarg_segment_ptr 1
		.amdhsa_user_sgpr_dispatch_id 0
		.amdhsa_user_sgpr_flat_scratch_init 0
		.amdhsa_user_sgpr_private_segment_size 0
		.amdhsa_wavefront_size32 1
		.amdhsa_uses_dynamic_stack 0
		.amdhsa_system_sgpr_private_segment_wavefront_offset 0
		.amdhsa_system_sgpr_workgroup_id_x 1
		.amdhsa_system_sgpr_workgroup_id_y 1
		.amdhsa_system_sgpr_workgroup_id_z 1
		.amdhsa_system_sgpr_workgroup_info 0
		.amdhsa_system_vgpr_workitem_id 1
		.amdhsa_next_free_vgpr 48
		.amdhsa_next_free_sgpr 40
		.amdhsa_reserve_vcc 1
		.amdhsa_reserve_flat_scratch 0
		.amdhsa_float_round_mode_32 0
		.amdhsa_float_round_mode_16_64 0
		.amdhsa_float_denorm_mode_32 3
		.amdhsa_float_denorm_mode_16_64 3
		.amdhsa_dx10_clamp 1
		.amdhsa_ieee_mode 1
		.amdhsa_fp16_overflow 0
		.amdhsa_workgroup_processor_mode 1
		.amdhsa_memory_ordered 1
		.amdhsa_forward_progress 1
		.amdhsa_shared_vgpr_count 0
		.amdhsa_exception_fp_ieee_invalid_op 0
		.amdhsa_exception_fp_denorm_src 0
		.amdhsa_exception_fp_ieee_div_zero 0
		.amdhsa_exception_fp_ieee_overflow 0
		.amdhsa_exception_fp_ieee_underflow 0
		.amdhsa_exception_fp_ieee_inexact 0
		.amdhsa_exception_int_div_zero 0
	.end_amdhsa_kernel
	.section	.text._ZL13mul_mat_vec_qIL9ggml_type10ELi1ELb1ELb1EEvPKvS2_PKi31ggml_cuda_mm_fusion_args_devicePfj15HIP_vector_typeIjLj3EEjjjS8_jjjS8_jjjj,"axG",@progbits,_ZL13mul_mat_vec_qIL9ggml_type10ELi1ELb1ELb1EEvPKvS2_PKi31ggml_cuda_mm_fusion_args_devicePfj15HIP_vector_typeIjLj3EEjjjS8_jjjS8_jjjj,comdat
.Lfunc_end97:
	.size	_ZL13mul_mat_vec_qIL9ggml_type10ELi1ELb1ELb1EEvPKvS2_PKi31ggml_cuda_mm_fusion_args_devicePfj15HIP_vector_typeIjLj3EEjjjS8_jjjS8_jjjj, .Lfunc_end97-_ZL13mul_mat_vec_qIL9ggml_type10ELi1ELb1ELb1EEvPKvS2_PKi31ggml_cuda_mm_fusion_args_devicePfj15HIP_vector_typeIjLj3EEjjjS8_jjjS8_jjjj
                                        ; -- End function
	.set _ZL13mul_mat_vec_qIL9ggml_type10ELi1ELb1ELb1EEvPKvS2_PKi31ggml_cuda_mm_fusion_args_devicePfj15HIP_vector_typeIjLj3EEjjjS8_jjjS8_jjjj.num_vgpr, 48
	.set _ZL13mul_mat_vec_qIL9ggml_type10ELi1ELb1ELb1EEvPKvS2_PKi31ggml_cuda_mm_fusion_args_devicePfj15HIP_vector_typeIjLj3EEjjjS8_jjjS8_jjjj.num_agpr, 0
	.set _ZL13mul_mat_vec_qIL9ggml_type10ELi1ELb1ELb1EEvPKvS2_PKi31ggml_cuda_mm_fusion_args_devicePfj15HIP_vector_typeIjLj3EEjjjS8_jjjS8_jjjj.numbered_sgpr, 40
	.set _ZL13mul_mat_vec_qIL9ggml_type10ELi1ELb1ELb1EEvPKvS2_PKi31ggml_cuda_mm_fusion_args_devicePfj15HIP_vector_typeIjLj3EEjjjS8_jjjS8_jjjj.num_named_barrier, 0
	.set _ZL13mul_mat_vec_qIL9ggml_type10ELi1ELb1ELb1EEvPKvS2_PKi31ggml_cuda_mm_fusion_args_devicePfj15HIP_vector_typeIjLj3EEjjjS8_jjjS8_jjjj.private_seg_size, 0
	.set _ZL13mul_mat_vec_qIL9ggml_type10ELi1ELb1ELb1EEvPKvS2_PKi31ggml_cuda_mm_fusion_args_devicePfj15HIP_vector_typeIjLj3EEjjjS8_jjjS8_jjjj.uses_vcc, 1
	.set _ZL13mul_mat_vec_qIL9ggml_type10ELi1ELb1ELb1EEvPKvS2_PKi31ggml_cuda_mm_fusion_args_devicePfj15HIP_vector_typeIjLj3EEjjjS8_jjjS8_jjjj.uses_flat_scratch, 0
	.set _ZL13mul_mat_vec_qIL9ggml_type10ELi1ELb1ELb1EEvPKvS2_PKi31ggml_cuda_mm_fusion_args_devicePfj15HIP_vector_typeIjLj3EEjjjS8_jjjS8_jjjj.has_dyn_sized_stack, 0
	.set _ZL13mul_mat_vec_qIL9ggml_type10ELi1ELb1ELb1EEvPKvS2_PKi31ggml_cuda_mm_fusion_args_devicePfj15HIP_vector_typeIjLj3EEjjjS8_jjjS8_jjjj.has_recursion, 0
	.set _ZL13mul_mat_vec_qIL9ggml_type10ELi1ELb1ELb1EEvPKvS2_PKi31ggml_cuda_mm_fusion_args_devicePfj15HIP_vector_typeIjLj3EEjjjS8_jjjS8_jjjj.has_indirect_call, 0
	.section	.AMDGPU.csdata,"",@progbits
; Kernel info:
; codeLenInByte = 2872
; TotalNumSgprs: 42
; NumVgprs: 48
; ScratchSize: 0
; MemoryBound: 0
; FloatMode: 240
; IeeeMode: 1
; LDSByteSize: 0 bytes/workgroup (compile time only)
; SGPRBlocks: 0
; VGPRBlocks: 5
; NumSGPRsForWavesPerEU: 42
; NumVGPRsForWavesPerEU: 48
; Occupancy: 16
; WaveLimiterHint : 0
; COMPUTE_PGM_RSRC2:SCRATCH_EN: 0
; COMPUTE_PGM_RSRC2:USER_SGPR: 6
; COMPUTE_PGM_RSRC2:TRAP_HANDLER: 0
; COMPUTE_PGM_RSRC2:TGID_X_EN: 1
; COMPUTE_PGM_RSRC2:TGID_Y_EN: 1
; COMPUTE_PGM_RSRC2:TGID_Z_EN: 1
; COMPUTE_PGM_RSRC2:TIDIG_COMP_CNT: 1
	.section	.text._ZL13mul_mat_vec_qIL9ggml_type10ELi1ELb0ELb1EEvPKvS2_PKi31ggml_cuda_mm_fusion_args_devicePfj15HIP_vector_typeIjLj3EEjjjS8_jjjS8_jjjj,"axG",@progbits,_ZL13mul_mat_vec_qIL9ggml_type10ELi1ELb0ELb1EEvPKvS2_PKi31ggml_cuda_mm_fusion_args_devicePfj15HIP_vector_typeIjLj3EEjjjS8_jjjS8_jjjj,comdat
	.globl	_ZL13mul_mat_vec_qIL9ggml_type10ELi1ELb0ELb1EEvPKvS2_PKi31ggml_cuda_mm_fusion_args_devicePfj15HIP_vector_typeIjLj3EEjjjS8_jjjS8_jjjj ; -- Begin function _ZL13mul_mat_vec_qIL9ggml_type10ELi1ELb0ELb1EEvPKvS2_PKi31ggml_cuda_mm_fusion_args_devicePfj15HIP_vector_typeIjLj3EEjjjS8_jjjS8_jjjj
	.p2align	8
	.type	_ZL13mul_mat_vec_qIL9ggml_type10ELi1ELb0ELb1EEvPKvS2_PKi31ggml_cuda_mm_fusion_args_devicePfj15HIP_vector_typeIjLj3EEjjjS8_jjjS8_jjjj,@function
_ZL13mul_mat_vec_qIL9ggml_type10ELi1ELb0ELb1EEvPKvS2_PKi31ggml_cuda_mm_fusion_args_devicePfj15HIP_vector_typeIjLj3EEjjjS8_jjjS8_jjjj: ; @_ZL13mul_mat_vec_qIL9ggml_type10ELi1ELb0ELb1EEvPKvS2_PKi31ggml_cuda_mm_fusion_args_devicePfj15HIP_vector_typeIjLj3EEjjjS8_jjjS8_jjjj
; %bb.0:
	s_clause 0x1
	s_load_dwordx2 s[0:1], s[4:5], 0x10
	s_load_dwordx4 s[16:19], s[4:5], 0x40
	s_mov_b32 s10, s7
	s_waitcnt lgkmcnt(0)
	s_cmp_lg_u64 s[0:1], 0
	s_cselect_b32 s7, -1, 0
	s_cmp_eq_u64 s[0:1], 0
	s_cbranch_scc1 .LBB98_5
; %bb.1:
	s_mov_b32 s11, 0
	s_lshl_b64 s[2:3], s[10:11], 2
	s_add_u32 s0, s0, s2
	s_addc_u32 s1, s1, s3
	s_load_dword s20, s[0:1], 0x0
	s_clause 0x1
	s_load_dwordx4 s[0:3], s[4:5], 0x68
	s_load_dword s21, s[4:5], 0x50
	s_cbranch_execnz .LBB98_3
.LBB98_2:
	s_load_dwordx2 s[12:13], s[4:5], 0x5c
	s_waitcnt lgkmcnt(0)
	s_mul_hi_u32 s9, s12, s10
	s_add_i32 s9, s10, s9
	s_lshr_b32 s20, s9, s13
.LBB98_3:
	s_load_dword s11, s[4:5], 0x78
	s_andn2_b32 vcc_lo, exec_lo, s7
	s_cbranch_vccnz .LBB98_6
; %bb.4:
	s_mul_hi_u32 s7, s17, s10
	s_add_i32 s7, s10, s7
	s_lshr_b32 s7, s7, s18
	s_mul_i32 s7, s7, s19
	s_sub_i32 s22, s10, s7
	s_branch .LBB98_7
.LBB98_5:
                                        ; implicit-def: $sgpr20
	s_clause 0x1
	s_load_dwordx4 s[0:3], s[4:5], 0x68
	s_load_dword s21, s[4:5], 0x50
	s_branch .LBB98_2
.LBB98_6:
	s_mov_b32 s22, s10
.LBB98_7:
	s_load_dwordx4 s[12:15], s[4:5], 0x80
	v_lshl_or_b32 v2, v1, 5, v0
	v_mov_b32_e32 v4, 0
	s_lshr_b32 s9, s16, 8
	s_mov_b32 s7, exec_lo
	v_lshrrev_b32_e32 v5, 4, v2
	v_cmpx_gt_u32_e64 s9, v5
	s_cbranch_execz .LBB98_11
; %bb.8:
	s_load_dwordx4 s[16:19], s[4:5], 0x0
	v_bfe_u32 v4, v0, 3, 1
	s_waitcnt lgkmcnt(0)
	s_mul_hi_u32 s3, s3, s8
	v_lshrrev_b32_e32 v9, 4, v2
	s_add_i32 s3, s8, s3
	s_mul_i32 s21, s21, s6
	v_mul_hi_u32_u24_e32 v3, 0x90, v4
	v_mul_u32_u24_e32 v2, 0x90, v4
	s_lshr_b32 s3, s3, s11
	s_mul_i32 s0, s20, s0
	s_mul_i32 s3, s3, s12
	;; [unrolled: 1-line block ×3, first 2 shown]
	s_add_i32 s3, s3, s21
	v_mad_u64_u32 v[2:3], null, 0x120, v9, v[2:3]
	s_mul_i32 s12, s22, s1
	s_add_i32 s1, s0, s3
	s_mul_i32 s3, s11, 36
	s_mul_hi_u32 s11, s11, 36
	s_mul_hi_u32 s0, s12, 36
	s_mul_i32 s12, s12, 36
	s_add_u32 s3, s18, s3
	v_and_b32_e32 v8, 15, v0
	v_and_b32_e32 v7, 7, v0
	v_bfe_u32 v6, v0, 2, 1
	s_addc_u32 s11, s19, s11
	s_add_u32 s3, s3, s12
	s_addc_u32 s0, s11, s0
	v_add_co_u32 v2, vcc_lo, s3, v2
	v_mov_b32_e32 v4, 0
	v_and_or_b32 v6, v0, 8, v6
	v_lshlrev_b32_e32 v7, 2, v7
	v_add_co_ci_u32_e64 v3, null, s0, v3, vcc_lo
	v_lshlrev_b32_e32 v8, 2, v8
	s_mov_b32 s3, 0
.LBB98_9:                               ; =>This Inner Loop Header: Depth=1
	v_add_nc_u32_e32 v11, s1, v5
	v_add_co_u32 v9, vcc_lo, v2, v7
	v_add_co_ci_u32_e64 v10, null, 0, v3, vcc_lo
	v_mad_i64_i32 v[11:12], null, 0x54, v11, s[16:17]
	s_clause 0x3
	global_load_dword v17, v[2:3], off
	global_load_dword v18, v[9:10], off offset:4
	global_load_dword v19, v[9:10], off offset:40
	;; [unrolled: 1-line block ×3, first 2 shown]
	v_mov_b32_e32 v24, 0
	v_mov_b32_e32 v25, 0
	v_mov_b32_e32 v26, 0
	v_mov_b32_e32 v27, 0
	v_add_co_u32 v13, vcc_lo, v11, v8
	v_add_co_ci_u32_e64 v14, null, 0, v12, vcc_lo
	v_add_co_u32 v15, vcc_lo, v11, v6
	v_add_co_ci_u32_e64 v16, null, 0, v12, vcc_lo
	s_clause 0x4
	global_load_dword v13, v[13:14], off offset:16
	global_load_ubyte v14, v[15:16], off
	global_load_ubyte v21, v[15:16], off offset:2
	global_load_ubyte v22, v[15:16], off offset:4
	;; [unrolled: 1-line block ×3, first 2 shown]
	s_clause 0x3
	global_load_dword v9, v[9:10], off offset:112
	global_load_dword v10, v[2:3], off offset:36
	;; [unrolled: 1-line block ×5, first 2 shown]
	v_mov_b32_e32 v12, 0
	v_mov_b32_e32 v29, 0
	;; [unrolled: 1-line block ×4, first 2 shown]
	v_add_nc_u32_e32 v5, 2, v5
	v_add_co_u32 v2, vcc_lo, 0x240, v2
	v_add_co_ci_u32_e64 v3, null, 0, v3, vcc_lo
	v_cmp_le_u32_e64 s0, s9, v5
	s_or_b32 s3, s0, s3
	s_waitcnt vmcnt(9)
	v_and_b32_e32 v31, 0x3030303, v13
	s_waitcnt vmcnt(8)
	v_and_b32_e32 v32, 15, v14
	v_lshrrev_b32_e32 v14, 4, v14
	v_lshrrev_b32_e32 v33, 2, v13
	s_waitcnt vmcnt(7)
	v_and_b32_e32 v34, 15, v21
	v_lshrrev_b32_e32 v21, 4, v21
	s_waitcnt vmcnt(5)
	v_and_b32_e32 v37, 15, v15
	v_mul_lo_u32 v14, 0x1010101, v14
	v_lshrrev_b32_e32 v15, 4, v15
	v_lshrrev_b32_e32 v35, 4, v13
	v_and_b32_e32 v36, 15, v22
	v_lshrrev_b32_e32 v22, 4, v22
	v_lshrrev_b32_e32 v13, 6, v13
	v_dot4c_i32_i8 v12, v31, v18
	v_and_b32_e32 v31, 0x3030303, v33
	v_mul_lo_u32 v21, 0x1010101, v21
	v_mul_lo_u32 v15, 0x1010101, v15
	v_dot4c_i32_i8 v24, v14, v18
	v_and_b32_e32 v33, 0x3030303, v35
	v_mul_lo_u32 v22, 0x1010101, v22
	v_and_b32_e32 v13, 0x3030303, v13
	v_mul_lo_u32 v12, v32, v12
	v_dot4c_i32_i8 v25, v31, v19
	v_dot4c_i32_i8 v26, v21, v19
	v_cvt_f32_i32_e32 v14, v24
	v_dot4c_i32_i8 v27, v33, v20
	s_waitcnt vmcnt(4)
	v_dot4c_i32_i8 v29, v13, v9
	v_dot4c_i32_i8 v30, v15, v9
	v_mul_lo_u32 v9, v34, v25
	v_dot4c_i32_i8 v28, v22, v20
	v_cvt_f32_i32_e32 v12, v12
	v_cvt_f32_i32_e32 v18, v26
	v_fma_mix_f32 v14, v17, v14, 0 op_sel_hi:[1,0,0]
	v_mul_lo_u32 v13, v36, v27
	v_cvt_f32_i32_e32 v19, v28
	v_fma_mix_f32 v12, v17, v12, 0 op_sel_hi:[1,0,0]
	v_cvt_f32_i32_e32 v9, v9
	s_waitcnt vmcnt(3)
	v_fma_mix_f32 v14, v10, v18, v14 op_sel_hi:[1,0,0]
	v_mul_lo_u32 v15, v37, v29
	v_cvt_f32_i32_e32 v17, v30
	v_cvt_f32_i32_e32 v13, v13
	v_fma_mix_f32 v9, v10, v9, v12 op_sel_hi:[1,0,0]
	s_waitcnt vmcnt(2)
	v_fma_mix_f32 v10, v16, v19, v14 op_sel_hi:[1,0,0]
	s_waitcnt vmcnt(0)
	v_cvt_f32_f16_sdwa v12, v11 dst_sel:DWORD dst_unused:UNUSED_PAD src0_sel:WORD_1
	v_cvt_f32_i32_e32 v14, v15
	v_fma_mix_f32 v9, v16, v13, v9 op_sel_hi:[1,0,0]
	v_fma_mix_f32 v10, v23, v17, v10 op_sel_hi:[1,0,0]
	;; [unrolled: 1-line block ×3, first 2 shown]
	v_mul_f32_e32 v10, v10, v12
	v_fma_mix_f32 v9, v9, v11, -v10 op_sel_hi:[0,1,0]
	v_add_f32_e32 v4, v4, v9
	s_andn2_b32 exec_lo, exec_lo, s3
	s_cbranch_execnz .LBB98_9
; %bb.10:
	s_or_b32 exec_lo, exec_lo, s3
.LBB98_11:
	s_or_b32 exec_lo, exec_lo, s7
	s_waitcnt lgkmcnt(0)
	; wave barrier
	buffer_gl0_inv
	s_mov_b32 s0, exec_lo
	v_cmpx_eq_u32_e32 0, v1
	s_cbranch_execz .LBB98_14
; %bb.12:
	v_mbcnt_lo_u32_b32 v1, -1, 0
	v_xor_b32_e32 v2, 16, v1
	v_xor_b32_e32 v3, 8, v1
	v_cmp_gt_i32_e32 vcc_lo, 32, v2
	v_cndmask_b32_e32 v2, v1, v2, vcc_lo
	v_cmp_gt_i32_e32 vcc_lo, 32, v3
	v_lshlrev_b32_e32 v2, 2, v2
	v_cndmask_b32_e32 v3, v1, v3, vcc_lo
	ds_bpermute_b32 v2, v2, v4
	v_lshlrev_b32_e32 v3, 2, v3
	s_waitcnt lgkmcnt(0)
	v_add_f32_e32 v2, v4, v2
	v_xor_b32_e32 v4, 4, v1
	ds_bpermute_b32 v3, v3, v2
	v_cmp_gt_i32_e32 vcc_lo, 32, v4
	v_cndmask_b32_e32 v4, v1, v4, vcc_lo
	v_lshlrev_b32_e32 v4, 2, v4
	s_waitcnt lgkmcnt(0)
	v_add_f32_e32 v2, v2, v3
	ds_bpermute_b32 v3, v4, v2
	v_xor_b32_e32 v4, 2, v1
	v_cmp_gt_i32_e32 vcc_lo, 32, v4
	v_cndmask_b32_e32 v4, v1, v4, vcc_lo
	v_lshlrev_b32_e32 v4, 2, v4
	s_waitcnt lgkmcnt(0)
	v_add_f32_e32 v2, v2, v3
	ds_bpermute_b32 v3, v4, v2
	v_xor_b32_e32 v4, 1, v1
	v_cmp_gt_i32_e32 vcc_lo, 32, v4
	v_cndmask_b32_e32 v1, v1, v4, vcc_lo
	v_cmp_eq_u32_e32 vcc_lo, 0, v0
	v_lshlrev_b32_e32 v4, 2, v1
	s_waitcnt lgkmcnt(0)
	v_add_f32_e32 v1, v2, v3
	ds_bpermute_b32 v2, v4, v1
	s_and_b32 exec_lo, exec_lo, vcc_lo
	s_cbranch_execz .LBB98_14
; %bb.13:
	s_load_dwordx2 s[0:1], s[4:5], 0x38
	s_mul_i32 s2, s2, s10
	s_mul_i32 s3, s14, s8
	s_add_i32 s2, s2, s6
	s_waitcnt lgkmcnt(0)
	v_add_f32_e32 v0, v1, v2
	s_add_i32 s2, s2, s3
	s_mov_b32 s3, 0
	v_mov_b32_e32 v1, 0
	s_lshl_b64 s[2:3], s[2:3], 2
	s_add_u32 s0, s0, s2
	s_addc_u32 s1, s1, s3
	global_store_dword v1, v0, s[0:1]
.LBB98_14:
	s_endpgm
	.section	.rodata,"a",@progbits
	.p2align	6, 0x0
	.amdhsa_kernel _ZL13mul_mat_vec_qIL9ggml_type10ELi1ELb0ELb1EEvPKvS2_PKi31ggml_cuda_mm_fusion_args_devicePfj15HIP_vector_typeIjLj3EEjjjS8_jjjS8_jjjj
		.amdhsa_group_segment_fixed_size 0
		.amdhsa_private_segment_fixed_size 0
		.amdhsa_kernarg_size 144
		.amdhsa_user_sgpr_count 6
		.amdhsa_user_sgpr_private_segment_buffer 1
		.amdhsa_user_sgpr_dispatch_ptr 0
		.amdhsa_user_sgpr_queue_ptr 0
		.amdhsa_user_sgpr_kernarg_segment_ptr 1
		.amdhsa_user_sgpr_dispatch_id 0
		.amdhsa_user_sgpr_flat_scratch_init 0
		.amdhsa_user_sgpr_private_segment_size 0
		.amdhsa_wavefront_size32 1
		.amdhsa_uses_dynamic_stack 0
		.amdhsa_system_sgpr_private_segment_wavefront_offset 0
		.amdhsa_system_sgpr_workgroup_id_x 1
		.amdhsa_system_sgpr_workgroup_id_y 1
		.amdhsa_system_sgpr_workgroup_id_z 1
		.amdhsa_system_sgpr_workgroup_info 0
		.amdhsa_system_vgpr_workitem_id 1
		.amdhsa_next_free_vgpr 38
		.amdhsa_next_free_sgpr 23
		.amdhsa_reserve_vcc 1
		.amdhsa_reserve_flat_scratch 0
		.amdhsa_float_round_mode_32 0
		.amdhsa_float_round_mode_16_64 0
		.amdhsa_float_denorm_mode_32 3
		.amdhsa_float_denorm_mode_16_64 3
		.amdhsa_dx10_clamp 1
		.amdhsa_ieee_mode 1
		.amdhsa_fp16_overflow 0
		.amdhsa_workgroup_processor_mode 1
		.amdhsa_memory_ordered 1
		.amdhsa_forward_progress 1
		.amdhsa_shared_vgpr_count 0
		.amdhsa_exception_fp_ieee_invalid_op 0
		.amdhsa_exception_fp_denorm_src 0
		.amdhsa_exception_fp_ieee_div_zero 0
		.amdhsa_exception_fp_ieee_overflow 0
		.amdhsa_exception_fp_ieee_underflow 0
		.amdhsa_exception_fp_ieee_inexact 0
		.amdhsa_exception_int_div_zero 0
	.end_amdhsa_kernel
	.section	.text._ZL13mul_mat_vec_qIL9ggml_type10ELi1ELb0ELb1EEvPKvS2_PKi31ggml_cuda_mm_fusion_args_devicePfj15HIP_vector_typeIjLj3EEjjjS8_jjjS8_jjjj,"axG",@progbits,_ZL13mul_mat_vec_qIL9ggml_type10ELi1ELb0ELb1EEvPKvS2_PKi31ggml_cuda_mm_fusion_args_devicePfj15HIP_vector_typeIjLj3EEjjjS8_jjjS8_jjjj,comdat
.Lfunc_end98:
	.size	_ZL13mul_mat_vec_qIL9ggml_type10ELi1ELb0ELb1EEvPKvS2_PKi31ggml_cuda_mm_fusion_args_devicePfj15HIP_vector_typeIjLj3EEjjjS8_jjjS8_jjjj, .Lfunc_end98-_ZL13mul_mat_vec_qIL9ggml_type10ELi1ELb0ELb1EEvPKvS2_PKi31ggml_cuda_mm_fusion_args_devicePfj15HIP_vector_typeIjLj3EEjjjS8_jjjS8_jjjj
                                        ; -- End function
	.set _ZL13mul_mat_vec_qIL9ggml_type10ELi1ELb0ELb1EEvPKvS2_PKi31ggml_cuda_mm_fusion_args_devicePfj15HIP_vector_typeIjLj3EEjjjS8_jjjS8_jjjj.num_vgpr, 38
	.set _ZL13mul_mat_vec_qIL9ggml_type10ELi1ELb0ELb1EEvPKvS2_PKi31ggml_cuda_mm_fusion_args_devicePfj15HIP_vector_typeIjLj3EEjjjS8_jjjS8_jjjj.num_agpr, 0
	.set _ZL13mul_mat_vec_qIL9ggml_type10ELi1ELb0ELb1EEvPKvS2_PKi31ggml_cuda_mm_fusion_args_devicePfj15HIP_vector_typeIjLj3EEjjjS8_jjjS8_jjjj.numbered_sgpr, 23
	.set _ZL13mul_mat_vec_qIL9ggml_type10ELi1ELb0ELb1EEvPKvS2_PKi31ggml_cuda_mm_fusion_args_devicePfj15HIP_vector_typeIjLj3EEjjjS8_jjjS8_jjjj.num_named_barrier, 0
	.set _ZL13mul_mat_vec_qIL9ggml_type10ELi1ELb0ELb1EEvPKvS2_PKi31ggml_cuda_mm_fusion_args_devicePfj15HIP_vector_typeIjLj3EEjjjS8_jjjS8_jjjj.private_seg_size, 0
	.set _ZL13mul_mat_vec_qIL9ggml_type10ELi1ELb0ELb1EEvPKvS2_PKi31ggml_cuda_mm_fusion_args_devicePfj15HIP_vector_typeIjLj3EEjjjS8_jjjS8_jjjj.uses_vcc, 1
	.set _ZL13mul_mat_vec_qIL9ggml_type10ELi1ELb0ELb1EEvPKvS2_PKi31ggml_cuda_mm_fusion_args_devicePfj15HIP_vector_typeIjLj3EEjjjS8_jjjS8_jjjj.uses_flat_scratch, 0
	.set _ZL13mul_mat_vec_qIL9ggml_type10ELi1ELb0ELb1EEvPKvS2_PKi31ggml_cuda_mm_fusion_args_devicePfj15HIP_vector_typeIjLj3EEjjjS8_jjjS8_jjjj.has_dyn_sized_stack, 0
	.set _ZL13mul_mat_vec_qIL9ggml_type10ELi1ELb0ELb1EEvPKvS2_PKi31ggml_cuda_mm_fusion_args_devicePfj15HIP_vector_typeIjLj3EEjjjS8_jjjS8_jjjj.has_recursion, 0
	.set _ZL13mul_mat_vec_qIL9ggml_type10ELi1ELb0ELb1EEvPKvS2_PKi31ggml_cuda_mm_fusion_args_devicePfj15HIP_vector_typeIjLj3EEjjjS8_jjjS8_jjjj.has_indirect_call, 0
	.section	.AMDGPU.csdata,"",@progbits
; Kernel info:
; codeLenInByte = 1280
; TotalNumSgprs: 25
; NumVgprs: 38
; ScratchSize: 0
; MemoryBound: 0
; FloatMode: 240
; IeeeMode: 1
; LDSByteSize: 0 bytes/workgroup (compile time only)
; SGPRBlocks: 0
; VGPRBlocks: 4
; NumSGPRsForWavesPerEU: 25
; NumVGPRsForWavesPerEU: 38
; Occupancy: 16
; WaveLimiterHint : 0
; COMPUTE_PGM_RSRC2:SCRATCH_EN: 0
; COMPUTE_PGM_RSRC2:USER_SGPR: 6
; COMPUTE_PGM_RSRC2:TRAP_HANDLER: 0
; COMPUTE_PGM_RSRC2:TGID_X_EN: 1
; COMPUTE_PGM_RSRC2:TGID_Y_EN: 1
; COMPUTE_PGM_RSRC2:TGID_Z_EN: 1
; COMPUTE_PGM_RSRC2:TIDIG_COMP_CNT: 1
	.section	.text._ZL13mul_mat_vec_qIL9ggml_type10ELi1ELb1ELb0EEvPKvS2_PKi31ggml_cuda_mm_fusion_args_devicePfj15HIP_vector_typeIjLj3EEjjjS8_jjjS8_jjjj,"axG",@progbits,_ZL13mul_mat_vec_qIL9ggml_type10ELi1ELb1ELb0EEvPKvS2_PKi31ggml_cuda_mm_fusion_args_devicePfj15HIP_vector_typeIjLj3EEjjjS8_jjjS8_jjjj,comdat
	.globl	_ZL13mul_mat_vec_qIL9ggml_type10ELi1ELb1ELb0EEvPKvS2_PKi31ggml_cuda_mm_fusion_args_devicePfj15HIP_vector_typeIjLj3EEjjjS8_jjjS8_jjjj ; -- Begin function _ZL13mul_mat_vec_qIL9ggml_type10ELi1ELb1ELb0EEvPKvS2_PKi31ggml_cuda_mm_fusion_args_devicePfj15HIP_vector_typeIjLj3EEjjjS8_jjjS8_jjjj
	.p2align	8
	.type	_ZL13mul_mat_vec_qIL9ggml_type10ELi1ELb1ELb0EEvPKvS2_PKi31ggml_cuda_mm_fusion_args_devicePfj15HIP_vector_typeIjLj3EEjjjS8_jjjS8_jjjj,@function
_ZL13mul_mat_vec_qIL9ggml_type10ELi1ELb1ELb0EEvPKvS2_PKi31ggml_cuda_mm_fusion_args_devicePfj15HIP_vector_typeIjLj3EEjjjS8_jjjS8_jjjj: ; @_ZL13mul_mat_vec_qIL9ggml_type10ELi1ELb1ELb0EEvPKvS2_PKi31ggml_cuda_mm_fusion_args_devicePfj15HIP_vector_typeIjLj3EEjjjS8_jjjS8_jjjj
; %bb.0:
	s_clause 0x3
	s_load_dwordx8 s[12:19], s[4:5], 0x0
	s_load_dwordx4 s[28:31], s[4:5], 0x20
	s_load_dwordx4 s[36:39], s[4:5], 0x40
	;; [unrolled: 1-line block ×3, first 2 shown]
	s_mov_b32 s10, s7
	s_waitcnt lgkmcnt(0)
	s_cmp_lg_u64 s[16:17], 0
	s_cselect_b32 s0, -1, 0
	s_cmp_eq_u64 s[16:17], 0
	s_cbranch_scc1 .LBB99_5
; %bb.1:
	s_mov_b32 s11, 0
	s_lshl_b64 s[2:3], s[10:11], 2
	s_add_u32 s2, s16, s2
	s_addc_u32 s3, s17, s3
	s_load_dword s33, s[2:3], 0x0
	s_clause 0x1
	s_load_dword s35, s[4:5], 0x50
	s_load_dword s34, s[4:5], 0x78
	s_cbranch_execnz .LBB99_3
.LBB99_2:
	s_load_dwordx2 s[2:3], s[4:5], 0x5c
	s_waitcnt lgkmcnt(0)
	s_mul_hi_u32 s1, s2, s10
	s_add_i32 s1, s10, s1
	s_lshr_b32 s33, s1, s3
.LBB99_3:
	s_andn2_b32 vcc_lo, exec_lo, s0
	s_cbranch_vccnz .LBB99_6
; %bb.4:
	s_mul_hi_u32 s0, s37, s10
	s_waitcnt lgkmcnt(0)
	s_mov_b32 s1, s33
	s_add_i32 s0, s10, s0
	s_lshr_b32 s0, s0, s38
	s_mul_i32 s0, s0, s39
	s_sub_i32 s11, s10, s0
	s_branch .LBB99_7
.LBB99_5:
                                        ; implicit-def: $sgpr33
	s_clause 0x1
	s_load_dword s35, s[4:5], 0x50
	s_load_dword s34, s[4:5], 0x78
	s_branch .LBB99_2
.LBB99_6:
	s_mov_b32 s1, s10
	s_mov_b32 s11, s10
.LBB99_7:
	s_load_dwordx4 s[24:27], s[4:5], 0x80
	v_or_b32_e32 v2, v0, v1
	s_cmp_lg_u64 s[18:19], 0
	v_mov_b32_e32 v4, 0
	v_mov_b32_e32 v5, 0
	s_cselect_b32 s0, -1, 0
	v_cmp_eq_u32_e32 vcc_lo, 0, v2
	s_mov_b32 s17, 0
	s_mul_i32 s2, s1, s22
	s_and_b32 s3, s0, vcc_lo
	s_and_saveexec_b32 s1, s3
	s_cbranch_execz .LBB99_9
; %bb.8:
	s_waitcnt lgkmcnt(0)
	s_mul_i32 s16, s26, s8
	s_mov_b32 s3, s17
	s_lshl_b64 s[38:39], s[16:17], 2
	v_lshlrev_b32_e32 v2, 2, v0
	s_add_u32 s7, s18, s38
	s_addc_u32 s9, s19, s39
	s_lshl_b64 s[16:17], s[2:3], 2
	s_add_u32 s3, s7, s16
	s_addc_u32 s9, s9, s17
	s_ashr_i32 s7, s6, 31
	s_lshl_b64 s[16:17], s[6:7], 2
	s_add_u32 s16, s3, s16
	s_addc_u32 s17, s9, s17
	global_load_dword v5, v2, s[16:17]
.LBB99_9:
	s_or_b32 exec_lo, exec_lo, s1
	s_cmp_lg_u64 s[28:29], 0
	s_cselect_b32 s9, -1, 0
	s_cmp_lg_u64 s[30:31], 0
	s_cselect_b32 s1, -1, 0
	s_and_b32 s3, s1, s9
	s_and_b32 s3, s3, vcc_lo
	s_and_saveexec_b32 s16, s3
	s_cbranch_execz .LBB99_11
; %bb.10:
	s_waitcnt lgkmcnt(0)
	s_mul_i32 s18, s26, s8
	s_mov_b32 s19, 0
	v_lshlrev_b32_e32 v2, 2, v0
	s_lshl_b64 s[38:39], s[18:19], 2
	s_mov_b32 s3, s19
	s_add_u32 s7, s30, s38
	s_addc_u32 s17, s31, s39
	s_lshl_b64 s[2:3], s[2:3], 2
	s_add_u32 s18, s7, s2
	s_addc_u32 s17, s17, s3
	s_ashr_i32 s7, s6, 31
	s_lshl_b64 s[2:3], s[6:7], 2
	s_add_u32 s2, s18, s2
	s_addc_u32 s3, s17, s3
	global_load_dword v4, v2, s[2:3]
.LBB99_11:
	s_or_b32 exec_lo, exec_lo, s16
	v_lshl_or_b32 v2, v1, 5, v0
	v_mov_b32_e32 v8, 0
	v_cndmask_b32_e64 v6, 0, 1, s9
	v_mov_b32_e32 v7, 0
	s_lshr_b32 s3, s36, 8
	v_lshrrev_b32_e32 v9, 4, v2
	s_mov_b32 s7, exec_lo
	v_cmpx_gt_u32_e64 s3, v9
	s_cbranch_execz .LBB99_17
; %bb.12:
	v_bfe_u32 v8, v0, 3, 1
	s_mul_hi_u32 s2, s23, s8
	v_lshrrev_b32_e32 v12, 4, v2
	s_add_i32 s2, s8, s2
	s_waitcnt lgkmcnt(0)
	s_mul_i32 s35, s35, s6
	v_mul_hi_u32_u24_e32 v3, 0x90, v8
	v_mul_u32_u24_e32 v2, 0x90, v8
	s_lshr_b32 s2, s2, s34
	s_mul_i32 s16, s33, s20
	s_mul_i32 s2, s2, s24
	;; [unrolled: 1-line block ×3, first 2 shown]
	s_add_i32 s2, s2, s35
	v_mad_u64_u32 v[2:3], null, 0x120, v12, v[2:3]
	s_mul_i32 s18, s11, s21
	s_add_i32 s11, s16, s2
	s_mul_i32 s16, s17, 36
	s_mul_hi_u32 s17, s17, 36
	s_mul_hi_u32 s2, s18, 36
	s_mul_i32 s18, s18, 36
	s_add_u32 s14, s14, s16
	v_and_b32_e32 v7, 15, v0
	v_and_b32_e32 v11, 7, v0
	v_bfe_u32 v10, v0, 2, 1
	s_addc_u32 s15, s15, s17
	s_add_u32 s14, s14, s18
	s_addc_u32 s2, s15, s2
	v_add_co_u32 v2, vcc_lo, s14, v2
	v_mov_b32_e32 v8, 0
	v_and_or_b32 v10, v0, 8, v10
	v_lshlrev_b32_e32 v11, 2, v11
	v_add_co_ci_u32_e64 v3, null, s2, v3, vcc_lo
	v_lshlrev_b32_e32 v12, 2, v7
	v_mov_b32_e32 v7, 0
	s_mov_b32 s14, 0
	s_branch .LBB99_14
.LBB99_13:                              ;   in Loop: Header=BB99_14 Depth=1
	s_waitcnt vmcnt(5)
	v_and_b32_e32 v27, 0x3030303, v21
	v_mov_b32_e32 v28, 0
	s_waitcnt vmcnt(3)
	v_bfe_u32 v29, v26, 4, 4
	v_and_b32_e32 v26, 15, v26
	v_lshrrev_b32_e32 v30, 2, v21
	v_mov_b32_e32 v31, 0
	v_dot4c_i32_i8 v28, v27, v23
	v_mul_lo_u32 v27, 0x1010101, v29
	v_mov_b32_e32 v29, 0
	v_mov_b32_e32 v32, 0
	v_add_nc_u32_e32 v9, 2, v9
	v_mul_lo_u32 v26, v26, v28
	s_waitcnt vmcnt(2)
	v_and_b32_e32 v28, 15, v25
	v_bfe_u32 v25, v25, 4, 4
	v_add_co_u32 v2, s2, 0x240, v2
	v_dot4c_i32_i8 v29, v27, v23
	v_and_b32_e32 v23, 0x3030303, v30
	v_lshrrev_b32_e32 v27, 4, v21
	v_cvt_f32_i32_e32 v26, v26
	v_mul_lo_u32 v25, 0x1010101, v25
	v_cvt_f32_i32_e32 v29, v29
	v_dot4c_i32_i8 v31, v23, v20
	v_mov_b32_e32 v23, 0
	v_and_b32_e32 v27, 0x3030303, v27
	v_fma_f32 v26, v24, v26, 0
	v_fma_f32 v24, v24, v29, 0
	s_waitcnt vmcnt(1)
	v_bfe_u32 v29, v22, 4, 4
	v_dot4c_i32_i8 v32, v25, v20
	v_dot4c_i32_i8 v23, v27, v15
	v_lshrrev_b32_e32 v20, 6, v21
	v_and_b32_e32 v21, 15, v22
	v_mul_lo_u32 v22, 0x1010101, v29
	s_waitcnt vmcnt(0)
	v_bfe_u32 v27, v19, 4, 4
	v_mov_b32_e32 v25, 0
	v_mul_lo_u32 v28, v28, v31
	v_and_b32_e32 v20, 0x3030303, v20
	v_mov_b32_e32 v29, 0
	v_mul_lo_u32 v21, v21, v23
	v_mul_lo_u32 v23, 0x1010101, v27
	v_cvt_f32_i32_e32 v30, v32
	v_dot4c_i32_i8 v25, v22, v15
	v_mov_b32_e32 v15, 0
	v_dot4c_i32_i8 v29, v20, v14
	v_and_b32_e32 v19, 15, v19
	v_cvt_f32_i32_e32 v20, v28
	v_fmac_f32_e32 v24, v18, v30
	v_cvt_f32_i32_e32 v22, v25
	v_dot4c_i32_i8 v15, v23, v14
	v_mul_lo_u32 v14, v19, v29
	v_fmac_f32_e32 v26, v18, v20
	v_cvt_f32_i32_e32 v18, v21
	v_fmac_f32_e32 v24, v17, v22
	v_cvt_f32_i32_e32 v15, v15
	v_cmp_le_u32_e32 vcc_lo, s3, v9
	v_add_co_ci_u32_e64 v3, null, 0, v3, s2
	v_fmac_f32_e32 v26, v17, v18
	v_cvt_f32_i32_e32 v14, v14
	v_fmac_f32_e32 v24, v16, v15
	v_cvt_f32_f16_sdwa v15, v13 dst_sel:DWORD dst_unused:UNUSED_PAD src0_sel:WORD_1
	s_or_b32 s14, vcc_lo, s14
	v_fmac_f32_e32 v26, v16, v14
	v_mul_f32_e32 v14, v24, v15
	v_fma_mix_f32 v13, v26, v13, -v14 op_sel_hi:[0,1,0]
	v_add_f32_e32 v8, v8, v13
	s_andn2_b32 exec_lo, exec_lo, s14
	s_cbranch_execz .LBB99_16
.LBB99_14:                              ; =>This Inner Loop Header: Depth=1
	v_add_nc_u32_e32 v27, s11, v9
	v_add_co_u32 v13, vcc_lo, v2, v11
	v_add_co_ci_u32_e64 v14, null, 0, v3, vcc_lo
	v_mad_i64_i32 v[16:17], null, 0x54, v27, s[12:13]
	s_clause 0x3
	global_load_dword v23, v[13:14], off offset:4
	global_load_dword v20, v[13:14], off offset:40
	;; [unrolled: 1-line block ×4, first 2 shown]
	v_add_co_u32 v18, vcc_lo, v16, v12
	v_add_co_ci_u32_e64 v19, null, 0, v17, vcc_lo
	v_add_co_u32 v28, vcc_lo, v16, v10
	v_add_co_ci_u32_e64 v29, null, 0, v17, vcc_lo
	s_clause 0x3
	global_load_dword v24, v[2:3], off
	global_load_dword v30, v[2:3], off offset:36
	global_load_dword v31, v[2:3], off offset:72
	;; [unrolled: 1-line block ×3, first 2 shown]
	s_clause 0x5
	global_load_dword v21, v[18:19], off offset:16
	global_load_dword v13, v[16:17], off offset:80
	global_load_ubyte v26, v[28:29], off
	global_load_ubyte v25, v[28:29], off offset:2
	global_load_ubyte v22, v[28:29], off offset:4
	;; [unrolled: 1-line block ×3, first 2 shown]
	s_andn2_b32 vcc_lo, exec_lo, s9
	s_waitcnt vmcnt(9)
	v_cvt_f32_f16_e32 v24, v24
	s_waitcnt vmcnt(8)
	v_cvt_f32_f16_e32 v18, v30
	;; [unrolled: 2-line block ×4, first 2 shown]
	s_cbranch_vccnz .LBB99_13
; %bb.15:                               ;   in Loop: Header=BB99_14 Depth=1
	v_mad_i64_i32 v[27:28], null, 0x54, v27, s[28:29]
	v_mov_b32_e32 v35, 0
	v_mov_b32_e32 v36, 0
	;; [unrolled: 1-line block ×6, first 2 shown]
	v_add_co_u32 v29, vcc_lo, v27, v12
	v_add_co_ci_u32_e64 v30, null, 0, v28, vcc_lo
	v_add_co_u32 v31, vcc_lo, v27, v10
	v_add_co_ci_u32_e64 v32, null, 0, v28, vcc_lo
	s_clause 0x5
	global_load_dword v29, v[29:30], off offset:16
	global_load_ubyte v30, v[31:32], off
	global_load_ubyte v33, v[31:32], off offset:2
	global_load_ubyte v34, v[31:32], off offset:4
	global_load_ubyte v31, v[31:32], off offset:6
	global_load_dword v27, v[27:28], off offset:80
	v_mov_b32_e32 v28, 0
	v_mov_b32_e32 v32, 0
	s_waitcnt vmcnt(5)
	v_and_b32_e32 v41, 0x3030303, v29
	s_waitcnt vmcnt(4)
	v_and_b32_e32 v42, 15, v30
	v_lshrrev_b32_e32 v30, 4, v30
	v_lshrrev_b32_e32 v43, 2, v29
	s_waitcnt vmcnt(3)
	v_and_b32_e32 v44, 15, v33
	v_lshrrev_b32_e32 v33, 4, v33
	v_lshrrev_b32_e32 v45, 4, v29
	v_mul_lo_u32 v30, 0x1010101, v30
	v_lshrrev_b32_e32 v29, 6, v29
	s_waitcnt vmcnt(2)
	v_and_b32_e32 v46, 15, v34
	v_lshrrev_b32_e32 v34, 4, v34
	v_dot4c_i32_i8 v28, v41, v23
	v_and_b32_e32 v41, 0x3030303, v43
	v_mul_lo_u32 v33, 0x1010101, v33
	s_waitcnt vmcnt(1)
	v_and_b32_e32 v47, 15, v31
	v_lshrrev_b32_e32 v31, 4, v31
	v_and_b32_e32 v29, 0x3030303, v29
	v_dot4c_i32_i8 v32, v30, v23
	v_and_b32_e32 v43, 0x3030303, v45
	v_mul_lo_u32 v34, 0x1010101, v34
	v_mul_lo_u32 v28, v42, v28
	v_dot4c_i32_i8 v35, v41, v20
	v_mul_lo_u32 v31, 0x1010101, v31
	v_dot4c_i32_i8 v39, v29, v14
	v_dot4c_i32_i8 v36, v33, v20
	v_cvt_f32_i32_e32 v29, v32
	v_dot4c_i32_i8 v37, v43, v15
	v_mul_lo_u32 v30, v44, v35
	v_dot4c_i32_i8 v38, v34, v15
	v_cvt_f32_i32_e32 v28, v28
	v_cvt_f32_i32_e32 v32, v36
	v_fma_f32 v29, v24, v29, 0
	v_dot4c_i32_i8 v40, v31, v14
	v_mul_lo_u32 v31, v46, v37
	v_cvt_f32_i32_e32 v34, v38
	v_fma_f32 v28, v24, v28, 0
	v_cvt_f32_i32_e32 v30, v30
	v_fmac_f32_e32 v29, v18, v32
	v_mul_lo_u32 v33, v47, v39
	v_cvt_f32_i32_e32 v32, v40
	v_cvt_f32_i32_e32 v31, v31
	v_fmac_f32_e32 v28, v18, v30
	v_fmac_f32_e32 v29, v17, v34
	v_cvt_f32_i32_e32 v30, v33
	v_fmac_f32_e32 v28, v17, v31
	v_fmac_f32_e32 v29, v16, v32
	s_waitcnt vmcnt(0)
	v_cvt_f32_f16_sdwa v31, v27 dst_sel:DWORD dst_unused:UNUSED_PAD src0_sel:WORD_1
	v_fmac_f32_e32 v28, v16, v30
	v_mul_f32_e32 v29, v29, v31
	v_fma_mix_f32 v27, v28, v27, -v29 op_sel_hi:[0,1,0]
	v_add_f32_e32 v7, v7, v27
	s_branch .LBB99_13
.LBB99_16:
	s_or_b32 exec_lo, exec_lo, s14
.LBB99_17:
	s_or_b32 exec_lo, exec_lo, s7
	s_load_dword s2, s[4:5], 0x30
	s_waitcnt vmcnt(0) lgkmcnt(0)
	; wave barrier
	buffer_gl0_inv
	s_mov_b32 s3, exec_lo
	v_cmpx_eq_u32_e32 0, v1
	s_cbranch_execz .LBB99_44
; %bb.18:
	v_mbcnt_lo_u32_b32 v2, -1, 0
	v_xor_b32_e32 v1, 16, v2
	v_xor_b32_e32 v9, 8, v2
	v_cmp_gt_i32_e32 vcc_lo, 32, v1
	v_cndmask_b32_e32 v1, v2, v1, vcc_lo
	v_cmp_gt_i32_e32 vcc_lo, 32, v9
	v_lshlrev_b32_e32 v1, 2, v1
	v_cndmask_b32_e32 v9, v2, v9, vcc_lo
	ds_bpermute_b32 v3, v1, v8
	v_lshlrev_b32_e32 v9, 2, v9
	s_waitcnt lgkmcnt(0)
	v_add_f32_e32 v3, v8, v3
	v_xor_b32_e32 v8, 4, v2
	ds_bpermute_b32 v10, v9, v3
	v_cmp_gt_i32_e32 vcc_lo, 32, v8
	v_cndmask_b32_e32 v8, v2, v8, vcc_lo
	v_lshlrev_b32_e32 v8, 2, v8
	s_waitcnt lgkmcnt(0)
	v_add_f32_e32 v3, v3, v10
	v_xor_b32_e32 v10, 2, v2
	ds_bpermute_b32 v11, v8, v3
	v_cmp_gt_i32_e32 vcc_lo, 32, v10
	v_cndmask_b32_e32 v10, v2, v10, vcc_lo
	;; [unrolled: 7-line block ×3, first 2 shown]
	v_cmp_ne_u32_e32 vcc_lo, 1, v6
	v_lshlrev_b32_e32 v11, 2, v2
	s_waitcnt lgkmcnt(0)
	v_add_f32_e32 v2, v3, v12
	ds_bpermute_b32 v3, v11, v2
	s_cbranch_vccnz .LBB99_20
; %bb.19:
	ds_bpermute_b32 v1, v1, v7
	s_waitcnt lgkmcnt(0)
	v_add_f32_e32 v1, v7, v1
	ds_bpermute_b32 v7, v9, v1
	s_waitcnt lgkmcnt(0)
	v_add_f32_e32 v1, v1, v7
	;; [unrolled: 3-line block ×5, first 2 shown]
.LBB99_20:
	v_cmp_eq_u32_e32 vcc_lo, 0, v0
	s_and_b32 exec_lo, exec_lo, vcc_lo
	s_cbranch_execz .LBB99_44
; %bb.21:
	s_waitcnt lgkmcnt(0)
	v_add_f32_e32 v1, v2, v3
	v_cmp_ne_u32_e32 vcc_lo, 1, v6
	v_add_f32_e32 v2, v5, v1
	v_cndmask_b32_e64 v1, v1, v2, s0
	s_cbranch_vccnz .LBB99_43
; %bb.22:
	v_add_f32_e32 v2, v4, v7
	s_cmp_lt_i32 s2, 2
	s_mov_b32 s0, 0
	v_cndmask_b32_e64 v2, v7, v2, s1
	s_cbranch_scc1 .LBB99_26
; %bb.23:
	s_cmp_gt_i32 s2, 2
	s_cbranch_scc0 .LBB99_27
; %bb.24:
	s_cmp_eq_u32 s2, 3
	s_cbranch_scc0 .LBB99_28
; %bb.25:
	v_max_f32_e32 v3, v2, v2
	s_mov_b32 s1, 0
	v_min_f32_e32 v3, 0x40e00000, v3
	v_mul_f32_e32 v4, 0xbfd9db23, v3
	v_mul_f32_e32 v5, 0x3fb8aa3b, v4
	v_cmp_ngt_f32_e32 vcc_lo, 0xc2ce8ed0, v4
	v_fma_f32 v6, 0x3fb8aa3b, v4, -v5
	v_rndne_f32_e32 v7, v5
	v_fmamk_f32 v6, v4, 0x32a5705f, v6
	v_sub_f32_e32 v5, v5, v7
	v_add_f32_e32 v5, v5, v6
	v_cvt_i32_f32_e32 v6, v7
	v_exp_f32_e32 v5, v5
	v_ldexp_f32 v5, v5, v6
	v_cndmask_b32_e32 v5, 0, v5, vcc_lo
	v_cmp_nlt_f32_e32 vcc_lo, 0x42b17218, v4
	v_cndmask_b32_e32 v4, 0x7f800000, v5, vcc_lo
	v_add_f32_e32 v4, 1.0, v4
	v_div_scale_f32 v5, null, v4, v4, v3
	v_div_scale_f32 v8, vcc_lo, v3, v4, v3
	v_rcp_f32_e32 v6, v5
	v_fma_f32 v7, -v5, v6, 1.0
	v_fmac_f32_e32 v6, v7, v6
	v_mul_f32_e32 v7, v8, v6
	v_fma_f32 v9, -v5, v7, v8
	v_fmac_f32_e32 v7, v9, v6
	v_max_f32_e32 v9, v1, v1
	v_fma_f32 v5, -v5, v7, v8
	v_min_f32_e32 v8, 0x40e00000, v9
	v_div_fmas_f32 v5, v5, v6, v7
	v_max_f32_e32 v6, 0xc0e00000, v8
	v_div_fixup_f32 v3, v5, v4, v3
	v_add_f32_e32 v4, 1.0, v6
	v_mul_f32_e32 v3, v4, v3
	s_branch .LBB99_29
.LBB99_26:
	s_mov_b32 s1, 0
                                        ; implicit-def: $vgpr3
	s_cbranch_execnz .LBB99_33
	s_branch .LBB99_34
.LBB99_27:
	s_mov_b32 s3, -1
	s_mov_b32 s1, 0
                                        ; implicit-def: $vgpr3
	s_branch .LBB99_30
.LBB99_28:
	s_mov_b32 s1, -1
                                        ; implicit-def: $vgpr3
.LBB99_29:
	s_mov_b32 s3, 0
.LBB99_30:
	s_and_b32 vcc_lo, exec_lo, s3
	s_cbranch_vccz .LBB99_32
; %bb.31:
	v_mul_f32_e32 v3, 0xbfb8aa3b, v2
	v_cmp_nlt_f32_e32 vcc_lo, 0x42ce8ed0, v2
	v_rndne_f32_e32 v4, v3
	v_fma_f32 v5, 0xbfb8aa3b, v2, -v3
	v_sub_f32_e32 v3, v3, v4
	v_fmamk_f32 v5, v2, 0xb2a5705f, v5
	v_cvt_i32_f32_e32 v4, v4
	v_add_f32_e32 v3, v3, v5
	v_exp_f32_e32 v3, v3
	v_ldexp_f32 v3, v3, v4
	v_cndmask_b32_e32 v3, 0, v3, vcc_lo
	v_cmp_ngt_f32_e32 vcc_lo, 0xc2b17218, v2
	v_cndmask_b32_e32 v3, 0x7f800000, v3, vcc_lo
	v_add_f32_e32 v3, 1.0, v3
	v_div_scale_f32 v4, null, v3, v3, v2
	v_rcp_f32_e32 v5, v4
	v_fma_f32 v6, -v4, v5, 1.0
	v_fmac_f32_e32 v5, v6, v5
	v_div_scale_f32 v6, vcc_lo, v2, v3, v2
	v_mul_f32_e32 v7, v6, v5
	v_fma_f32 v8, -v4, v7, v6
	v_fmac_f32_e32 v7, v8, v5
	v_fma_f32 v4, -v4, v7, v6
	v_div_fmas_f32 v4, v4, v5, v7
	v_div_fixup_f32 v3, v4, v3, v2
	v_mul_f32_e32 v3, v1, v3
.LBB99_32:
	s_branch .LBB99_34
.LBB99_33:
	s_cmp_lg_u32 s2, 1
	s_mov_b32 s0, -1
	s_cselect_b32 s1, -1, 0
.LBB99_34:
	s_andn2_b32 vcc_lo, exec_lo, s1
	s_cbranch_vccz .LBB99_36
; %bb.35:
	s_andn2_b32 vcc_lo, exec_lo, s0
	s_cbranch_vccz .LBB99_37
	s_branch .LBB99_42
.LBB99_36:
	v_mul_f32_e32 v3, v2, v1
	s_cbranch_execnz .LBB99_42
.LBB99_37:
	v_mul_f32_e32 v3, 0x3d372713, v2
	v_mul_f32_e32 v4, 0x3f4c422a, v2
	v_fma_f32 v3, v2, v3, 1.0
	v_mul_f32_e32 v3, v4, v3
                                        ; implicit-def: $vgpr4
	v_cmp_ngt_f32_e64 s0, 0x3f200000, |v3|
	s_and_saveexec_b32 s1, s0
	s_xor_b32 s0, exec_lo, s1
	s_cbranch_execz .LBB99_39
; %bb.38:
	v_add_f32_e64 v4, |v3|, |v3|
	v_mul_f32_e32 v5, 0x3fb8aa3b, v4
	v_cmp_ngt_f32_e32 vcc_lo, 0xc2ce8ed0, v4
	v_rndne_f32_e32 v6, v5
	v_fma_f32 v7, 0x3fb8aa3b, v4, -v5
	v_sub_f32_e32 v5, v5, v6
	v_fmamk_f32 v7, v4, 0x32a5705f, v7
	v_cvt_i32_f32_e32 v6, v6
	v_add_f32_e32 v5, v5, v7
	v_exp_f32_e32 v5, v5
	v_ldexp_f32 v5, v5, v6
	v_cndmask_b32_e32 v5, 0, v5, vcc_lo
	v_cmp_nlt_f32_e32 vcc_lo, 0x42b17218, v4
	v_cndmask_b32_e32 v4, 0x7f800000, v5, vcc_lo
	v_add_f32_e32 v4, 1.0, v4
	v_rcp_f32_e32 v4, v4
	v_fma_f32 v4, v4, -2.0, 1.0
.LBB99_39:
	s_andn2_saveexec_b32 s0, s0
	s_cbranch_execz .LBB99_41
; %bb.40:
	v_mul_f32_e32 v4, v3, v3
	s_mov_b32 s1, 0xbbbac73d
	v_fmaak_f32 v5, s1, v4, 0x3ca908c9
	v_fmaak_f32 v5, v4, v5, 0xbd5c1c4e
	;; [unrolled: 1-line block ×4, first 2 shown]
	v_mul_f32_e64 v5, |v3|, v5
	v_fma_f32 v4, v4, v5, |v3|
.LBB99_41:
	s_or_b32 exec_lo, exec_lo, s0
	v_bfi_b32 v3, 0x7fffffff, v4, v3
	v_mul_f32_e32 v2, 0.5, v2
	v_add_f32_e32 v3, 1.0, v3
	v_mul_f32_e32 v2, v2, v3
	v_mul_f32_e32 v3, v1, v2
.LBB99_42:
	v_mov_b32_e32 v1, v3
.LBB99_43:
	s_load_dwordx2 s[0:1], s[4:5], 0x38
	s_mul_i32 s2, s22, s10
	s_mul_i32 s3, s26, s8
	s_add_i32 s2, s2, s6
	v_lshlrev_b32_e32 v0, 2, v0
	s_add_i32 s2, s2, s3
	s_mov_b32 s3, 0
	s_lshl_b64 s[2:3], s[2:3], 2
	s_waitcnt lgkmcnt(0)
	s_add_u32 s0, s0, s2
	s_addc_u32 s1, s1, s3
	global_store_dword v0, v1, s[0:1]
.LBB99_44:
	s_endpgm
	.section	.rodata,"a",@progbits
	.p2align	6, 0x0
	.amdhsa_kernel _ZL13mul_mat_vec_qIL9ggml_type10ELi1ELb1ELb0EEvPKvS2_PKi31ggml_cuda_mm_fusion_args_devicePfj15HIP_vector_typeIjLj3EEjjjS8_jjjS8_jjjj
		.amdhsa_group_segment_fixed_size 0
		.amdhsa_private_segment_fixed_size 0
		.amdhsa_kernarg_size 144
		.amdhsa_user_sgpr_count 6
		.amdhsa_user_sgpr_private_segment_buffer 1
		.amdhsa_user_sgpr_dispatch_ptr 0
		.amdhsa_user_sgpr_queue_ptr 0
		.amdhsa_user_sgpr_kernarg_segment_ptr 1
		.amdhsa_user_sgpr_dispatch_id 0
		.amdhsa_user_sgpr_flat_scratch_init 0
		.amdhsa_user_sgpr_private_segment_size 0
		.amdhsa_wavefront_size32 1
		.amdhsa_uses_dynamic_stack 0
		.amdhsa_system_sgpr_private_segment_wavefront_offset 0
		.amdhsa_system_sgpr_workgroup_id_x 1
		.amdhsa_system_sgpr_workgroup_id_y 1
		.amdhsa_system_sgpr_workgroup_id_z 1
		.amdhsa_system_sgpr_workgroup_info 0
		.amdhsa_system_vgpr_workitem_id 1
		.amdhsa_next_free_vgpr 48
		.amdhsa_next_free_sgpr 40
		.amdhsa_reserve_vcc 1
		.amdhsa_reserve_flat_scratch 0
		.amdhsa_float_round_mode_32 0
		.amdhsa_float_round_mode_16_64 0
		.amdhsa_float_denorm_mode_32 3
		.amdhsa_float_denorm_mode_16_64 3
		.amdhsa_dx10_clamp 1
		.amdhsa_ieee_mode 1
		.amdhsa_fp16_overflow 0
		.amdhsa_workgroup_processor_mode 1
		.amdhsa_memory_ordered 1
		.amdhsa_forward_progress 1
		.amdhsa_shared_vgpr_count 0
		.amdhsa_exception_fp_ieee_invalid_op 0
		.amdhsa_exception_fp_denorm_src 0
		.amdhsa_exception_fp_ieee_div_zero 0
		.amdhsa_exception_fp_ieee_overflow 0
		.amdhsa_exception_fp_ieee_underflow 0
		.amdhsa_exception_fp_ieee_inexact 0
		.amdhsa_exception_int_div_zero 0
	.end_amdhsa_kernel
	.section	.text._ZL13mul_mat_vec_qIL9ggml_type10ELi1ELb1ELb0EEvPKvS2_PKi31ggml_cuda_mm_fusion_args_devicePfj15HIP_vector_typeIjLj3EEjjjS8_jjjS8_jjjj,"axG",@progbits,_ZL13mul_mat_vec_qIL9ggml_type10ELi1ELb1ELb0EEvPKvS2_PKi31ggml_cuda_mm_fusion_args_devicePfj15HIP_vector_typeIjLj3EEjjjS8_jjjS8_jjjj,comdat
.Lfunc_end99:
	.size	_ZL13mul_mat_vec_qIL9ggml_type10ELi1ELb1ELb0EEvPKvS2_PKi31ggml_cuda_mm_fusion_args_devicePfj15HIP_vector_typeIjLj3EEjjjS8_jjjS8_jjjj, .Lfunc_end99-_ZL13mul_mat_vec_qIL9ggml_type10ELi1ELb1ELb0EEvPKvS2_PKi31ggml_cuda_mm_fusion_args_devicePfj15HIP_vector_typeIjLj3EEjjjS8_jjjS8_jjjj
                                        ; -- End function
	.set _ZL13mul_mat_vec_qIL9ggml_type10ELi1ELb1ELb0EEvPKvS2_PKi31ggml_cuda_mm_fusion_args_devicePfj15HIP_vector_typeIjLj3EEjjjS8_jjjS8_jjjj.num_vgpr, 48
	.set _ZL13mul_mat_vec_qIL9ggml_type10ELi1ELb1ELb0EEvPKvS2_PKi31ggml_cuda_mm_fusion_args_devicePfj15HIP_vector_typeIjLj3EEjjjS8_jjjS8_jjjj.num_agpr, 0
	.set _ZL13mul_mat_vec_qIL9ggml_type10ELi1ELb1ELb0EEvPKvS2_PKi31ggml_cuda_mm_fusion_args_devicePfj15HIP_vector_typeIjLj3EEjjjS8_jjjS8_jjjj.numbered_sgpr, 40
	.set _ZL13mul_mat_vec_qIL9ggml_type10ELi1ELb1ELb0EEvPKvS2_PKi31ggml_cuda_mm_fusion_args_devicePfj15HIP_vector_typeIjLj3EEjjjS8_jjjS8_jjjj.num_named_barrier, 0
	.set _ZL13mul_mat_vec_qIL9ggml_type10ELi1ELb1ELb0EEvPKvS2_PKi31ggml_cuda_mm_fusion_args_devicePfj15HIP_vector_typeIjLj3EEjjjS8_jjjS8_jjjj.private_seg_size, 0
	.set _ZL13mul_mat_vec_qIL9ggml_type10ELi1ELb1ELb0EEvPKvS2_PKi31ggml_cuda_mm_fusion_args_devicePfj15HIP_vector_typeIjLj3EEjjjS8_jjjS8_jjjj.uses_vcc, 1
	.set _ZL13mul_mat_vec_qIL9ggml_type10ELi1ELb1ELb0EEvPKvS2_PKi31ggml_cuda_mm_fusion_args_devicePfj15HIP_vector_typeIjLj3EEjjjS8_jjjS8_jjjj.uses_flat_scratch, 0
	.set _ZL13mul_mat_vec_qIL9ggml_type10ELi1ELb1ELb0EEvPKvS2_PKi31ggml_cuda_mm_fusion_args_devicePfj15HIP_vector_typeIjLj3EEjjjS8_jjjS8_jjjj.has_dyn_sized_stack, 0
	.set _ZL13mul_mat_vec_qIL9ggml_type10ELi1ELb1ELb0EEvPKvS2_PKi31ggml_cuda_mm_fusion_args_devicePfj15HIP_vector_typeIjLj3EEjjjS8_jjjS8_jjjj.has_recursion, 0
	.set _ZL13mul_mat_vec_qIL9ggml_type10ELi1ELb1ELb0EEvPKvS2_PKi31ggml_cuda_mm_fusion_args_devicePfj15HIP_vector_typeIjLj3EEjjjS8_jjjS8_jjjj.has_indirect_call, 0
	.section	.AMDGPU.csdata,"",@progbits
; Kernel info:
; codeLenInByte = 2872
; TotalNumSgprs: 42
; NumVgprs: 48
; ScratchSize: 0
; MemoryBound: 0
; FloatMode: 240
; IeeeMode: 1
; LDSByteSize: 0 bytes/workgroup (compile time only)
; SGPRBlocks: 0
; VGPRBlocks: 5
; NumSGPRsForWavesPerEU: 42
; NumVGPRsForWavesPerEU: 48
; Occupancy: 16
; WaveLimiterHint : 0
; COMPUTE_PGM_RSRC2:SCRATCH_EN: 0
; COMPUTE_PGM_RSRC2:USER_SGPR: 6
; COMPUTE_PGM_RSRC2:TRAP_HANDLER: 0
; COMPUTE_PGM_RSRC2:TGID_X_EN: 1
; COMPUTE_PGM_RSRC2:TGID_Y_EN: 1
; COMPUTE_PGM_RSRC2:TGID_Z_EN: 1
; COMPUTE_PGM_RSRC2:TIDIG_COMP_CNT: 1
	.section	.text._ZL13mul_mat_vec_qIL9ggml_type10ELi1ELb0ELb0EEvPKvS2_PKi31ggml_cuda_mm_fusion_args_devicePfj15HIP_vector_typeIjLj3EEjjjS8_jjjS8_jjjj,"axG",@progbits,_ZL13mul_mat_vec_qIL9ggml_type10ELi1ELb0ELb0EEvPKvS2_PKi31ggml_cuda_mm_fusion_args_devicePfj15HIP_vector_typeIjLj3EEjjjS8_jjjS8_jjjj,comdat
	.globl	_ZL13mul_mat_vec_qIL9ggml_type10ELi1ELb0ELb0EEvPKvS2_PKi31ggml_cuda_mm_fusion_args_devicePfj15HIP_vector_typeIjLj3EEjjjS8_jjjS8_jjjj ; -- Begin function _ZL13mul_mat_vec_qIL9ggml_type10ELi1ELb0ELb0EEvPKvS2_PKi31ggml_cuda_mm_fusion_args_devicePfj15HIP_vector_typeIjLj3EEjjjS8_jjjS8_jjjj
	.p2align	8
	.type	_ZL13mul_mat_vec_qIL9ggml_type10ELi1ELb0ELb0EEvPKvS2_PKi31ggml_cuda_mm_fusion_args_devicePfj15HIP_vector_typeIjLj3EEjjjS8_jjjS8_jjjj,@function
_ZL13mul_mat_vec_qIL9ggml_type10ELi1ELb0ELb0EEvPKvS2_PKi31ggml_cuda_mm_fusion_args_devicePfj15HIP_vector_typeIjLj3EEjjjS8_jjjS8_jjjj: ; @_ZL13mul_mat_vec_qIL9ggml_type10ELi1ELb0ELb0EEvPKvS2_PKi31ggml_cuda_mm_fusion_args_devicePfj15HIP_vector_typeIjLj3EEjjjS8_jjjS8_jjjj
; %bb.0:
	s_clause 0x1
	s_load_dwordx2 s[0:1], s[4:5], 0x10
	s_load_dwordx4 s[16:19], s[4:5], 0x40
	s_mov_b32 s10, s7
	s_waitcnt lgkmcnt(0)
	s_cmp_lg_u64 s[0:1], 0
	s_cselect_b32 s7, -1, 0
	s_cmp_eq_u64 s[0:1], 0
	s_cbranch_scc1 .LBB100_5
; %bb.1:
	s_mov_b32 s11, 0
	s_lshl_b64 s[2:3], s[10:11], 2
	s_add_u32 s0, s0, s2
	s_addc_u32 s1, s1, s3
	s_load_dword s20, s[0:1], 0x0
	s_clause 0x1
	s_load_dwordx4 s[0:3], s[4:5], 0x68
	s_load_dword s21, s[4:5], 0x50
	s_cbranch_execnz .LBB100_3
.LBB100_2:
	s_load_dwordx2 s[12:13], s[4:5], 0x5c
	s_waitcnt lgkmcnt(0)
	s_mul_hi_u32 s9, s12, s10
	s_add_i32 s9, s10, s9
	s_lshr_b32 s20, s9, s13
.LBB100_3:
	s_load_dword s11, s[4:5], 0x78
	s_andn2_b32 vcc_lo, exec_lo, s7
	s_cbranch_vccnz .LBB100_6
; %bb.4:
	s_mul_hi_u32 s7, s17, s10
	s_add_i32 s7, s10, s7
	s_lshr_b32 s7, s7, s18
	s_mul_i32 s7, s7, s19
	s_sub_i32 s22, s10, s7
	s_branch .LBB100_7
.LBB100_5:
                                        ; implicit-def: $sgpr20
	s_clause 0x1
	s_load_dwordx4 s[0:3], s[4:5], 0x68
	s_load_dword s21, s[4:5], 0x50
	s_branch .LBB100_2
.LBB100_6:
	s_mov_b32 s22, s10
.LBB100_7:
	s_load_dwordx4 s[12:15], s[4:5], 0x80
	v_lshl_or_b32 v2, v1, 5, v0
	v_mov_b32_e32 v4, 0
	s_lshr_b32 s9, s16, 8
	s_mov_b32 s7, exec_lo
	v_lshrrev_b32_e32 v5, 4, v2
	v_cmpx_gt_u32_e64 s9, v5
	s_cbranch_execz .LBB100_11
; %bb.8:
	s_load_dwordx4 s[16:19], s[4:5], 0x0
	v_bfe_u32 v4, v0, 3, 1
	s_waitcnt lgkmcnt(0)
	s_mul_hi_u32 s3, s3, s8
	v_lshrrev_b32_e32 v9, 4, v2
	s_add_i32 s3, s8, s3
	s_mul_i32 s21, s21, s6
	v_mul_hi_u32_u24_e32 v3, 0x90, v4
	v_mul_u32_u24_e32 v2, 0x90, v4
	s_lshr_b32 s3, s3, s11
	s_mul_i32 s0, s20, s0
	s_mul_i32 s3, s3, s12
	;; [unrolled: 1-line block ×3, first 2 shown]
	s_add_i32 s3, s3, s21
	v_mad_u64_u32 v[2:3], null, 0x120, v9, v[2:3]
	s_mul_i32 s12, s22, s1
	s_add_i32 s1, s0, s3
	s_mul_i32 s3, s11, 36
	s_mul_hi_u32 s11, s11, 36
	s_mul_hi_u32 s0, s12, 36
	s_mul_i32 s12, s12, 36
	s_add_u32 s3, s18, s3
	v_and_b32_e32 v8, 15, v0
	v_and_b32_e32 v7, 7, v0
	v_bfe_u32 v6, v0, 2, 1
	s_addc_u32 s11, s19, s11
	s_add_u32 s3, s3, s12
	s_addc_u32 s0, s11, s0
	v_add_co_u32 v2, vcc_lo, s3, v2
	v_mov_b32_e32 v4, 0
	v_and_or_b32 v6, v0, 8, v6
	v_lshlrev_b32_e32 v7, 2, v7
	v_add_co_ci_u32_e64 v3, null, s0, v3, vcc_lo
	v_lshlrev_b32_e32 v8, 2, v8
	s_mov_b32 s3, 0
.LBB100_9:                              ; =>This Inner Loop Header: Depth=1
	v_add_nc_u32_e32 v11, s1, v5
	v_add_co_u32 v9, vcc_lo, v2, v7
	v_add_co_ci_u32_e64 v10, null, 0, v3, vcc_lo
	v_mad_i64_i32 v[11:12], null, 0x54, v11, s[16:17]
	s_clause 0x3
	global_load_dword v17, v[2:3], off
	global_load_dword v18, v[9:10], off offset:4
	global_load_dword v19, v[9:10], off offset:40
	;; [unrolled: 1-line block ×3, first 2 shown]
	v_mov_b32_e32 v24, 0
	v_mov_b32_e32 v25, 0
	;; [unrolled: 1-line block ×4, first 2 shown]
	v_add_co_u32 v13, vcc_lo, v11, v8
	v_add_co_ci_u32_e64 v14, null, 0, v12, vcc_lo
	v_add_co_u32 v15, vcc_lo, v11, v6
	v_add_co_ci_u32_e64 v16, null, 0, v12, vcc_lo
	s_clause 0x4
	global_load_dword v13, v[13:14], off offset:16
	global_load_ubyte v14, v[15:16], off
	global_load_ubyte v21, v[15:16], off offset:2
	global_load_ubyte v22, v[15:16], off offset:4
	;; [unrolled: 1-line block ×3, first 2 shown]
	s_clause 0x3
	global_load_dword v9, v[9:10], off offset:112
	global_load_dword v10, v[2:3], off offset:36
	;; [unrolled: 1-line block ×5, first 2 shown]
	v_mov_b32_e32 v12, 0
	v_mov_b32_e32 v29, 0
	;; [unrolled: 1-line block ×4, first 2 shown]
	v_add_nc_u32_e32 v5, 2, v5
	v_add_co_u32 v2, vcc_lo, 0x240, v2
	v_add_co_ci_u32_e64 v3, null, 0, v3, vcc_lo
	v_cmp_le_u32_e64 s0, s9, v5
	s_or_b32 s3, s0, s3
	s_waitcnt vmcnt(9)
	v_and_b32_e32 v31, 0x3030303, v13
	s_waitcnt vmcnt(8)
	v_and_b32_e32 v32, 15, v14
	v_lshrrev_b32_e32 v14, 4, v14
	v_lshrrev_b32_e32 v33, 2, v13
	s_waitcnt vmcnt(7)
	v_and_b32_e32 v34, 15, v21
	v_lshrrev_b32_e32 v21, 4, v21
	s_waitcnt vmcnt(5)
	v_and_b32_e32 v37, 15, v15
	v_mul_lo_u32 v14, 0x1010101, v14
	v_lshrrev_b32_e32 v15, 4, v15
	v_lshrrev_b32_e32 v35, 4, v13
	v_and_b32_e32 v36, 15, v22
	v_lshrrev_b32_e32 v22, 4, v22
	v_lshrrev_b32_e32 v13, 6, v13
	v_dot4c_i32_i8 v12, v31, v18
	v_and_b32_e32 v31, 0x3030303, v33
	v_mul_lo_u32 v21, 0x1010101, v21
	v_mul_lo_u32 v15, 0x1010101, v15
	v_dot4c_i32_i8 v24, v14, v18
	v_and_b32_e32 v33, 0x3030303, v35
	v_mul_lo_u32 v22, 0x1010101, v22
	v_and_b32_e32 v13, 0x3030303, v13
	v_mul_lo_u32 v12, v32, v12
	v_dot4c_i32_i8 v25, v31, v19
	v_dot4c_i32_i8 v26, v21, v19
	v_cvt_f32_i32_e32 v14, v24
	v_dot4c_i32_i8 v27, v33, v20
	s_waitcnt vmcnt(4)
	v_dot4c_i32_i8 v29, v13, v9
	v_dot4c_i32_i8 v30, v15, v9
	v_mul_lo_u32 v9, v34, v25
	v_dot4c_i32_i8 v28, v22, v20
	v_cvt_f32_i32_e32 v12, v12
	v_cvt_f32_i32_e32 v18, v26
	v_fma_mix_f32 v14, v17, v14, 0 op_sel_hi:[1,0,0]
	v_mul_lo_u32 v13, v36, v27
	v_cvt_f32_i32_e32 v19, v28
	v_fma_mix_f32 v12, v17, v12, 0 op_sel_hi:[1,0,0]
	v_cvt_f32_i32_e32 v9, v9
	s_waitcnt vmcnt(3)
	v_fma_mix_f32 v14, v10, v18, v14 op_sel_hi:[1,0,0]
	v_mul_lo_u32 v15, v37, v29
	v_cvt_f32_i32_e32 v17, v30
	v_cvt_f32_i32_e32 v13, v13
	v_fma_mix_f32 v9, v10, v9, v12 op_sel_hi:[1,0,0]
	s_waitcnt vmcnt(2)
	v_fma_mix_f32 v10, v16, v19, v14 op_sel_hi:[1,0,0]
	s_waitcnt vmcnt(0)
	v_cvt_f32_f16_sdwa v12, v11 dst_sel:DWORD dst_unused:UNUSED_PAD src0_sel:WORD_1
	v_cvt_f32_i32_e32 v14, v15
	v_fma_mix_f32 v9, v16, v13, v9 op_sel_hi:[1,0,0]
	v_fma_mix_f32 v10, v23, v17, v10 op_sel_hi:[1,0,0]
	;; [unrolled: 1-line block ×3, first 2 shown]
	v_mul_f32_e32 v10, v10, v12
	v_fma_mix_f32 v9, v9, v11, -v10 op_sel_hi:[0,1,0]
	v_add_f32_e32 v4, v4, v9
	s_andn2_b32 exec_lo, exec_lo, s3
	s_cbranch_execnz .LBB100_9
; %bb.10:
	s_or_b32 exec_lo, exec_lo, s3
.LBB100_11:
	s_or_b32 exec_lo, exec_lo, s7
	s_waitcnt lgkmcnt(0)
	; wave barrier
	buffer_gl0_inv
	s_mov_b32 s0, exec_lo
	v_cmpx_eq_u32_e32 0, v1
	s_cbranch_execz .LBB100_14
; %bb.12:
	v_mbcnt_lo_u32_b32 v1, -1, 0
	v_xor_b32_e32 v2, 16, v1
	v_xor_b32_e32 v3, 8, v1
	v_cmp_gt_i32_e32 vcc_lo, 32, v2
	v_cndmask_b32_e32 v2, v1, v2, vcc_lo
	v_cmp_gt_i32_e32 vcc_lo, 32, v3
	v_lshlrev_b32_e32 v2, 2, v2
	v_cndmask_b32_e32 v3, v1, v3, vcc_lo
	ds_bpermute_b32 v2, v2, v4
	v_lshlrev_b32_e32 v3, 2, v3
	s_waitcnt lgkmcnt(0)
	v_add_f32_e32 v2, v4, v2
	v_xor_b32_e32 v4, 4, v1
	ds_bpermute_b32 v3, v3, v2
	v_cmp_gt_i32_e32 vcc_lo, 32, v4
	v_cndmask_b32_e32 v4, v1, v4, vcc_lo
	v_lshlrev_b32_e32 v4, 2, v4
	s_waitcnt lgkmcnt(0)
	v_add_f32_e32 v2, v2, v3
	ds_bpermute_b32 v3, v4, v2
	v_xor_b32_e32 v4, 2, v1
	v_cmp_gt_i32_e32 vcc_lo, 32, v4
	v_cndmask_b32_e32 v4, v1, v4, vcc_lo
	v_lshlrev_b32_e32 v4, 2, v4
	s_waitcnt lgkmcnt(0)
	v_add_f32_e32 v2, v2, v3
	ds_bpermute_b32 v3, v4, v2
	v_xor_b32_e32 v4, 1, v1
	v_cmp_gt_i32_e32 vcc_lo, 32, v4
	v_cndmask_b32_e32 v1, v1, v4, vcc_lo
	v_cmp_eq_u32_e32 vcc_lo, 0, v0
	v_lshlrev_b32_e32 v4, 2, v1
	s_waitcnt lgkmcnt(0)
	v_add_f32_e32 v1, v2, v3
	ds_bpermute_b32 v2, v4, v1
	s_and_b32 exec_lo, exec_lo, vcc_lo
	s_cbranch_execz .LBB100_14
; %bb.13:
	s_load_dwordx2 s[0:1], s[4:5], 0x38
	s_mul_i32 s2, s2, s10
	s_mul_i32 s3, s14, s8
	s_add_i32 s2, s2, s6
	s_waitcnt lgkmcnt(0)
	v_add_f32_e32 v0, v1, v2
	s_add_i32 s2, s2, s3
	s_mov_b32 s3, 0
	v_mov_b32_e32 v1, 0
	s_lshl_b64 s[2:3], s[2:3], 2
	s_add_u32 s0, s0, s2
	s_addc_u32 s1, s1, s3
	global_store_dword v1, v0, s[0:1]
.LBB100_14:
	s_endpgm
	.section	.rodata,"a",@progbits
	.p2align	6, 0x0
	.amdhsa_kernel _ZL13mul_mat_vec_qIL9ggml_type10ELi1ELb0ELb0EEvPKvS2_PKi31ggml_cuda_mm_fusion_args_devicePfj15HIP_vector_typeIjLj3EEjjjS8_jjjS8_jjjj
		.amdhsa_group_segment_fixed_size 0
		.amdhsa_private_segment_fixed_size 0
		.amdhsa_kernarg_size 144
		.amdhsa_user_sgpr_count 6
		.amdhsa_user_sgpr_private_segment_buffer 1
		.amdhsa_user_sgpr_dispatch_ptr 0
		.amdhsa_user_sgpr_queue_ptr 0
		.amdhsa_user_sgpr_kernarg_segment_ptr 1
		.amdhsa_user_sgpr_dispatch_id 0
		.amdhsa_user_sgpr_flat_scratch_init 0
		.amdhsa_user_sgpr_private_segment_size 0
		.amdhsa_wavefront_size32 1
		.amdhsa_uses_dynamic_stack 0
		.amdhsa_system_sgpr_private_segment_wavefront_offset 0
		.amdhsa_system_sgpr_workgroup_id_x 1
		.amdhsa_system_sgpr_workgroup_id_y 1
		.amdhsa_system_sgpr_workgroup_id_z 1
		.amdhsa_system_sgpr_workgroup_info 0
		.amdhsa_system_vgpr_workitem_id 1
		.amdhsa_next_free_vgpr 38
		.amdhsa_next_free_sgpr 23
		.amdhsa_reserve_vcc 1
		.amdhsa_reserve_flat_scratch 0
		.amdhsa_float_round_mode_32 0
		.amdhsa_float_round_mode_16_64 0
		.amdhsa_float_denorm_mode_32 3
		.amdhsa_float_denorm_mode_16_64 3
		.amdhsa_dx10_clamp 1
		.amdhsa_ieee_mode 1
		.amdhsa_fp16_overflow 0
		.amdhsa_workgroup_processor_mode 1
		.amdhsa_memory_ordered 1
		.amdhsa_forward_progress 1
		.amdhsa_shared_vgpr_count 0
		.amdhsa_exception_fp_ieee_invalid_op 0
		.amdhsa_exception_fp_denorm_src 0
		.amdhsa_exception_fp_ieee_div_zero 0
		.amdhsa_exception_fp_ieee_overflow 0
		.amdhsa_exception_fp_ieee_underflow 0
		.amdhsa_exception_fp_ieee_inexact 0
		.amdhsa_exception_int_div_zero 0
	.end_amdhsa_kernel
	.section	.text._ZL13mul_mat_vec_qIL9ggml_type10ELi1ELb0ELb0EEvPKvS2_PKi31ggml_cuda_mm_fusion_args_devicePfj15HIP_vector_typeIjLj3EEjjjS8_jjjS8_jjjj,"axG",@progbits,_ZL13mul_mat_vec_qIL9ggml_type10ELi1ELb0ELb0EEvPKvS2_PKi31ggml_cuda_mm_fusion_args_devicePfj15HIP_vector_typeIjLj3EEjjjS8_jjjS8_jjjj,comdat
.Lfunc_end100:
	.size	_ZL13mul_mat_vec_qIL9ggml_type10ELi1ELb0ELb0EEvPKvS2_PKi31ggml_cuda_mm_fusion_args_devicePfj15HIP_vector_typeIjLj3EEjjjS8_jjjS8_jjjj, .Lfunc_end100-_ZL13mul_mat_vec_qIL9ggml_type10ELi1ELb0ELb0EEvPKvS2_PKi31ggml_cuda_mm_fusion_args_devicePfj15HIP_vector_typeIjLj3EEjjjS8_jjjS8_jjjj
                                        ; -- End function
	.set _ZL13mul_mat_vec_qIL9ggml_type10ELi1ELb0ELb0EEvPKvS2_PKi31ggml_cuda_mm_fusion_args_devicePfj15HIP_vector_typeIjLj3EEjjjS8_jjjS8_jjjj.num_vgpr, 38
	.set _ZL13mul_mat_vec_qIL9ggml_type10ELi1ELb0ELb0EEvPKvS2_PKi31ggml_cuda_mm_fusion_args_devicePfj15HIP_vector_typeIjLj3EEjjjS8_jjjS8_jjjj.num_agpr, 0
	.set _ZL13mul_mat_vec_qIL9ggml_type10ELi1ELb0ELb0EEvPKvS2_PKi31ggml_cuda_mm_fusion_args_devicePfj15HIP_vector_typeIjLj3EEjjjS8_jjjS8_jjjj.numbered_sgpr, 23
	.set _ZL13mul_mat_vec_qIL9ggml_type10ELi1ELb0ELb0EEvPKvS2_PKi31ggml_cuda_mm_fusion_args_devicePfj15HIP_vector_typeIjLj3EEjjjS8_jjjS8_jjjj.num_named_barrier, 0
	.set _ZL13mul_mat_vec_qIL9ggml_type10ELi1ELb0ELb0EEvPKvS2_PKi31ggml_cuda_mm_fusion_args_devicePfj15HIP_vector_typeIjLj3EEjjjS8_jjjS8_jjjj.private_seg_size, 0
	.set _ZL13mul_mat_vec_qIL9ggml_type10ELi1ELb0ELb0EEvPKvS2_PKi31ggml_cuda_mm_fusion_args_devicePfj15HIP_vector_typeIjLj3EEjjjS8_jjjS8_jjjj.uses_vcc, 1
	.set _ZL13mul_mat_vec_qIL9ggml_type10ELi1ELb0ELb0EEvPKvS2_PKi31ggml_cuda_mm_fusion_args_devicePfj15HIP_vector_typeIjLj3EEjjjS8_jjjS8_jjjj.uses_flat_scratch, 0
	.set _ZL13mul_mat_vec_qIL9ggml_type10ELi1ELb0ELb0EEvPKvS2_PKi31ggml_cuda_mm_fusion_args_devicePfj15HIP_vector_typeIjLj3EEjjjS8_jjjS8_jjjj.has_dyn_sized_stack, 0
	.set _ZL13mul_mat_vec_qIL9ggml_type10ELi1ELb0ELb0EEvPKvS2_PKi31ggml_cuda_mm_fusion_args_devicePfj15HIP_vector_typeIjLj3EEjjjS8_jjjS8_jjjj.has_recursion, 0
	.set _ZL13mul_mat_vec_qIL9ggml_type10ELi1ELb0ELb0EEvPKvS2_PKi31ggml_cuda_mm_fusion_args_devicePfj15HIP_vector_typeIjLj3EEjjjS8_jjjS8_jjjj.has_indirect_call, 0
	.section	.AMDGPU.csdata,"",@progbits
; Kernel info:
; codeLenInByte = 1280
; TotalNumSgprs: 25
; NumVgprs: 38
; ScratchSize: 0
; MemoryBound: 0
; FloatMode: 240
; IeeeMode: 1
; LDSByteSize: 0 bytes/workgroup (compile time only)
; SGPRBlocks: 0
; VGPRBlocks: 4
; NumSGPRsForWavesPerEU: 25
; NumVGPRsForWavesPerEU: 38
; Occupancy: 16
; WaveLimiterHint : 0
; COMPUTE_PGM_RSRC2:SCRATCH_EN: 0
; COMPUTE_PGM_RSRC2:USER_SGPR: 6
; COMPUTE_PGM_RSRC2:TRAP_HANDLER: 0
; COMPUTE_PGM_RSRC2:TGID_X_EN: 1
; COMPUTE_PGM_RSRC2:TGID_Y_EN: 1
; COMPUTE_PGM_RSRC2:TGID_Z_EN: 1
; COMPUTE_PGM_RSRC2:TIDIG_COMP_CNT: 1
	.section	.text._ZL13mul_mat_vec_qIL9ggml_type10ELi2ELb0ELb0EEvPKvS2_PKi31ggml_cuda_mm_fusion_args_devicePfj15HIP_vector_typeIjLj3EEjjjS8_jjjS8_jjjj,"axG",@progbits,_ZL13mul_mat_vec_qIL9ggml_type10ELi2ELb0ELb0EEvPKvS2_PKi31ggml_cuda_mm_fusion_args_devicePfj15HIP_vector_typeIjLj3EEjjjS8_jjjS8_jjjj,comdat
	.globl	_ZL13mul_mat_vec_qIL9ggml_type10ELi2ELb0ELb0EEvPKvS2_PKi31ggml_cuda_mm_fusion_args_devicePfj15HIP_vector_typeIjLj3EEjjjS8_jjjS8_jjjj ; -- Begin function _ZL13mul_mat_vec_qIL9ggml_type10ELi2ELb0ELb0EEvPKvS2_PKi31ggml_cuda_mm_fusion_args_devicePfj15HIP_vector_typeIjLj3EEjjjS8_jjjS8_jjjj
	.p2align	8
	.type	_ZL13mul_mat_vec_qIL9ggml_type10ELi2ELb0ELb0EEvPKvS2_PKi31ggml_cuda_mm_fusion_args_devicePfj15HIP_vector_typeIjLj3EEjjjS8_jjjS8_jjjj,@function
_ZL13mul_mat_vec_qIL9ggml_type10ELi2ELb0ELb0EEvPKvS2_PKi31ggml_cuda_mm_fusion_args_devicePfj15HIP_vector_typeIjLj3EEjjjS8_jjjS8_jjjj: ; @_ZL13mul_mat_vec_qIL9ggml_type10ELi2ELb0ELb0EEvPKvS2_PKi31ggml_cuda_mm_fusion_args_devicePfj15HIP_vector_typeIjLj3EEjjjS8_jjjS8_jjjj
; %bb.0:
	s_clause 0x5
	s_load_dword s9, s[4:5], 0x40
	s_load_dwordx4 s[0:3], s[4:5], 0x50
	s_load_dword s11, s[4:5], 0x60
	s_load_dwordx4 s[12:15], s[4:5], 0x68
	;; [unrolled: 2-line block ×3, first 2 shown]
	v_lshl_or_b32 v2, v1, 5, v0
	v_mov_b32_e32 v6, 0
	v_mov_b32_e32 v8, 0
	v_lshrrev_b32_e32 v7, 4, v2
	s_waitcnt lgkmcnt(0)
	s_lshr_b32 s10, s9, 8
	s_mov_b32 s9, exec_lo
	v_cmpx_gt_u32_e64 s10, v7
	s_cbranch_execz .LBB101_4
; %bb.1:
	s_load_dwordx4 s[20:23], s[4:5], 0x0
	v_bfe_u32 v2, v0, 3, 1
	v_lshrrev_b32_e32 v4, 1, v0
	s_mul_hi_u32 s3, s3, s7
	s_mul_hi_u32 s15, s15, s8
	s_mul_i32 s17, s17, s8
	v_mul_hi_u32_u24_e32 v3, 0x90, v2
	v_mul_u32_u24_e32 v2, 0x90, v2
	s_add_i32 s3, s7, s3
	s_add_i32 s15, s8, s15
	s_mul_i32 s13, s13, s7
	s_mul_hi_u32 s19, s17, 36
	s_mul_i32 s17, s17, 36
	s_lshr_b32 s3, s3, s11
	v_and_b32_e32 v9, 4, v4
	v_mad_u64_u32 v[4:5], null, 0x120, v7, v[2:3]
	s_lshr_b32 s11, s15, s24
	s_mul_hi_u32 s25, s13, 36
	s_mul_i32 s13, s13, 36
	s_mul_i32 s3, s3, s12
	s_waitcnt lgkmcnt(0)
	s_add_u32 s12, s22, s17
	s_addc_u32 s15, s23, s19
	s_add_u32 s12, s12, s13
	v_and_b32_e32 v8, 15, v0
	s_addc_u32 s13, s15, s25
	v_bfe_u32 v10, v0, 2, 1
	v_and_b32_e32 v13, 7, v0
	v_mad_u64_u32 v[2:3], null, v9, 36, s[12:13]
	v_add_co_u32 v4, vcc_lo, s12, v4
	s_mul_i32 s0, s0, s6
	v_mov_b32_e32 v6, 0
	v_and_or_b32 v9, v0, 8, v10
	v_lshlrev_b32_e32 v10, 2, v13
	v_add_co_ci_u32_e64 v5, null, s13, v5, vcc_lo
	v_lshl_add_u32 v11, v7, 3, s1
	v_lshlrev_b32_e32 v12, 2, v8
	v_lshlrev_b32_e32 v13, 2, v13
	v_mov_b32_e32 v8, 0
	s_mul_i32 s11, s11, s16
	s_add_i32 s3, s3, s0
	s_mov_b32 s0, 0
	s_add_i32 s1, s11, s3
.LBB101_2:                              ; =>This Inner Loop Header: Depth=1
	v_add_nc_u32_e32 v18, s1, v7
	v_mad_u64_u32 v[16:17], null, v11, 36, v[2:3]
	v_add_co_u32 v14, vcc_lo, v4, v10
	v_add_co_ci_u32_e64 v15, null, 0, v5, vcc_lo
	v_mad_i64_i32 v[18:19], null, 0x54, v18, s[20:21]
	s_clause 0x7
	global_load_dword v24, v[4:5], off
	global_load_dword v25, v[4:5], off offset:36
	global_load_dword v26, v[4:5], off offset:72
	;; [unrolled: 1-line block ×7, first 2 shown]
	v_add_co_u32 v14, vcc_lo, v16, v13
	v_add_co_ci_u32_e64 v15, null, 0, v17, vcc_lo
	v_add_co_u32 v20, vcc_lo, v18, v12
	v_add_co_ci_u32_e64 v21, null, 0, v19, vcc_lo
	v_add_co_u32 v22, vcc_lo, v18, v9
	s_clause 0x2
	global_load_dword v32, v[16:17], off
	global_load_dword v33, v[16:17], off offset:36
	global_load_dword v34, v[16:17], off offset:72
	v_add_co_ci_u32_e64 v23, null, 0, v19, vcc_lo
	s_clause 0x4
	global_load_dword v35, v[14:15], off offset:4
	global_load_dword v36, v[14:15], off offset:40
	;; [unrolled: 1-line block ×5, first 2 shown]
	s_clause 0x5
	global_load_dword v16, v[20:21], off offset:16
	global_load_ubyte v17, v[22:23], off
	global_load_ubyte v20, v[22:23], off offset:2
	global_load_ubyte v21, v[22:23], off offset:4
	;; [unrolled: 1-line block ×3, first 2 shown]
	global_load_dword v18, v[18:19], off offset:80
	v_mov_b32_e32 v19, 0
	v_mov_b32_e32 v44, 0
	;; [unrolled: 1-line block ×16, first 2 shown]
	v_add_nc_u32_e32 v7, 2, v7
	v_add_co_u32 v4, vcc_lo, 0x240, v4
	v_add_co_ci_u32_e64 v5, null, 0, v5, vcc_lo
	v_cmp_le_u32_e32 vcc_lo, s10, v7
	v_add_nc_u32_e32 v11, 16, v11
	s_or_b32 s0, vcc_lo, s0
	s_waitcnt vmcnt(5)
	v_and_b32_e32 v52, 0x3030303, v16
	s_waitcnt vmcnt(4)
	v_and_b32_e32 v53, 15, v17
	v_lshrrev_b32_e32 v17, 4, v17
	v_lshrrev_b32_e32 v54, 2, v16
	s_waitcnt vmcnt(3)
	v_and_b32_e32 v55, 15, v20
	v_lshrrev_b32_e32 v20, 4, v20
	s_waitcnt vmcnt(1)
	v_and_b32_e32 v58, 15, v22
	v_lshrrev_b32_e32 v22, 4, v22
	v_mul_lo_u32 v17, 0x1010101, v17
	v_dot4c_i32_i8 v19, v52, v28
	v_dot4c_i32_i8 v44, v52, v35
	v_lshrrev_b32_e32 v56, 4, v16
	v_lshrrev_b32_e32 v16, 6, v16
	v_and_b32_e32 v57, 15, v21
	v_lshrrev_b32_e32 v21, 4, v21
	v_and_b32_e32 v54, 0x3030303, v54
	v_mul_lo_u32 v20, 0x1010101, v20
	v_mul_lo_u32 v22, 0x1010101, v22
	;; [unrolled: 1-line block ×4, first 2 shown]
	v_and_b32_e32 v16, 0x3030303, v16
	v_dot4c_i32_i8 v23, v17, v28
	v_dot4c_i32_i8 v45, v17, v35
	v_and_b32_e32 v56, 0x3030303, v56
	v_mul_lo_u32 v21, 0x1010101, v21
	v_dot4c_i32_i8 v38, v54, v29
	v_dot4c_i32_i8 v46, v54, v36
	;; [unrolled: 1-line block ×6, first 2 shown]
	v_cvt_f32_i32_e32 v19, v19
	v_cvt_f32_i32_e32 v23, v23
	;; [unrolled: 1-line block ×4, first 2 shown]
	v_dot4c_i32_i8 v40, v56, v30
	v_dot4c_i32_i8 v48, v56, v37
	;; [unrolled: 1-line block ×4, first 2 shown]
	v_mul_lo_u32 v14, v55, v38
	v_mul_lo_u32 v20, v55, v46
	v_dot4c_i32_i8 v41, v21, v30
	v_dot4c_i32_i8 v49, v21, v37
	v_cvt_f32_i32_e32 v28, v39
	v_cvt_f32_i32_e32 v36, v47
	v_fma_mix_f32 v19, v24, v19, 0 op_sel_hi:[1,0,0]
	v_fma_mix_f32 v23, v24, v23, 0 op_sel_hi:[1,0,0]
	;; [unrolled: 1-line block ×4, first 2 shown]
	v_mul_lo_u32 v16, v57, v40
	v_mul_lo_u32 v21, v57, v48
	v_cvt_f32_i32_e32 v29, v41
	v_cvt_f32_i32_e32 v37, v49
	;; [unrolled: 1-line block ×4, first 2 shown]
	v_fma_mix_f32 v23, v25, v28, v23 op_sel_hi:[1,0,0]
	v_fma_mix_f32 v28, v33, v36, v31 op_sel_hi:[1,0,0]
	v_mul_lo_u32 v17, v58, v42
	v_mul_lo_u32 v22, v58, v50
	v_cvt_f32_i32_e32 v30, v43
	v_cvt_f32_i32_e32 v38, v51
	;; [unrolled: 1-line block ×4, first 2 shown]
	v_fma_mix_f32 v14, v25, v14, v19 op_sel_hi:[1,0,0]
	v_fma_mix_f32 v19, v33, v20, v24 op_sel_hi:[1,0,0]
	;; [unrolled: 1-line block ×4, first 2 shown]
	s_waitcnt vmcnt(0)
	v_cvt_f32_f16_sdwa v59, v18 dst_sel:DWORD dst_unused:UNUSED_PAD src0_sel:WORD_1
	v_cvt_f32_i32_e32 v17, v17
	v_cvt_f32_i32_e32 v22, v22
	v_fma_mix_f32 v14, v26, v16, v14 op_sel_hi:[1,0,0]
	v_fma_mix_f32 v16, v34, v21, v19 op_sel_hi:[1,0,0]
	v_fma_mix_f32 v19, v27, v30, v20 op_sel_hi:[1,0,0]
	v_fma_mix_f32 v20, v15, v38, v23 op_sel_hi:[1,0,0]
	v_fma_mix_f32 v14, v27, v17, v14 op_sel_hi:[1,0,0]
	v_fma_mix_f32 v15, v15, v22, v16 op_sel_hi:[1,0,0]
	v_mul_f32_e32 v16, v19, v59
	v_mul_f32_e32 v17, v20, v59
	v_fma_mix_f32 v14, v14, v18, -v16 op_sel_hi:[0,1,0]
	v_fma_mix_f32 v15, v15, v18, -v17 op_sel_hi:[0,1,0]
	v_add_f32_e32 v8, v8, v14
	v_add_f32_e32 v6, v6, v15
	s_andn2_b32 exec_lo, exec_lo, s0
	s_cbranch_execnz .LBB101_2
; %bb.3:
	s_or_b32 exec_lo, exec_lo, s0
.LBB101_4:
	s_or_b32 exec_lo, exec_lo, s9
	s_mov_b32 s1, 0
	; wave barrier
	buffer_gl0_inv
	s_mov_b32 s0, exec_lo
	v_cmpx_eq_u32_e32 0, v1
	s_cbranch_execz .LBB101_9
; %bb.5:
	v_mbcnt_lo_u32_b32 v5, -1, 0
	s_load_dwordx2 s[4:5], s[4:5], 0x38
	s_mul_i32 s0, s14, s7
	s_mul_i32 s3, s18, s8
	s_add_i32 s0, s0, s6
	v_xor_b32_e32 v1, 16, v5
	v_xor_b32_e32 v2, 8, v5
	;; [unrolled: 1-line block ×3, first 2 shown]
	s_add_i32 s0, s0, s3
	s_lshl_b64 s[0:1], s[0:1], 2
	v_cmp_gt_i32_e32 vcc_lo, 32, v1
	v_cndmask_b32_e32 v1, v5, v1, vcc_lo
	v_cmp_gt_i32_e32 vcc_lo, 32, v2
	v_lshlrev_b32_e32 v1, 2, v1
	v_cndmask_b32_e32 v2, v5, v2, vcc_lo
	s_waitcnt lgkmcnt(0)
	s_add_u32 s0, s4, s0
	s_addc_u32 s1, s5, s1
	ds_bpermute_b32 v3, v1, v8
	v_lshlrev_b32_e32 v2, 2, v2
	s_waitcnt lgkmcnt(0)
	v_add_f32_e32 v4, v8, v3
	v_xor_b32_e32 v3, 4, v5
	ds_bpermute_b32 v7, v2, v4
	v_cmp_gt_i32_e32 vcc_lo, 32, v3
	v_cndmask_b32_e32 v3, v5, v3, vcc_lo
	v_lshlrev_b32_e32 v3, 2, v3
	s_waitcnt lgkmcnt(0)
	v_add_f32_e32 v7, v4, v7
	v_xor_b32_e32 v4, 2, v5
	ds_bpermute_b32 v8, v3, v7
	v_cmp_gt_i32_e32 vcc_lo, 32, v4
	v_cndmask_b32_e32 v4, v5, v4, vcc_lo
	v_cmp_gt_i32_e32 vcc_lo, 32, v9
	v_lshlrev_b32_e32 v4, 2, v4
	v_cndmask_b32_e32 v5, v5, v9, vcc_lo
	v_cmp_eq_u32_e32 vcc_lo, 0, v0
	v_lshlrev_b32_e32 v5, 2, v5
	s_waitcnt lgkmcnt(0)
	v_add_f32_e32 v7, v7, v8
	ds_bpermute_b32 v8, v4, v7
	s_waitcnt lgkmcnt(0)
	v_add_f32_e32 v7, v7, v8
	ds_bpermute_b32 v8, v5, v7
	s_and_saveexec_b32 s3, vcc_lo
	s_cbranch_execz .LBB101_7
; %bb.6:
	s_waitcnt lgkmcnt(0)
	v_add_f32_e32 v0, v7, v8
	v_mov_b32_e32 v7, 0
	global_store_dword v7, v0, s[0:1]
.LBB101_7:
	s_or_b32 exec_lo, exec_lo, s3
	ds_bpermute_b32 v0, v1, v6
	s_waitcnt lgkmcnt(0)
	v_add_f32_e32 v0, v6, v0
	ds_bpermute_b32 v1, v2, v0
	s_waitcnt lgkmcnt(0)
	v_add_f32_e32 v0, v0, v1
	;; [unrolled: 3-line block ×4, first 2 shown]
	ds_bpermute_b32 v1, v5, v0
	s_and_b32 exec_lo, exec_lo, vcc_lo
	s_cbranch_execz .LBB101_9
; %bb.8:
	s_mov_b32 s3, 0
	s_waitcnt lgkmcnt(0)
	v_add_f32_e32 v0, v0, v1
	s_lshl_b64 s[2:3], s[2:3], 2
	v_mov_b32_e32 v1, 0
	s_add_u32 s0, s0, s2
	s_addc_u32 s1, s1, s3
	global_store_dword v1, v0, s[0:1]
.LBB101_9:
	s_endpgm
	.section	.rodata,"a",@progbits
	.p2align	6, 0x0
	.amdhsa_kernel _ZL13mul_mat_vec_qIL9ggml_type10ELi2ELb0ELb0EEvPKvS2_PKi31ggml_cuda_mm_fusion_args_devicePfj15HIP_vector_typeIjLj3EEjjjS8_jjjS8_jjjj
		.amdhsa_group_segment_fixed_size 0
		.amdhsa_private_segment_fixed_size 0
		.amdhsa_kernarg_size 144
		.amdhsa_user_sgpr_count 6
		.amdhsa_user_sgpr_private_segment_buffer 1
		.amdhsa_user_sgpr_dispatch_ptr 0
		.amdhsa_user_sgpr_queue_ptr 0
		.amdhsa_user_sgpr_kernarg_segment_ptr 1
		.amdhsa_user_sgpr_dispatch_id 0
		.amdhsa_user_sgpr_flat_scratch_init 0
		.amdhsa_user_sgpr_private_segment_size 0
		.amdhsa_wavefront_size32 1
		.amdhsa_uses_dynamic_stack 0
		.amdhsa_system_sgpr_private_segment_wavefront_offset 0
		.amdhsa_system_sgpr_workgroup_id_x 1
		.amdhsa_system_sgpr_workgroup_id_y 1
		.amdhsa_system_sgpr_workgroup_id_z 1
		.amdhsa_system_sgpr_workgroup_info 0
		.amdhsa_system_vgpr_workitem_id 1
		.amdhsa_next_free_vgpr 60
		.amdhsa_next_free_sgpr 26
		.amdhsa_reserve_vcc 1
		.amdhsa_reserve_flat_scratch 0
		.amdhsa_float_round_mode_32 0
		.amdhsa_float_round_mode_16_64 0
		.amdhsa_float_denorm_mode_32 3
		.amdhsa_float_denorm_mode_16_64 3
		.amdhsa_dx10_clamp 1
		.amdhsa_ieee_mode 1
		.amdhsa_fp16_overflow 0
		.amdhsa_workgroup_processor_mode 1
		.amdhsa_memory_ordered 1
		.amdhsa_forward_progress 1
		.amdhsa_shared_vgpr_count 0
		.amdhsa_exception_fp_ieee_invalid_op 0
		.amdhsa_exception_fp_denorm_src 0
		.amdhsa_exception_fp_ieee_div_zero 0
		.amdhsa_exception_fp_ieee_overflow 0
		.amdhsa_exception_fp_ieee_underflow 0
		.amdhsa_exception_fp_ieee_inexact 0
		.amdhsa_exception_int_div_zero 0
	.end_amdhsa_kernel
	.section	.text._ZL13mul_mat_vec_qIL9ggml_type10ELi2ELb0ELb0EEvPKvS2_PKi31ggml_cuda_mm_fusion_args_devicePfj15HIP_vector_typeIjLj3EEjjjS8_jjjS8_jjjj,"axG",@progbits,_ZL13mul_mat_vec_qIL9ggml_type10ELi2ELb0ELb0EEvPKvS2_PKi31ggml_cuda_mm_fusion_args_devicePfj15HIP_vector_typeIjLj3EEjjjS8_jjjS8_jjjj,comdat
.Lfunc_end101:
	.size	_ZL13mul_mat_vec_qIL9ggml_type10ELi2ELb0ELb0EEvPKvS2_PKi31ggml_cuda_mm_fusion_args_devicePfj15HIP_vector_typeIjLj3EEjjjS8_jjjS8_jjjj, .Lfunc_end101-_ZL13mul_mat_vec_qIL9ggml_type10ELi2ELb0ELb0EEvPKvS2_PKi31ggml_cuda_mm_fusion_args_devicePfj15HIP_vector_typeIjLj3EEjjjS8_jjjS8_jjjj
                                        ; -- End function
	.set _ZL13mul_mat_vec_qIL9ggml_type10ELi2ELb0ELb0EEvPKvS2_PKi31ggml_cuda_mm_fusion_args_devicePfj15HIP_vector_typeIjLj3EEjjjS8_jjjS8_jjjj.num_vgpr, 60
	.set _ZL13mul_mat_vec_qIL9ggml_type10ELi2ELb0ELb0EEvPKvS2_PKi31ggml_cuda_mm_fusion_args_devicePfj15HIP_vector_typeIjLj3EEjjjS8_jjjS8_jjjj.num_agpr, 0
	.set _ZL13mul_mat_vec_qIL9ggml_type10ELi2ELb0ELb0EEvPKvS2_PKi31ggml_cuda_mm_fusion_args_devicePfj15HIP_vector_typeIjLj3EEjjjS8_jjjS8_jjjj.numbered_sgpr, 26
	.set _ZL13mul_mat_vec_qIL9ggml_type10ELi2ELb0ELb0EEvPKvS2_PKi31ggml_cuda_mm_fusion_args_devicePfj15HIP_vector_typeIjLj3EEjjjS8_jjjS8_jjjj.num_named_barrier, 0
	.set _ZL13mul_mat_vec_qIL9ggml_type10ELi2ELb0ELb0EEvPKvS2_PKi31ggml_cuda_mm_fusion_args_devicePfj15HIP_vector_typeIjLj3EEjjjS8_jjjS8_jjjj.private_seg_size, 0
	.set _ZL13mul_mat_vec_qIL9ggml_type10ELi2ELb0ELb0EEvPKvS2_PKi31ggml_cuda_mm_fusion_args_devicePfj15HIP_vector_typeIjLj3EEjjjS8_jjjS8_jjjj.uses_vcc, 1
	.set _ZL13mul_mat_vec_qIL9ggml_type10ELi2ELb0ELb0EEvPKvS2_PKi31ggml_cuda_mm_fusion_args_devicePfj15HIP_vector_typeIjLj3EEjjjS8_jjjS8_jjjj.uses_flat_scratch, 0
	.set _ZL13mul_mat_vec_qIL9ggml_type10ELi2ELb0ELb0EEvPKvS2_PKi31ggml_cuda_mm_fusion_args_devicePfj15HIP_vector_typeIjLj3EEjjjS8_jjjS8_jjjj.has_dyn_sized_stack, 0
	.set _ZL13mul_mat_vec_qIL9ggml_type10ELi2ELb0ELb0EEvPKvS2_PKi31ggml_cuda_mm_fusion_args_devicePfj15HIP_vector_typeIjLj3EEjjjS8_jjjS8_jjjj.has_recursion, 0
	.set _ZL13mul_mat_vec_qIL9ggml_type10ELi2ELb0ELb0EEvPKvS2_PKi31ggml_cuda_mm_fusion_args_devicePfj15HIP_vector_typeIjLj3EEjjjS8_jjjS8_jjjj.has_indirect_call, 0
	.section	.AMDGPU.csdata,"",@progbits
; Kernel info:
; codeLenInByte = 1596
; TotalNumSgprs: 28
; NumVgprs: 60
; ScratchSize: 0
; MemoryBound: 0
; FloatMode: 240
; IeeeMode: 1
; LDSByteSize: 0 bytes/workgroup (compile time only)
; SGPRBlocks: 0
; VGPRBlocks: 7
; NumSGPRsForWavesPerEU: 28
; NumVGPRsForWavesPerEU: 60
; Occupancy: 16
; WaveLimiterHint : 0
; COMPUTE_PGM_RSRC2:SCRATCH_EN: 0
; COMPUTE_PGM_RSRC2:USER_SGPR: 6
; COMPUTE_PGM_RSRC2:TRAP_HANDLER: 0
; COMPUTE_PGM_RSRC2:TGID_X_EN: 1
; COMPUTE_PGM_RSRC2:TGID_Y_EN: 1
; COMPUTE_PGM_RSRC2:TGID_Z_EN: 1
; COMPUTE_PGM_RSRC2:TIDIG_COMP_CNT: 1
	.section	.text._ZL13mul_mat_vec_qIL9ggml_type10ELi3ELb0ELb0EEvPKvS2_PKi31ggml_cuda_mm_fusion_args_devicePfj15HIP_vector_typeIjLj3EEjjjS8_jjjS8_jjjj,"axG",@progbits,_ZL13mul_mat_vec_qIL9ggml_type10ELi3ELb0ELb0EEvPKvS2_PKi31ggml_cuda_mm_fusion_args_devicePfj15HIP_vector_typeIjLj3EEjjjS8_jjjS8_jjjj,comdat
	.globl	_ZL13mul_mat_vec_qIL9ggml_type10ELi3ELb0ELb0EEvPKvS2_PKi31ggml_cuda_mm_fusion_args_devicePfj15HIP_vector_typeIjLj3EEjjjS8_jjjS8_jjjj ; -- Begin function _ZL13mul_mat_vec_qIL9ggml_type10ELi3ELb0ELb0EEvPKvS2_PKi31ggml_cuda_mm_fusion_args_devicePfj15HIP_vector_typeIjLj3EEjjjS8_jjjS8_jjjj
	.p2align	8
	.type	_ZL13mul_mat_vec_qIL9ggml_type10ELi3ELb0ELb0EEvPKvS2_PKi31ggml_cuda_mm_fusion_args_devicePfj15HIP_vector_typeIjLj3EEjjjS8_jjjS8_jjjj,@function
_ZL13mul_mat_vec_qIL9ggml_type10ELi3ELb0ELb0EEvPKvS2_PKi31ggml_cuda_mm_fusion_args_devicePfj15HIP_vector_typeIjLj3EEjjjS8_jjjS8_jjjj: ; @_ZL13mul_mat_vec_qIL9ggml_type10ELi3ELb0ELb0EEvPKvS2_PKi31ggml_cuda_mm_fusion_args_devicePfj15HIP_vector_typeIjLj3EEjjjS8_jjjS8_jjjj
; %bb.0:
	s_clause 0x5
	s_load_dword s9, s[4:5], 0x40
	s_load_dwordx4 s[0:3], s[4:5], 0x50
	s_load_dword s11, s[4:5], 0x60
	s_load_dwordx4 s[12:15], s[4:5], 0x68
	;; [unrolled: 2-line block ×3, first 2 shown]
	v_lshl_or_b32 v2, v1, 5, v0
	v_mov_b32_e32 v6, 0
	v_mov_b32_e32 v7, 0
	;; [unrolled: 1-line block ×3, first 2 shown]
	v_lshrrev_b32_e32 v8, 4, v2
	s_waitcnt lgkmcnt(0)
	s_lshr_b32 s10, s9, 8
	s_mov_b32 s9, exec_lo
	v_cmpx_gt_u32_e64 s10, v8
	s_cbranch_execz .LBB102_4
; %bb.1:
	s_load_dwordx4 s[20:23], s[4:5], 0x0
	v_bfe_u32 v2, v0, 3, 1
	s_mul_hi_u32 s3, s3, s7
	s_mul_hi_u32 s15, s15, s8
	v_lshrrev_b32_e32 v4, 1, v0
	s_mul_i32 s17, s17, s8
	v_mul_hi_u32_u24_e32 v3, 0x90, v2
	v_mul_u32_u24_e32 v2, 0x90, v2
	s_add_i32 s3, s7, s3
	s_add_i32 s15, s8, s15
	s_mul_i32 s13, s13, s7
	s_mul_hi_u32 s19, s17, 36
	s_mul_i32 s17, s17, 36
	s_lshr_b32 s3, s3, s11
	s_lshr_b32 s11, s15, s24
	s_mul_hi_u32 s25, s13, 36
	s_mul_i32 s13, s13, 36
	s_mul_i32 s3, s3, s12
	v_and_b32_e32 v9, 4, v4
	v_mad_u64_u32 v[4:5], null, 0x120, v8, v[2:3]
	s_waitcnt lgkmcnt(0)
	s_add_u32 s12, s22, s17
	s_addc_u32 s15, s23, s19
	s_add_u32 s12, s12, s13
	s_addc_u32 s13, s15, s25
	v_and_b32_e32 v7, 15, v0
	v_and_b32_e32 v15, 7, v0
	v_bfe_u32 v10, v0, 2, 1
	v_mad_u64_u32 v[2:3], null, v9, 36, s[12:13]
	v_lshlrev_b32_e32 v9, 3, v8
	v_add_co_u32 v4, vcc_lo, s12, v4
	s_mul_i32 s0, s0, s6
	v_mov_b32_e32 v6, 0
	v_and_or_b32 v10, v0, 8, v10
	v_lshlrev_b32_e32 v11, 2, v15
	v_add_co_ci_u32_e64 v5, null, s13, v5, vcc_lo
	v_add_nc_u32_e32 v12, s1, v9
	v_lshl_add_u32 v13, s1, 1, v9
	v_lshlrev_b32_e32 v14, 2, v7
	v_lshlrev_b32_e32 v15, 2, v15
	v_mov_b32_e32 v7, 0
	v_mov_b32_e32 v9, 0
	s_mul_i32 s11, s11, s16
	s_add_i32 s3, s3, s0
	s_mov_b32 s0, 0
	s_add_i32 s1, s11, s3
.LBB102_2:                              ; =>This Inner Loop Header: Depth=1
	v_add_nc_u32_e32 v22, s1, v8
	v_mad_u64_u32 v[18:19], null, v12, 36, v[2:3]
	v_add_co_u32 v16, vcc_lo, v4, v11
	v_mad_u64_u32 v[20:21], null, v13, 36, v[2:3]
	v_add_co_ci_u32_e64 v17, null, 0, v5, vcc_lo
	v_mad_i64_i32 v[22:23], null, 0x54, v22, s[20:21]
	s_clause 0x7
	global_load_dword v30, v[4:5], off
	global_load_dword v31, v[4:5], off offset:36
	global_load_dword v32, v[4:5], off offset:72
	;; [unrolled: 1-line block ×7, first 2 shown]
	v_add_co_u32 v16, vcc_lo, v18, v15
	v_add_co_ci_u32_e64 v17, null, 0, v19, vcc_lo
	v_add_co_u32 v24, vcc_lo, v20, v15
	v_add_co_ci_u32_e64 v25, null, 0, v21, vcc_lo
	;; [unrolled: 2-line block ×3, first 2 shown]
	v_add_co_u32 v28, vcc_lo, v22, v10
	s_clause 0x5
	global_load_dword v38, v[18:19], off
	global_load_dword v39, v[18:19], off offset:36
	global_load_dword v40, v[18:19], off offset:72
	global_load_dword v41, v[20:21], off
	global_load_dword v42, v[20:21], off offset:36
	global_load_dword v43, v[20:21], off offset:72
	v_add_co_ci_u32_e64 v29, null, 0, v23, vcc_lo
	s_clause 0x9
	global_load_dword v44, v[16:17], off offset:4
	global_load_dword v45, v[16:17], off offset:40
	;; [unrolled: 1-line block ×10, first 2 shown]
	s_clause 0x5
	global_load_dword v21, v[26:27], off offset:16
	global_load_ubyte v25, v[28:29], off
	global_load_ubyte v26, v[28:29], off offset:2
	global_load_ubyte v27, v[28:29], off offset:4
	;; [unrolled: 1-line block ×3, first 2 shown]
	global_load_dword v22, v[22:23], off offset:80
	v_mov_b32_e32 v23, 0
	v_mov_b32_e32 v54, 0
	;; [unrolled: 1-line block ×15, first 2 shown]
	v_add_nc_u32_e32 v8, 2, v8
	v_add_co_u32 v4, vcc_lo, 0x240, v4
	v_add_co_ci_u32_e64 v5, null, 0, v5, vcc_lo
	v_cmp_le_u32_e32 vcc_lo, s10, v8
	v_add_nc_u32_e32 v12, 16, v12
	v_add_nc_u32_e32 v13, 16, v13
	s_or_b32 s0, vcc_lo, s0
	s_waitcnt vmcnt(5)
	v_and_b32_e32 v61, 0x3030303, v21
	v_dot4c_i32_i8 v23, v61, v34
	v_dot4c_i32_i8 v54, v61, v44
	;; [unrolled: 1-line block ×3, first 2 shown]
	s_waitcnt vmcnt(4)
	v_lshrrev_b32_e32 v61, 4, v25
	v_and_b32_e32 v25, 15, v25
	v_mul_lo_u32 v61, 0x1010101, v61
	v_mul_lo_u32 v23, v25, v23
	;; [unrolled: 1-line block ×4, first 2 shown]
	v_lshrrev_b32_e32 v59, 4, v21
	v_dot4c_i32_i8 v29, v61, v34
	v_dot4c_i32_i8 v55, v61, v44
	v_dot4c_i32_i8 v60, v61, v18
	v_lshrrev_b32_e32 v61, 2, v21
	v_mov_b32_e32 v44, 0
	v_mov_b32_e32 v18, 0
	v_and_b32_e32 v59, 0x3030303, v59
	v_lshrrev_b32_e32 v21, 6, v21
	v_and_b32_e32 v61, 0x3030303, v61
	v_mov_b32_e32 v34, 0
	v_cvt_f32_i32_e32 v23, v23
	v_dot4c_i32_i8 v50, v59, v36
	v_dot4c_i32_i8 v58, v59, v46
	;; [unrolled: 1-line block ×5, first 2 shown]
	s_waitcnt vmcnt(3)
	v_lshrrev_b32_e32 v61, 4, v26
	v_and_b32_e32 v21, 0x3030303, v21
	v_and_b32_e32 v26, 15, v26
	v_cvt_f32_i32_e32 v25, v25
	v_fma_mix_f32 v23, v30, v23, 0 op_sel_hi:[1,0,0]
	v_mul_lo_u32 v61, 0x1010101, v61
	v_dot4c_i32_i8 v52, v21, v37
	v_fma_mix_f32 v25, v41, v25, 0 op_sel_hi:[1,0,0]
	v_dot4c_i32_i8 v18, v61, v19
	v_mov_b32_e32 v19, 0
	v_dot4c_i32_i8 v49, v61, v35
	v_mov_b32_e32 v35, 0
	;; [unrolled: 2-line block ×5, first 2 shown]
	v_cvt_f32_i32_e32 v18, v18
	v_dot4c_i32_i8 v59, v21, v24
	s_waitcnt vmcnt(2)
	v_lshrrev_b32_e32 v21, 4, v27
	v_and_b32_e32 v27, 15, v27
	v_mul_lo_u32 v21, 0x1010101, v21
	v_mul_lo_u32 v19, v27, v19
	v_dot4c_i32_i8 v51, v21, v36
	s_waitcnt vmcnt(1)
	v_lshrrev_b32_e32 v36, 4, v28
	v_and_b32_e32 v28, 15, v28
	v_dot4c_i32_i8 v34, v21, v46
	v_dot4c_i32_i8 v61, v21, v47
	v_mul_lo_u32 v21, v27, v50
	v_mul_lo_u32 v36, 0x1010101, v36
	;; [unrolled: 1-line block ×5, first 2 shown]
	v_cvt_f32_i32_e32 v50, v55
	v_cvt_f32_i32_e32 v34, v34
	;; [unrolled: 1-line block ×4, first 2 shown]
	v_dot4c_i32_i8 v53, v36, v37
	v_mov_b32_e32 v37, 0
	v_dot4c_i32_i8 v45, v36, v16
	v_mul_lo_u32 v16, v26, v48
	v_cvt_f32_i32_e32 v47, v47
	v_cvt_f32_i32_e32 v48, v53
	v_dot4c_i32_i8 v37, v36, v24
	v_mul_lo_u32 v24, v28, v52
	v_cvt_f32_i32_e32 v28, v29
	v_cvt_f32_i32_e32 v29, v49
	;; [unrolled: 1-line block ×4, first 2 shown]
	v_mul_lo_u32 v36, v26, v56
	v_mul_lo_u32 v26, v26, v44
	v_cvt_f32_i32_e32 v44, v51
	v_cvt_f32_i32_e32 v51, v57
	v_fma_mix_f32 v28, v30, v28, 0 op_sel_hi:[1,0,0]
	v_cvt_f32_i32_e32 v16, v16
	v_fma_mix_f32 v30, v38, v49, 0 op_sel_hi:[1,0,0]
	v_fma_mix_f32 v38, v38, v50, 0 op_sel_hi:[1,0,0]
	;; [unrolled: 1-line block ×3, first 2 shown]
	v_cvt_f32_i32_e32 v53, v61
	v_cvt_f32_i32_e32 v36, v36
	;; [unrolled: 1-line block ×3, first 2 shown]
	v_fma_mix_f32 v16, v31, v16, v23 op_sel_hi:[1,0,0]
	v_fma_mix_f32 v23, v31, v29, v28 op_sel_hi:[1,0,0]
	;; [unrolled: 1-line block ×4, first 2 shown]
	v_cvt_f32_i32_e32 v45, v45
	v_cvt_f32_i32_e32 v37, v37
	;; [unrolled: 1-line block ×3, first 2 shown]
	v_fma_mix_f32 v28, v39, v36, v30 op_sel_hi:[1,0,0]
	v_fma_mix_f32 v25, v42, v26, v25 op_sel_hi:[1,0,0]
	;; [unrolled: 1-line block ×6, first 2 shown]
	s_waitcnt vmcnt(0)
	v_cvt_f32_f16_sdwa v46, v22 dst_sel:DWORD dst_unused:UNUSED_PAD src0_sel:WORD_1
	v_cvt_f32_i32_e32 v35, v35
	v_cvt_f32_i32_e32 v27, v27
	v_fma_mix_f32 v23, v40, v47, v28 op_sel_hi:[1,0,0]
	v_fma_mix_f32 v19, v43, v19, v25 op_sel_hi:[1,0,0]
	;; [unrolled: 1-line block ×8, first 2 shown]
	v_mul_f32_e32 v20, v21, v46
	v_mul_f32_e32 v21, v24, v46
	;; [unrolled: 1-line block ×3, first 2 shown]
	v_fma_mix_f32 v16, v16, v22, -v20 op_sel_hi:[0,1,0]
	v_fma_mix_f32 v17, v17, v22, -v21 op_sel_hi:[0,1,0]
	;; [unrolled: 1-line block ×3, first 2 shown]
	v_add_f32_e32 v9, v9, v16
	v_add_f32_e32 v7, v7, v17
	v_add_f32_e32 v6, v6, v18
	s_andn2_b32 exec_lo, exec_lo, s0
	s_cbranch_execnz .LBB102_2
; %bb.3:
	s_or_b32 exec_lo, exec_lo, s0
.LBB102_4:
	s_or_b32 exec_lo, exec_lo, s9
	s_mov_b32 s1, 0
	; wave barrier
	buffer_gl0_inv
	s_mov_b32 s0, exec_lo
	v_cmpx_eq_u32_e32 0, v1
	s_cbranch_execz .LBB102_11
; %bb.5:
	v_mbcnt_lo_u32_b32 v5, -1, 0
	s_load_dwordx2 s[4:5], s[4:5], 0x38
	s_mul_i32 s0, s14, s7
	s_mul_i32 s3, s18, s8
	s_add_i32 s0, s0, s6
	v_xor_b32_e32 v1, 16, v5
	v_xor_b32_e32 v2, 8, v5
	;; [unrolled: 1-line block ×3, first 2 shown]
	s_add_i32 s0, s0, s3
	s_lshl_b64 s[0:1], s[0:1], 2
	v_cmp_gt_i32_e32 vcc_lo, 32, v1
	v_cndmask_b32_e32 v1, v5, v1, vcc_lo
	v_cmp_gt_i32_e32 vcc_lo, 32, v2
	v_lshlrev_b32_e32 v1, 2, v1
	v_cndmask_b32_e32 v2, v5, v2, vcc_lo
	s_waitcnt lgkmcnt(0)
	s_add_u32 s0, s4, s0
	s_addc_u32 s1, s5, s1
	ds_bpermute_b32 v3, v1, v9
	v_lshlrev_b32_e32 v2, 2, v2
	s_waitcnt lgkmcnt(0)
	v_add_f32_e32 v4, v9, v3
	v_xor_b32_e32 v3, 4, v5
	ds_bpermute_b32 v8, v2, v4
	v_cmp_gt_i32_e32 vcc_lo, 32, v3
	v_cndmask_b32_e32 v3, v5, v3, vcc_lo
	v_lshlrev_b32_e32 v3, 2, v3
	s_waitcnt lgkmcnt(0)
	v_add_f32_e32 v8, v4, v8
	v_xor_b32_e32 v4, 2, v5
	ds_bpermute_b32 v9, v3, v8
	v_cmp_gt_i32_e32 vcc_lo, 32, v4
	v_cndmask_b32_e32 v4, v5, v4, vcc_lo
	v_cmp_gt_i32_e32 vcc_lo, 32, v10
	v_lshlrev_b32_e32 v4, 2, v4
	v_cndmask_b32_e32 v5, v5, v10, vcc_lo
	v_cmp_eq_u32_e32 vcc_lo, 0, v0
	v_lshlrev_b32_e32 v5, 2, v5
	s_waitcnt lgkmcnt(0)
	v_add_f32_e32 v8, v8, v9
	ds_bpermute_b32 v9, v4, v8
	s_waitcnt lgkmcnt(0)
	v_add_f32_e32 v8, v8, v9
	ds_bpermute_b32 v9, v5, v8
	s_and_saveexec_b32 s3, vcc_lo
	s_cbranch_execz .LBB102_7
; %bb.6:
	s_waitcnt lgkmcnt(0)
	v_add_f32_e32 v0, v8, v9
	v_mov_b32_e32 v8, 0
	global_store_dword v8, v0, s[0:1]
.LBB102_7:
	s_or_b32 exec_lo, exec_lo, s3
	ds_bpermute_b32 v0, v1, v7
	s_waitcnt lgkmcnt(0)
	v_add_f32_e32 v0, v7, v0
	ds_bpermute_b32 v7, v2, v0
	s_waitcnt lgkmcnt(0)
	v_add_f32_e32 v0, v0, v7
	;; [unrolled: 3-line block ×4, first 2 shown]
	ds_bpermute_b32 v7, v5, v0
	s_and_saveexec_b32 s4, vcc_lo
	s_cbranch_execz .LBB102_9
; %bb.8:
	s_mov_b32 s3, 0
	s_waitcnt lgkmcnt(0)
	v_add_f32_e32 v0, v0, v7
	s_lshl_b64 s[6:7], s[2:3], 2
	v_mov_b32_e32 v7, 0
	s_add_u32 s6, s0, s6
	s_addc_u32 s7, s1, s7
	global_store_dword v7, v0, s[6:7]
.LBB102_9:
	s_or_b32 exec_lo, exec_lo, s4
	ds_bpermute_b32 v0, v1, v6
	s_waitcnt lgkmcnt(0)
	v_add_f32_e32 v0, v6, v0
	ds_bpermute_b32 v1, v2, v0
	s_waitcnt lgkmcnt(0)
	v_add_f32_e32 v0, v0, v1
	;; [unrolled: 3-line block ×4, first 2 shown]
	ds_bpermute_b32 v1, v5, v0
	s_and_b32 exec_lo, exec_lo, vcc_lo
	s_cbranch_execz .LBB102_11
; %bb.10:
	s_lshl_b32 s2, s2, 1
	s_mov_b32 s3, 0
	s_waitcnt lgkmcnt(0)
	v_add_f32_e32 v0, v0, v1
	s_lshl_b64 s[2:3], s[2:3], 2
	v_mov_b32_e32 v1, 0
	s_add_u32 s0, s0, s2
	s_addc_u32 s1, s1, s3
	global_store_dword v1, v0, s[0:1]
.LBB102_11:
	s_endpgm
	.section	.rodata,"a",@progbits
	.p2align	6, 0x0
	.amdhsa_kernel _ZL13mul_mat_vec_qIL9ggml_type10ELi3ELb0ELb0EEvPKvS2_PKi31ggml_cuda_mm_fusion_args_devicePfj15HIP_vector_typeIjLj3EEjjjS8_jjjS8_jjjj
		.amdhsa_group_segment_fixed_size 0
		.amdhsa_private_segment_fixed_size 0
		.amdhsa_kernarg_size 144
		.amdhsa_user_sgpr_count 6
		.amdhsa_user_sgpr_private_segment_buffer 1
		.amdhsa_user_sgpr_dispatch_ptr 0
		.amdhsa_user_sgpr_queue_ptr 0
		.amdhsa_user_sgpr_kernarg_segment_ptr 1
		.amdhsa_user_sgpr_dispatch_id 0
		.amdhsa_user_sgpr_flat_scratch_init 0
		.amdhsa_user_sgpr_private_segment_size 0
		.amdhsa_wavefront_size32 1
		.amdhsa_uses_dynamic_stack 0
		.amdhsa_system_sgpr_private_segment_wavefront_offset 0
		.amdhsa_system_sgpr_workgroup_id_x 1
		.amdhsa_system_sgpr_workgroup_id_y 1
		.amdhsa_system_sgpr_workgroup_id_z 1
		.amdhsa_system_sgpr_workgroup_info 0
		.amdhsa_system_vgpr_workitem_id 1
		.amdhsa_next_free_vgpr 62
		.amdhsa_next_free_sgpr 26
		.amdhsa_reserve_vcc 1
		.amdhsa_reserve_flat_scratch 0
		.amdhsa_float_round_mode_32 0
		.amdhsa_float_round_mode_16_64 0
		.amdhsa_float_denorm_mode_32 3
		.amdhsa_float_denorm_mode_16_64 3
		.amdhsa_dx10_clamp 1
		.amdhsa_ieee_mode 1
		.amdhsa_fp16_overflow 0
		.amdhsa_workgroup_processor_mode 1
		.amdhsa_memory_ordered 1
		.amdhsa_forward_progress 1
		.amdhsa_shared_vgpr_count 0
		.amdhsa_exception_fp_ieee_invalid_op 0
		.amdhsa_exception_fp_denorm_src 0
		.amdhsa_exception_fp_ieee_div_zero 0
		.amdhsa_exception_fp_ieee_overflow 0
		.amdhsa_exception_fp_ieee_underflow 0
		.amdhsa_exception_fp_ieee_inexact 0
		.amdhsa_exception_int_div_zero 0
	.end_amdhsa_kernel
	.section	.text._ZL13mul_mat_vec_qIL9ggml_type10ELi3ELb0ELb0EEvPKvS2_PKi31ggml_cuda_mm_fusion_args_devicePfj15HIP_vector_typeIjLj3EEjjjS8_jjjS8_jjjj,"axG",@progbits,_ZL13mul_mat_vec_qIL9ggml_type10ELi3ELb0ELb0EEvPKvS2_PKi31ggml_cuda_mm_fusion_args_devicePfj15HIP_vector_typeIjLj3EEjjjS8_jjjS8_jjjj,comdat
.Lfunc_end102:
	.size	_ZL13mul_mat_vec_qIL9ggml_type10ELi3ELb0ELb0EEvPKvS2_PKi31ggml_cuda_mm_fusion_args_devicePfj15HIP_vector_typeIjLj3EEjjjS8_jjjS8_jjjj, .Lfunc_end102-_ZL13mul_mat_vec_qIL9ggml_type10ELi3ELb0ELb0EEvPKvS2_PKi31ggml_cuda_mm_fusion_args_devicePfj15HIP_vector_typeIjLj3EEjjjS8_jjjS8_jjjj
                                        ; -- End function
	.set _ZL13mul_mat_vec_qIL9ggml_type10ELi3ELb0ELb0EEvPKvS2_PKi31ggml_cuda_mm_fusion_args_devicePfj15HIP_vector_typeIjLj3EEjjjS8_jjjS8_jjjj.num_vgpr, 62
	.set _ZL13mul_mat_vec_qIL9ggml_type10ELi3ELb0ELb0EEvPKvS2_PKi31ggml_cuda_mm_fusion_args_devicePfj15HIP_vector_typeIjLj3EEjjjS8_jjjS8_jjjj.num_agpr, 0
	.set _ZL13mul_mat_vec_qIL9ggml_type10ELi3ELb0ELb0EEvPKvS2_PKi31ggml_cuda_mm_fusion_args_devicePfj15HIP_vector_typeIjLj3EEjjjS8_jjjS8_jjjj.numbered_sgpr, 26
	.set _ZL13mul_mat_vec_qIL9ggml_type10ELi3ELb0ELb0EEvPKvS2_PKi31ggml_cuda_mm_fusion_args_devicePfj15HIP_vector_typeIjLj3EEjjjS8_jjjS8_jjjj.num_named_barrier, 0
	.set _ZL13mul_mat_vec_qIL9ggml_type10ELi3ELb0ELb0EEvPKvS2_PKi31ggml_cuda_mm_fusion_args_devicePfj15HIP_vector_typeIjLj3EEjjjS8_jjjS8_jjjj.private_seg_size, 0
	.set _ZL13mul_mat_vec_qIL9ggml_type10ELi3ELb0ELb0EEvPKvS2_PKi31ggml_cuda_mm_fusion_args_devicePfj15HIP_vector_typeIjLj3EEjjjS8_jjjS8_jjjj.uses_vcc, 1
	.set _ZL13mul_mat_vec_qIL9ggml_type10ELi3ELb0ELb0EEvPKvS2_PKi31ggml_cuda_mm_fusion_args_devicePfj15HIP_vector_typeIjLj3EEjjjS8_jjjS8_jjjj.uses_flat_scratch, 0
	.set _ZL13mul_mat_vec_qIL9ggml_type10ELi3ELb0ELb0EEvPKvS2_PKi31ggml_cuda_mm_fusion_args_devicePfj15HIP_vector_typeIjLj3EEjjjS8_jjjS8_jjjj.has_dyn_sized_stack, 0
	.set _ZL13mul_mat_vec_qIL9ggml_type10ELi3ELb0ELb0EEvPKvS2_PKi31ggml_cuda_mm_fusion_args_devicePfj15HIP_vector_typeIjLj3EEjjjS8_jjjS8_jjjj.has_recursion, 0
	.set _ZL13mul_mat_vec_qIL9ggml_type10ELi3ELb0ELb0EEvPKvS2_PKi31ggml_cuda_mm_fusion_args_devicePfj15HIP_vector_typeIjLj3EEjjjS8_jjjS8_jjjj.has_indirect_call, 0
	.section	.AMDGPU.csdata,"",@progbits
; Kernel info:
; codeLenInByte = 2040
; TotalNumSgprs: 28
; NumVgprs: 62
; ScratchSize: 0
; MemoryBound: 0
; FloatMode: 240
; IeeeMode: 1
; LDSByteSize: 0 bytes/workgroup (compile time only)
; SGPRBlocks: 0
; VGPRBlocks: 7
; NumSGPRsForWavesPerEU: 28
; NumVGPRsForWavesPerEU: 62
; Occupancy: 16
; WaveLimiterHint : 0
; COMPUTE_PGM_RSRC2:SCRATCH_EN: 0
; COMPUTE_PGM_RSRC2:USER_SGPR: 6
; COMPUTE_PGM_RSRC2:TRAP_HANDLER: 0
; COMPUTE_PGM_RSRC2:TGID_X_EN: 1
; COMPUTE_PGM_RSRC2:TGID_Y_EN: 1
; COMPUTE_PGM_RSRC2:TGID_Z_EN: 1
; COMPUTE_PGM_RSRC2:TIDIG_COMP_CNT: 1
	.section	.text._ZL13mul_mat_vec_qIL9ggml_type10ELi4ELb0ELb0EEvPKvS2_PKi31ggml_cuda_mm_fusion_args_devicePfj15HIP_vector_typeIjLj3EEjjjS8_jjjS8_jjjj,"axG",@progbits,_ZL13mul_mat_vec_qIL9ggml_type10ELi4ELb0ELb0EEvPKvS2_PKi31ggml_cuda_mm_fusion_args_devicePfj15HIP_vector_typeIjLj3EEjjjS8_jjjS8_jjjj,comdat
	.globl	_ZL13mul_mat_vec_qIL9ggml_type10ELi4ELb0ELb0EEvPKvS2_PKi31ggml_cuda_mm_fusion_args_devicePfj15HIP_vector_typeIjLj3EEjjjS8_jjjS8_jjjj ; -- Begin function _ZL13mul_mat_vec_qIL9ggml_type10ELi4ELb0ELb0EEvPKvS2_PKi31ggml_cuda_mm_fusion_args_devicePfj15HIP_vector_typeIjLj3EEjjjS8_jjjS8_jjjj
	.p2align	8
	.type	_ZL13mul_mat_vec_qIL9ggml_type10ELi4ELb0ELb0EEvPKvS2_PKi31ggml_cuda_mm_fusion_args_devicePfj15HIP_vector_typeIjLj3EEjjjS8_jjjS8_jjjj,@function
_ZL13mul_mat_vec_qIL9ggml_type10ELi4ELb0ELb0EEvPKvS2_PKi31ggml_cuda_mm_fusion_args_devicePfj15HIP_vector_typeIjLj3EEjjjS8_jjjS8_jjjj: ; @_ZL13mul_mat_vec_qIL9ggml_type10ELi4ELb0ELb0EEvPKvS2_PKi31ggml_cuda_mm_fusion_args_devicePfj15HIP_vector_typeIjLj3EEjjjS8_jjjS8_jjjj
; %bb.0:
	s_clause 0x5
	s_load_dword s9, s[4:5], 0x40
	s_load_dwordx4 s[0:3], s[4:5], 0x50
	s_load_dword s11, s[4:5], 0x60
	s_load_dwordx4 s[12:15], s[4:5], 0x68
	;; [unrolled: 2-line block ×3, first 2 shown]
	v_lshl_or_b32 v2, v1, 5, v0
	v_mov_b32_e32 v8, 0
	v_mov_b32_e32 v7, 0
	;; [unrolled: 1-line block ×4, first 2 shown]
	v_lshrrev_b32_e32 v10, 4, v2
	s_waitcnt lgkmcnt(0)
	s_lshr_b32 s10, s9, 8
	s_mov_b32 s9, exec_lo
	v_cmpx_gt_u32_e64 s10, v10
	s_cbranch_execz .LBB103_4
; %bb.1:
	s_load_dwordx4 s[20:23], s[4:5], 0x0
	v_bfe_u32 v2, v0, 3, 1
	s_mul_hi_u32 s3, s3, s7
	s_mul_hi_u32 s15, s15, s8
	v_lshrrev_b32_e32 v4, 1, v0
	s_mul_i32 s17, s17, s8
	s_add_i32 s3, s7, s3
	s_add_i32 s15, s8, s15
	s_mul_i32 s13, s13, s7
	s_mul_hi_u32 s19, s17, 36
	s_mul_i32 s17, s17, 36
	s_lshr_b32 s3, s3, s11
	v_mul_hi_u32_u24_e32 v3, 0x90, v2
	v_mul_u32_u24_e32 v2, 0x90, v2
	s_lshr_b32 s11, s15, s24
	s_mul_hi_u32 s25, s13, 36
	s_mul_i32 s13, s13, 36
	s_mul_i32 s3, s3, s12
	v_and_b32_e32 v6, 4, v4
	v_mad_u64_u32 v[4:5], null, 0x120, v10, v[2:3]
	s_waitcnt lgkmcnt(0)
	s_add_u32 s12, s22, s17
	s_addc_u32 s15, s23, s19
	s_add_u32 s12, s12, s13
	s_addc_u32 s13, s15, s25
	v_bfe_u32 v7, v0, 2, 1
	v_mad_u64_u32 v[2:3], null, v6, 36, s[12:13]
	v_lshlrev_b32_e32 v6, 3, v10
	v_and_b32_e32 v9, 15, v0
	v_and_b32_e32 v11, 7, v0
	v_and_or_b32 v12, v0, 8, v7
	v_add_co_u32 v4, vcc_lo, s12, v4
	v_add_nc_u32_e32 v14, s1, v6
	v_lshl_add_u32 v15, s1, 1, v6
	v_mad_u64_u32 v[6:7], null, s1, 3, v[6:7]
	s_mul_i32 s0, s0, s6
	v_mov_b32_e32 v8, 0
	v_lshlrev_b32_e32 v13, 2, v11
	v_add_co_ci_u32_e64 v5, null, s13, v5, vcc_lo
	v_lshlrev_b32_e32 v16, 2, v9
	v_lshlrev_b32_e32 v17, 2, v11
	v_mov_b32_e32 v7, 0
	v_mov_b32_e32 v9, 0
	;; [unrolled: 1-line block ×3, first 2 shown]
	s_mul_i32 s11, s11, s16
	s_add_i32 s3, s3, s0
	s_mov_b32 s0, 0
	s_add_i32 s1, s11, s3
.LBB103_2:                              ; =>This Inner Loop Header: Depth=1
	v_add_nc_u32_e32 v18, s1, v10
	v_mov_b32_e32 v40, 0
	v_mov_b32_e32 v41, 0
	v_add_nc_u32_e32 v10, 2, v10
	v_mad_i64_i32 v[18:19], null, 0x54, v18, s[20:21]
	v_add_co_u32 v20, vcc_lo, v18, v16
	v_add_co_ci_u32_e64 v21, null, 0, v19, vcc_lo
	global_load_dword v22, v[20:21], off offset:16
	v_add_co_u32 v20, vcc_lo, v18, v12
	v_add_co_ci_u32_e64 v21, null, 0, v19, vcc_lo
	s_clause 0x1
	global_load_dword v18, v[18:19], off offset:80
	global_load_ubyte v19, v[20:21], off
	s_waitcnt vmcnt(2)
	v_and_b32_e32 v23, 0x3030303, v22
	v_lshrrev_b32_e32 v26, 2, v22
	v_lshrrev_b32_e32 v29, 4, v22
	v_and_b32_e32 v26, 0x3030303, v26
	s_waitcnt vmcnt(0)
	v_and_b32_e32 v24, 15, v19
	v_lshrrev_b32_e32 v19, 4, v19
	v_and_b32_e32 v29, 0x3030303, v29
	v_cvt_f32_f16_sdwa v35, v18 dst_sel:DWORD dst_unused:UNUSED_PAD src0_sel:WORD_1
	v_mul_lo_u32 v25, 0x1010101, v19
	global_load_ubyte v19, v[20:21], off offset:2
	s_waitcnt vmcnt(0)
	v_and_b32_e32 v27, 15, v19
	v_lshrrev_b32_e32 v19, 4, v19
	v_mul_lo_u32 v28, 0x1010101, v19
	global_load_ubyte v19, v[20:21], off offset:4
	s_waitcnt vmcnt(0)
	v_and_b32_e32 v30, 15, v19
	v_lshrrev_b32_e32 v19, 4, v19
	v_mul_lo_u32 v31, 0x1010101, v19
	global_load_ubyte v19, v[20:21], off offset:6
	v_lshrrev_b32_e32 v20, 6, v22
	v_and_b32_e32 v32, 0x3030303, v20
	s_waitcnt vmcnt(0)
	v_and_b32_e32 v33, 15, v19
	v_lshrrev_b32_e32 v19, 4, v19
	v_mul_lo_u32 v34, 0x1010101, v19
	v_add_co_u32 v19, vcc_lo, v4, v13
	v_add_co_ci_u32_e64 v20, null, 0, v5, vcc_lo
	s_clause 0x7
	global_load_dword v21, v[19:20], off offset:4
	global_load_dword v22, v[4:5], off
	global_load_dword v36, v[19:20], off offset:40
	global_load_dword v37, v[4:5], off offset:36
	;; [unrolled: 1-line block ×6, first 2 shown]
	s_waitcnt vmcnt(7)
	v_dot4c_i32_i8 v40, v23, v21
	v_dot4c_i32_i8 v41, v25, v21
	v_mul_lo_u32 v40, v24, v40
	v_cvt_f32_i32_e32 v21, v41
	s_waitcnt vmcnt(6)
	v_fma_mix_f32 v21, v22, v21, 0 op_sel_hi:[1,0,0]
	v_cvt_f32_i32_e32 v40, v40
	v_fma_mix_f32 v40, v22, v40, 0 op_sel_hi:[1,0,0]
	v_mov_b32_e32 v22, 0
	s_waitcnt vmcnt(5)
	v_dot4c_i32_i8 v22, v26, v36
	v_mul_lo_u32 v22, v27, v22
	v_cvt_f32_i32_e32 v22, v22
	s_waitcnt vmcnt(4)
	v_fma_mix_f32 v22, v37, v22, v40 op_sel_hi:[1,0,0]
	v_mov_b32_e32 v40, 0
	v_dot4c_i32_i8 v40, v28, v36
	v_cvt_f32_i32_e32 v36, v40
	v_fma_mix_f32 v21, v37, v36, v21 op_sel_hi:[1,0,0]
	v_mov_b32_e32 v36, 0
	s_waitcnt vmcnt(3)
	v_dot4c_i32_i8 v36, v29, v38
	v_mul_lo_u32 v36, v30, v36
	v_cvt_f32_i32_e32 v36, v36
	s_waitcnt vmcnt(2)
	v_fma_mix_f32 v22, v39, v36, v22 op_sel_hi:[1,0,0]
	v_mov_b32_e32 v36, 0
	v_dot4c_i32_i8 v36, v31, v38
	;; [unrolled: 11-line block ×3, first 2 shown]
	v_cvt_f32_i32_e32 v19, v36
	v_fma_mix_f32 v19, v20, v19, v21 op_sel_hi:[1,0,0]
	v_mul_f32_e32 v19, v19, v35
	v_fma_mix_f32 v19, v22, v18, -v19 op_sel_hi:[0,1,0]
	v_add_f32_e32 v11, v11, v19
	v_mad_u64_u32 v[19:20], null, v14, 36, v[2:3]
	v_add_nc_u32_e32 v14, 16, v14
	v_add_co_u32 v21, vcc_lo, v19, v17
	v_add_co_ci_u32_e64 v22, null, 0, v20, vcc_lo
	s_clause 0x7
	global_load_dword v36, v[21:22], off offset:4
	global_load_dword v37, v[19:20], off
	global_load_dword v38, v[21:22], off offset:40
	global_load_dword v39, v[19:20], off offset:36
	;; [unrolled: 1-line block ×6, first 2 shown]
	v_mov_b32_e32 v20, 0
	v_mov_b32_e32 v22, 0
	s_waitcnt vmcnt(7)
	v_dot4c_i32_i8 v20, v23, v36
	v_dot4c_i32_i8 v22, v25, v36
	v_mov_b32_e32 v36, 0
	v_mul_lo_u32 v20, v24, v20
	v_cvt_f32_i32_e32 v22, v22
	s_waitcnt vmcnt(5)
	v_dot4c_i32_i8 v36, v26, v38
	v_fma_mix_f32 v22, v37, v22, 0 op_sel_hi:[1,0,0]
	v_mul_lo_u32 v36, v27, v36
	v_cvt_f32_i32_e32 v20, v20
	v_fma_mix_f32 v20, v37, v20, 0 op_sel_hi:[1,0,0]
	v_cvt_f32_i32_e32 v36, v36
	s_waitcnt vmcnt(4)
	v_fma_mix_f32 v20, v39, v36, v20 op_sel_hi:[1,0,0]
	v_mov_b32_e32 v36, 0
	v_dot4c_i32_i8 v36, v28, v38
	v_cvt_f32_i32_e32 v36, v36
	v_fma_mix_f32 v22, v39, v36, v22 op_sel_hi:[1,0,0]
	v_mov_b32_e32 v36, 0
	s_waitcnt vmcnt(3)
	v_dot4c_i32_i8 v36, v29, v40
	v_mul_lo_u32 v36, v30, v36
	v_cvt_f32_i32_e32 v36, v36
	s_waitcnt vmcnt(2)
	v_fma_mix_f32 v20, v41, v36, v20 op_sel_hi:[1,0,0]
	v_mov_b32_e32 v36, 0
	v_dot4c_i32_i8 v36, v31, v40
	v_cvt_f32_i32_e32 v36, v36
	v_fma_mix_f32 v22, v41, v36, v22 op_sel_hi:[1,0,0]
	v_mov_b32_e32 v36, 0
	s_waitcnt vmcnt(1)
	v_dot4c_i32_i8 v36, v32, v21
	v_mul_lo_u32 v36, v33, v36
	v_cvt_f32_i32_e32 v36, v36
	s_waitcnt vmcnt(0)
	v_fma_mix_f32 v20, v19, v36, v20 op_sel_hi:[1,0,0]
	v_mov_b32_e32 v36, 0
	v_dot4c_i32_i8 v36, v34, v21
	v_cvt_f32_i32_e32 v21, v36
	v_fma_mix_f32 v19, v19, v21, v22 op_sel_hi:[1,0,0]
	v_mul_f32_e32 v19, v19, v35
	v_fma_mix_f32 v19, v20, v18, -v19 op_sel_hi:[0,1,0]
	v_add_f32_e32 v9, v9, v19
	v_mad_u64_u32 v[19:20], null, v15, 36, v[2:3]
	v_add_nc_u32_e32 v15, 16, v15
	v_add_co_u32 v21, vcc_lo, v19, v17
	v_add_co_ci_u32_e64 v22, null, 0, v20, vcc_lo
	s_clause 0x7
	global_load_dword v36, v[21:22], off offset:4
	global_load_dword v37, v[19:20], off
	global_load_dword v38, v[21:22], off offset:40
	global_load_dword v39, v[19:20], off offset:36
	;; [unrolled: 1-line block ×6, first 2 shown]
	v_mov_b32_e32 v20, 0
	v_mov_b32_e32 v22, 0
	s_waitcnt vmcnt(7)
	v_dot4c_i32_i8 v20, v23, v36
	v_dot4c_i32_i8 v22, v25, v36
	v_mov_b32_e32 v36, 0
	v_mul_lo_u32 v20, v24, v20
	v_cvt_f32_i32_e32 v22, v22
	s_waitcnt vmcnt(5)
	v_dot4c_i32_i8 v36, v26, v38
	v_fma_mix_f32 v22, v37, v22, 0 op_sel_hi:[1,0,0]
	v_mul_lo_u32 v36, v27, v36
	v_cvt_f32_i32_e32 v20, v20
	v_fma_mix_f32 v20, v37, v20, 0 op_sel_hi:[1,0,0]
	v_cvt_f32_i32_e32 v36, v36
	s_waitcnt vmcnt(4)
	v_fma_mix_f32 v20, v39, v36, v20 op_sel_hi:[1,0,0]
	v_mov_b32_e32 v36, 0
	v_dot4c_i32_i8 v36, v28, v38
	v_cvt_f32_i32_e32 v36, v36
	v_fma_mix_f32 v22, v39, v36, v22 op_sel_hi:[1,0,0]
	v_mov_b32_e32 v36, 0
	s_waitcnt vmcnt(3)
	v_dot4c_i32_i8 v36, v29, v40
	v_mul_lo_u32 v36, v30, v36
	v_cvt_f32_i32_e32 v36, v36
	s_waitcnt vmcnt(2)
	v_fma_mix_f32 v20, v41, v36, v20 op_sel_hi:[1,0,0]
	v_mov_b32_e32 v36, 0
	v_dot4c_i32_i8 v36, v31, v40
	v_cvt_f32_i32_e32 v36, v36
	v_fma_mix_f32 v22, v41, v36, v22 op_sel_hi:[1,0,0]
	v_mov_b32_e32 v36, 0
	s_waitcnt vmcnt(1)
	v_dot4c_i32_i8 v36, v32, v21
	v_mul_lo_u32 v36, v33, v36
	v_cvt_f32_i32_e32 v36, v36
	s_waitcnt vmcnt(0)
	v_fma_mix_f32 v20, v19, v36, v20 op_sel_hi:[1,0,0]
	v_mov_b32_e32 v36, 0
	v_dot4c_i32_i8 v36, v34, v21
	v_cvt_f32_i32_e32 v21, v36
	v_fma_mix_f32 v19, v19, v21, v22 op_sel_hi:[1,0,0]
	v_mul_f32_e32 v19, v19, v35
	v_fma_mix_f32 v19, v20, v18, -v19 op_sel_hi:[0,1,0]
	v_add_f32_e32 v7, v7, v19
	v_mad_u64_u32 v[19:20], null, v6, 36, v[2:3]
	v_add_nc_u32_e32 v6, 16, v6
	v_add_co_u32 v21, vcc_lo, v19, v17
	v_add_co_ci_u32_e64 v22, null, 0, v20, vcc_lo
	s_clause 0x7
	global_load_dword v36, v[21:22], off offset:4
	global_load_dword v37, v[19:20], off
	global_load_dword v38, v[21:22], off offset:40
	global_load_dword v39, v[19:20], off offset:36
	;; [unrolled: 1-line block ×6, first 2 shown]
	v_mov_b32_e32 v20, 0
	v_mov_b32_e32 v22, 0
	v_add_co_u32 v4, vcc_lo, 0x240, v4
	v_add_co_ci_u32_e64 v5, null, 0, v5, vcc_lo
	v_cmp_le_u32_e32 vcc_lo, s10, v10
	s_or_b32 s0, vcc_lo, s0
	s_waitcnt vmcnt(7)
	v_dot4c_i32_i8 v20, v23, v36
	v_mov_b32_e32 v23, 0
	v_dot4c_i32_i8 v22, v25, v36
	v_mul_lo_u32 v20, v24, v20
	s_waitcnt vmcnt(5)
	v_dot4c_i32_i8 v23, v26, v38
	v_cvt_f32_i32_e32 v22, v22
	v_mul_lo_u32 v23, v27, v23
	v_fma_mix_f32 v22, v37, v22, 0 op_sel_hi:[1,0,0]
	v_cvt_f32_i32_e32 v20, v20
	v_fma_mix_f32 v20, v37, v20, 0 op_sel_hi:[1,0,0]
	v_cvt_f32_i32_e32 v23, v23
	s_waitcnt vmcnt(4)
	v_fma_mix_f32 v20, v39, v23, v20 op_sel_hi:[1,0,0]
	v_mov_b32_e32 v23, 0
	v_dot4c_i32_i8 v23, v28, v38
	v_cvt_f32_i32_e32 v23, v23
	v_fma_mix_f32 v22, v39, v23, v22 op_sel_hi:[1,0,0]
	v_mov_b32_e32 v23, 0
	s_waitcnt vmcnt(3)
	v_dot4c_i32_i8 v23, v29, v40
	v_mul_lo_u32 v23, v30, v23
	v_cvt_f32_i32_e32 v23, v23
	s_waitcnt vmcnt(2)
	v_fma_mix_f32 v20, v41, v23, v20 op_sel_hi:[1,0,0]
	v_mov_b32_e32 v23, 0
	v_dot4c_i32_i8 v23, v31, v40
	v_cvt_f32_i32_e32 v23, v23
	v_fma_mix_f32 v22, v41, v23, v22 op_sel_hi:[1,0,0]
	v_mov_b32_e32 v23, 0
	s_waitcnt vmcnt(1)
	v_dot4c_i32_i8 v23, v32, v21
	v_mul_lo_u32 v23, v33, v23
	v_cvt_f32_i32_e32 v23, v23
	s_waitcnt vmcnt(0)
	v_fma_mix_f32 v20, v19, v23, v20 op_sel_hi:[1,0,0]
	v_mov_b32_e32 v23, 0
	v_dot4c_i32_i8 v23, v34, v21
	v_cvt_f32_i32_e32 v21, v23
	v_fma_mix_f32 v19, v19, v21, v22 op_sel_hi:[1,0,0]
	v_mul_f32_e32 v19, v19, v35
	v_fma_mix_f32 v18, v20, v18, -v19 op_sel_hi:[0,1,0]
	v_add_f32_e32 v8, v8, v18
	s_andn2_b32 exec_lo, exec_lo, s0
	s_cbranch_execnz .LBB103_2
; %bb.3:
	s_or_b32 exec_lo, exec_lo, s0
.LBB103_4:
	s_or_b32 exec_lo, exec_lo, s9
	s_mov_b32 s1, 0
	; wave barrier
	buffer_gl0_inv
	s_mov_b32 s0, exec_lo
	v_cmpx_eq_u32_e32 0, v1
	s_cbranch_execz .LBB103_13
; %bb.5:
	v_mbcnt_lo_u32_b32 v5, -1, 0
	s_load_dwordx2 s[4:5], s[4:5], 0x38
	s_mul_i32 s0, s14, s7
	s_mul_i32 s3, s18, s8
	s_add_i32 s0, s0, s6
	v_xor_b32_e32 v1, 16, v5
	v_xor_b32_e32 v2, 8, v5
	s_add_i32 s0, s0, s3
	s_lshl_b64 s[0:1], s[0:1], 2
	v_cmp_gt_i32_e32 vcc_lo, 32, v1
	v_cndmask_b32_e32 v1, v5, v1, vcc_lo
	v_cmp_gt_i32_e32 vcc_lo, 32, v2
	v_lshlrev_b32_e32 v1, 2, v1
	v_cndmask_b32_e32 v2, v5, v2, vcc_lo
	s_waitcnt lgkmcnt(0)
	s_add_u32 s0, s4, s0
	s_addc_u32 s1, s5, s1
	ds_bpermute_b32 v3, v1, v11
	v_lshlrev_b32_e32 v2, 2, v2
	s_waitcnt lgkmcnt(0)
	v_add_f32_e32 v4, v11, v3
	v_xor_b32_e32 v3, 4, v5
	v_xor_b32_e32 v11, 1, v5
	ds_bpermute_b32 v6, v2, v4
	v_cmp_gt_i32_e32 vcc_lo, 32, v3
	v_cndmask_b32_e32 v3, v5, v3, vcc_lo
	v_lshlrev_b32_e32 v3, 2, v3
	s_waitcnt lgkmcnt(0)
	v_add_f32_e32 v6, v4, v6
	v_xor_b32_e32 v4, 2, v5
	ds_bpermute_b32 v10, v3, v6
	v_cmp_gt_i32_e32 vcc_lo, 32, v4
	v_cndmask_b32_e32 v4, v5, v4, vcc_lo
	v_cmp_gt_i32_e32 vcc_lo, 32, v11
	v_lshlrev_b32_e32 v4, 2, v4
	v_cndmask_b32_e32 v5, v5, v11, vcc_lo
	v_cmp_eq_u32_e32 vcc_lo, 0, v0
	v_lshlrev_b32_e32 v5, 2, v5
	s_waitcnt lgkmcnt(0)
	v_add_f32_e32 v6, v6, v10
	ds_bpermute_b32 v10, v4, v6
	s_waitcnt lgkmcnt(0)
	v_add_f32_e32 v6, v6, v10
	ds_bpermute_b32 v10, v5, v6
	s_and_saveexec_b32 s3, vcc_lo
	s_cbranch_execz .LBB103_7
; %bb.6:
	s_waitcnt lgkmcnt(0)
	v_add_f32_e32 v0, v6, v10
	v_mov_b32_e32 v6, 0
	global_store_dword v6, v0, s[0:1]
.LBB103_7:
	s_or_b32 exec_lo, exec_lo, s3
	ds_bpermute_b32 v0, v1, v9
	s_waitcnt lgkmcnt(0)
	v_add_f32_e32 v0, v9, v0
	ds_bpermute_b32 v6, v2, v0
	s_waitcnt lgkmcnt(0)
	v_add_f32_e32 v0, v0, v6
	;; [unrolled: 3-line block ×4, first 2 shown]
	ds_bpermute_b32 v6, v5, v0
	s_and_saveexec_b32 s4, vcc_lo
	s_cbranch_execz .LBB103_9
; %bb.8:
	s_mov_b32 s3, 0
	s_waitcnt lgkmcnt(0)
	v_add_f32_e32 v0, v0, v6
	s_lshl_b64 s[6:7], s[2:3], 2
	v_mov_b32_e32 v6, 0
	s_add_u32 s6, s0, s6
	s_addc_u32 s7, s1, s7
	global_store_dword v6, v0, s[6:7]
.LBB103_9:
	s_or_b32 exec_lo, exec_lo, s4
	ds_bpermute_b32 v0, v1, v7
	s_waitcnt lgkmcnt(0)
	v_add_f32_e32 v0, v7, v0
	ds_bpermute_b32 v6, v2, v0
	s_waitcnt lgkmcnt(0)
	v_add_f32_e32 v0, v0, v6
	;; [unrolled: 3-line block ×4, first 2 shown]
	ds_bpermute_b32 v6, v5, v0
	s_and_saveexec_b32 s3, vcc_lo
	s_cbranch_execz .LBB103_11
; %bb.10:
	s_lshl_b32 s4, s2, 1
	s_mov_b32 s5, 0
	s_waitcnt lgkmcnt(0)
	v_add_f32_e32 v0, v0, v6
	s_lshl_b64 s[4:5], s[4:5], 2
	v_mov_b32_e32 v6, 0
	s_add_u32 s4, s0, s4
	s_addc_u32 s5, s1, s5
	global_store_dword v6, v0, s[4:5]
.LBB103_11:
	s_or_b32 exec_lo, exec_lo, s3
	ds_bpermute_b32 v0, v1, v8
	s_waitcnt lgkmcnt(0)
	v_add_f32_e32 v0, v8, v0
	ds_bpermute_b32 v1, v2, v0
	s_waitcnt lgkmcnt(0)
	v_add_f32_e32 v0, v0, v1
	;; [unrolled: 3-line block ×4, first 2 shown]
	ds_bpermute_b32 v1, v5, v0
	s_and_b32 exec_lo, exec_lo, vcc_lo
	s_cbranch_execz .LBB103_13
; %bb.12:
	s_mul_i32 s2, s2, 3
	s_mov_b32 s3, 0
	s_waitcnt lgkmcnt(0)
	v_add_f32_e32 v0, v0, v1
	s_lshl_b64 s[2:3], s[2:3], 2
	v_mov_b32_e32 v1, 0
	s_add_u32 s0, s0, s2
	s_addc_u32 s1, s1, s3
	global_store_dword v1, v0, s[0:1]
.LBB103_13:
	s_endpgm
	.section	.rodata,"a",@progbits
	.p2align	6, 0x0
	.amdhsa_kernel _ZL13mul_mat_vec_qIL9ggml_type10ELi4ELb0ELb0EEvPKvS2_PKi31ggml_cuda_mm_fusion_args_devicePfj15HIP_vector_typeIjLj3EEjjjS8_jjjS8_jjjj
		.amdhsa_group_segment_fixed_size 0
		.amdhsa_private_segment_fixed_size 0
		.amdhsa_kernarg_size 144
		.amdhsa_user_sgpr_count 6
		.amdhsa_user_sgpr_private_segment_buffer 1
		.amdhsa_user_sgpr_dispatch_ptr 0
		.amdhsa_user_sgpr_queue_ptr 0
		.amdhsa_user_sgpr_kernarg_segment_ptr 1
		.amdhsa_user_sgpr_dispatch_id 0
		.amdhsa_user_sgpr_flat_scratch_init 0
		.amdhsa_user_sgpr_private_segment_size 0
		.amdhsa_wavefront_size32 1
		.amdhsa_uses_dynamic_stack 0
		.amdhsa_system_sgpr_private_segment_wavefront_offset 0
		.amdhsa_system_sgpr_workgroup_id_x 1
		.amdhsa_system_sgpr_workgroup_id_y 1
		.amdhsa_system_sgpr_workgroup_id_z 1
		.amdhsa_system_sgpr_workgroup_info 0
		.amdhsa_system_vgpr_workitem_id 1
		.amdhsa_next_free_vgpr 42
		.amdhsa_next_free_sgpr 26
		.amdhsa_reserve_vcc 1
		.amdhsa_reserve_flat_scratch 0
		.amdhsa_float_round_mode_32 0
		.amdhsa_float_round_mode_16_64 0
		.amdhsa_float_denorm_mode_32 3
		.amdhsa_float_denorm_mode_16_64 3
		.amdhsa_dx10_clamp 1
		.amdhsa_ieee_mode 1
		.amdhsa_fp16_overflow 0
		.amdhsa_workgroup_processor_mode 1
		.amdhsa_memory_ordered 1
		.amdhsa_forward_progress 1
		.amdhsa_shared_vgpr_count 0
		.amdhsa_exception_fp_ieee_invalid_op 0
		.amdhsa_exception_fp_denorm_src 0
		.amdhsa_exception_fp_ieee_div_zero 0
		.amdhsa_exception_fp_ieee_overflow 0
		.amdhsa_exception_fp_ieee_underflow 0
		.amdhsa_exception_fp_ieee_inexact 0
		.amdhsa_exception_int_div_zero 0
	.end_amdhsa_kernel
	.section	.text._ZL13mul_mat_vec_qIL9ggml_type10ELi4ELb0ELb0EEvPKvS2_PKi31ggml_cuda_mm_fusion_args_devicePfj15HIP_vector_typeIjLj3EEjjjS8_jjjS8_jjjj,"axG",@progbits,_ZL13mul_mat_vec_qIL9ggml_type10ELi4ELb0ELb0EEvPKvS2_PKi31ggml_cuda_mm_fusion_args_devicePfj15HIP_vector_typeIjLj3EEjjjS8_jjjS8_jjjj,comdat
.Lfunc_end103:
	.size	_ZL13mul_mat_vec_qIL9ggml_type10ELi4ELb0ELb0EEvPKvS2_PKi31ggml_cuda_mm_fusion_args_devicePfj15HIP_vector_typeIjLj3EEjjjS8_jjjS8_jjjj, .Lfunc_end103-_ZL13mul_mat_vec_qIL9ggml_type10ELi4ELb0ELb0EEvPKvS2_PKi31ggml_cuda_mm_fusion_args_devicePfj15HIP_vector_typeIjLj3EEjjjS8_jjjS8_jjjj
                                        ; -- End function
	.set _ZL13mul_mat_vec_qIL9ggml_type10ELi4ELb0ELb0EEvPKvS2_PKi31ggml_cuda_mm_fusion_args_devicePfj15HIP_vector_typeIjLj3EEjjjS8_jjjS8_jjjj.num_vgpr, 42
	.set _ZL13mul_mat_vec_qIL9ggml_type10ELi4ELb0ELb0EEvPKvS2_PKi31ggml_cuda_mm_fusion_args_devicePfj15HIP_vector_typeIjLj3EEjjjS8_jjjS8_jjjj.num_agpr, 0
	.set _ZL13mul_mat_vec_qIL9ggml_type10ELi4ELb0ELb0EEvPKvS2_PKi31ggml_cuda_mm_fusion_args_devicePfj15HIP_vector_typeIjLj3EEjjjS8_jjjS8_jjjj.numbered_sgpr, 26
	.set _ZL13mul_mat_vec_qIL9ggml_type10ELi4ELb0ELb0EEvPKvS2_PKi31ggml_cuda_mm_fusion_args_devicePfj15HIP_vector_typeIjLj3EEjjjS8_jjjS8_jjjj.num_named_barrier, 0
	.set _ZL13mul_mat_vec_qIL9ggml_type10ELi4ELb0ELb0EEvPKvS2_PKi31ggml_cuda_mm_fusion_args_devicePfj15HIP_vector_typeIjLj3EEjjjS8_jjjS8_jjjj.private_seg_size, 0
	.set _ZL13mul_mat_vec_qIL9ggml_type10ELi4ELb0ELb0EEvPKvS2_PKi31ggml_cuda_mm_fusion_args_devicePfj15HIP_vector_typeIjLj3EEjjjS8_jjjS8_jjjj.uses_vcc, 1
	.set _ZL13mul_mat_vec_qIL9ggml_type10ELi4ELb0ELb0EEvPKvS2_PKi31ggml_cuda_mm_fusion_args_devicePfj15HIP_vector_typeIjLj3EEjjjS8_jjjS8_jjjj.uses_flat_scratch, 0
	.set _ZL13mul_mat_vec_qIL9ggml_type10ELi4ELb0ELb0EEvPKvS2_PKi31ggml_cuda_mm_fusion_args_devicePfj15HIP_vector_typeIjLj3EEjjjS8_jjjS8_jjjj.has_dyn_sized_stack, 0
	.set _ZL13mul_mat_vec_qIL9ggml_type10ELi4ELb0ELb0EEvPKvS2_PKi31ggml_cuda_mm_fusion_args_devicePfj15HIP_vector_typeIjLj3EEjjjS8_jjjS8_jjjj.has_recursion, 0
	.set _ZL13mul_mat_vec_qIL9ggml_type10ELi4ELb0ELb0EEvPKvS2_PKi31ggml_cuda_mm_fusion_args_devicePfj15HIP_vector_typeIjLj3EEjjjS8_jjjS8_jjjj.has_indirect_call, 0
	.section	.AMDGPU.csdata,"",@progbits
; Kernel info:
; codeLenInByte = 2596
; TotalNumSgprs: 28
; NumVgprs: 42
; ScratchSize: 0
; MemoryBound: 0
; FloatMode: 240
; IeeeMode: 1
; LDSByteSize: 0 bytes/workgroup (compile time only)
; SGPRBlocks: 0
; VGPRBlocks: 5
; NumSGPRsForWavesPerEU: 28
; NumVGPRsForWavesPerEU: 42
; Occupancy: 16
; WaveLimiterHint : 0
; COMPUTE_PGM_RSRC2:SCRATCH_EN: 0
; COMPUTE_PGM_RSRC2:USER_SGPR: 6
; COMPUTE_PGM_RSRC2:TRAP_HANDLER: 0
; COMPUTE_PGM_RSRC2:TGID_X_EN: 1
; COMPUTE_PGM_RSRC2:TGID_Y_EN: 1
; COMPUTE_PGM_RSRC2:TGID_Z_EN: 1
; COMPUTE_PGM_RSRC2:TIDIG_COMP_CNT: 1
	.section	.text._ZL13mul_mat_vec_qIL9ggml_type10ELi5ELb0ELb0EEvPKvS2_PKi31ggml_cuda_mm_fusion_args_devicePfj15HIP_vector_typeIjLj3EEjjjS8_jjjS8_jjjj,"axG",@progbits,_ZL13mul_mat_vec_qIL9ggml_type10ELi5ELb0ELb0EEvPKvS2_PKi31ggml_cuda_mm_fusion_args_devicePfj15HIP_vector_typeIjLj3EEjjjS8_jjjS8_jjjj,comdat
	.globl	_ZL13mul_mat_vec_qIL9ggml_type10ELi5ELb0ELb0EEvPKvS2_PKi31ggml_cuda_mm_fusion_args_devicePfj15HIP_vector_typeIjLj3EEjjjS8_jjjS8_jjjj ; -- Begin function _ZL13mul_mat_vec_qIL9ggml_type10ELi5ELb0ELb0EEvPKvS2_PKi31ggml_cuda_mm_fusion_args_devicePfj15HIP_vector_typeIjLj3EEjjjS8_jjjS8_jjjj
	.p2align	8
	.type	_ZL13mul_mat_vec_qIL9ggml_type10ELi5ELb0ELb0EEvPKvS2_PKi31ggml_cuda_mm_fusion_args_devicePfj15HIP_vector_typeIjLj3EEjjjS8_jjjS8_jjjj,@function
_ZL13mul_mat_vec_qIL9ggml_type10ELi5ELb0ELb0EEvPKvS2_PKi31ggml_cuda_mm_fusion_args_devicePfj15HIP_vector_typeIjLj3EEjjjS8_jjjS8_jjjj: ; @_ZL13mul_mat_vec_qIL9ggml_type10ELi5ELb0ELb0EEvPKvS2_PKi31ggml_cuda_mm_fusion_args_devicePfj15HIP_vector_typeIjLj3EEjjjS8_jjjS8_jjjj
; %bb.0:
	s_clause 0x5
	s_load_dword s9, s[4:5], 0x40
	s_load_dwordx4 s[0:3], s[4:5], 0x50
	s_load_dword s11, s[4:5], 0x60
	s_load_dwordx4 s[12:15], s[4:5], 0x68
	;; [unrolled: 2-line block ×3, first 2 shown]
	v_lshl_or_b32 v2, v1, 5, v0
	v_mov_b32_e32 v8, 0
	v_mov_b32_e32 v7, 0
	;; [unrolled: 1-line block ×4, first 2 shown]
	v_lshrrev_b32_e32 v11, 4, v2
	v_mov_b32_e32 v12, 0
	s_waitcnt lgkmcnt(0)
	s_lshr_b32 s10, s9, 8
	s_mov_b32 s9, exec_lo
	v_cmpx_gt_u32_e64 s10, v11
	s_cbranch_execz .LBB104_4
; %bb.1:
	s_load_dwordx4 s[20:23], s[4:5], 0x0
	v_bfe_u32 v2, v0, 3, 1
	v_lshrrev_b32_e32 v4, 1, v0
	s_mul_hi_u32 s3, s3, s7
	s_mul_hi_u32 s15, s15, s8
	s_mul_i32 s17, s17, s8
	v_mul_hi_u32_u24_e32 v3, 0x90, v2
	v_mul_u32_u24_e32 v2, 0x90, v2
	s_add_i32 s3, s7, s3
	s_add_i32 s15, s8, s15
	s_mul_i32 s13, s13, s7
	s_mul_hi_u32 s19, s17, 36
	s_mul_i32 s17, s17, 36
	s_lshr_b32 s3, s3, s11
	v_and_b32_e32 v6, 4, v4
	v_mad_u64_u32 v[4:5], null, 0x120, v11, v[2:3]
	s_lshr_b32 s11, s15, s24
	v_and_b32_e32 v10, 15, v0
	s_mul_hi_u32 s25, s13, 36
	s_mul_i32 s13, s13, 36
	s_mul_i32 s3, s3, s12
	s_waitcnt lgkmcnt(0)
	s_add_u32 s12, s22, s17
	v_bfe_u32 v7, v0, 2, 1
	v_lshlrev_b32_e32 v9, 3, v11
	s_addc_u32 s15, s23, s19
	s_add_u32 s12, s12, s13
	s_addc_u32 s13, s15, s25
	v_and_b32_e32 v12, 7, v0
	v_mad_u64_u32 v[2:3], null, v6, 36, s[12:13]
	v_and_or_b32 v13, v0, 8, v7
	v_mad_u64_u32 v[6:7], null, s1, 3, v[9:10]
	v_add_co_u32 v4, vcc_lo, s12, v4
	s_mul_i32 s0, s0, s6
	v_mov_b32_e32 v8, 0
	v_lshlrev_b32_e32 v14, 2, v12
	v_add_co_ci_u32_e64 v5, null, s13, v5, vcc_lo
	v_add_nc_u32_e32 v15, s1, v9
	v_lshl_add_u32 v16, s1, 1, v9
	v_lshl_add_u32 v17, s1, 2, v9
	v_lshlrev_b32_e32 v18, 2, v10
	v_lshlrev_b32_e32 v19, 2, v12
	v_mov_b32_e32 v7, 0
	v_mov_b32_e32 v9, 0
	;; [unrolled: 1-line block ×4, first 2 shown]
	s_mul_i32 s11, s11, s16
	s_add_i32 s3, s3, s0
	s_mov_b32 s0, 0
	s_add_i32 s1, s11, s3
.LBB104_2:                              ; =>This Inner Loop Header: Depth=1
	v_add_nc_u32_e32 v20, s1, v11
	v_mov_b32_e32 v42, 0
	v_mov_b32_e32 v43, 0
	v_add_nc_u32_e32 v11, 2, v11
	v_mad_i64_i32 v[20:21], null, 0x54, v20, s[20:21]
	v_add_co_u32 v22, vcc_lo, v20, v18
	v_add_co_ci_u32_e64 v23, null, 0, v21, vcc_lo
	global_load_dword v24, v[22:23], off offset:16
	v_add_co_u32 v22, vcc_lo, v20, v13
	v_add_co_ci_u32_e64 v23, null, 0, v21, vcc_lo
	v_add_co_u32 v34, vcc_lo, v4, v14
	s_clause 0x1
	global_load_dword v20, v[20:21], off offset:80
	global_load_ubyte v21, v[22:23], off
	v_add_co_ci_u32_e64 v35, null, 0, v5, vcc_lo
	s_waitcnt vmcnt(2)
	v_lshrrev_b32_e32 v25, 2, v24
	v_and_b32_e32 v32, 0x3030303, v24
	v_and_b32_e32 v29, 0x3030303, v25
	v_lshrrev_b32_e32 v25, 4, v24
	s_waitcnt vmcnt(0)
	v_and_b32_e32 v33, 15, v21
	v_lshrrev_b32_e32 v21, 4, v21
	v_and_b32_e32 v26, 0x3030303, v25
	v_mul_lo_u32 v31, 0x1010101, v21
	global_load_ubyte v21, v[22:23], off offset:2
	s_waitcnt vmcnt(0)
	v_and_b32_e32 v30, 15, v21
	v_lshrrev_b32_e32 v21, 4, v21
	v_mul_lo_u32 v28, 0x1010101, v21
	global_load_ubyte v21, v[22:23], off offset:4
	s_waitcnt vmcnt(0)
	v_and_b32_e32 v27, 15, v21
	v_lshrrev_b32_e32 v21, 4, v21
	v_mul_lo_u32 v25, 0x1010101, v21
	global_load_ubyte v21, v[22:23], off offset:6
	s_clause 0x7
	global_load_dword v36, v[34:35], off offset:4
	global_load_dword v37, v[4:5], off
	global_load_dword v38, v[34:35], off offset:40
	global_load_dword v39, v[4:5], off offset:36
	;; [unrolled: 1-line block ×6, first 2 shown]
	v_lshrrev_b32_e32 v22, 6, v24
	v_and_b32_e32 v23, 0x3030303, v22
	s_waitcnt vmcnt(7)
	v_dot4c_i32_i8 v42, v32, v36
	v_dot4c_i32_i8 v43, v31, v36
	v_mul_lo_u32 v42, v33, v42
	v_cvt_f32_i32_e32 v36, v43
	v_and_b32_e32 v24, 15, v21
	v_lshrrev_b32_e32 v21, 4, v21
	s_waitcnt vmcnt(6)
	v_fma_mix_f32 v36, v37, v36, 0 op_sel_hi:[1,0,0]
	v_cvt_f32_i32_e32 v42, v42
	v_mul_lo_u32 v22, 0x1010101, v21
	v_cvt_f32_f16_sdwa v21, v20 dst_sel:DWORD dst_unused:UNUSED_PAD src0_sel:WORD_1
	v_fma_mix_f32 v42, v37, v42, 0 op_sel_hi:[1,0,0]
	v_mov_b32_e32 v37, 0
	s_waitcnt vmcnt(5)
	v_dot4c_i32_i8 v37, v29, v38
	v_mul_lo_u32 v37, v30, v37
	v_cvt_f32_i32_e32 v37, v37
	s_waitcnt vmcnt(4)
	v_fma_mix_f32 v37, v39, v37, v42 op_sel_hi:[1,0,0]
	v_mov_b32_e32 v42, 0
	v_dot4c_i32_i8 v42, v28, v38
	v_cvt_f32_i32_e32 v38, v42
	v_fma_mix_f32 v36, v39, v38, v36 op_sel_hi:[1,0,0]
	v_mov_b32_e32 v38, 0
	s_waitcnt vmcnt(3)
	v_dot4c_i32_i8 v38, v26, v40
	v_mul_lo_u32 v38, v27, v38
	v_cvt_f32_i32_e32 v38, v38
	s_waitcnt vmcnt(2)
	v_fma_mix_f32 v37, v41, v38, v37 op_sel_hi:[1,0,0]
	v_mov_b32_e32 v38, 0
	v_dot4c_i32_i8 v38, v25, v40
	v_cvt_f32_i32_e32 v38, v38
	;; [unrolled: 11-line block ×3, first 2 shown]
	v_fma_mix_f32 v34, v35, v34, v36 op_sel_hi:[1,0,0]
	v_mul_f32_e32 v34, v34, v21
	v_fma_mix_f32 v34, v37, v20, -v34 op_sel_hi:[0,1,0]
	v_add_f32_e32 v12, v12, v34
	v_mad_u64_u32 v[34:35], null, v15, 36, v[2:3]
	v_add_nc_u32_e32 v15, 16, v15
	v_add_co_u32 v36, vcc_lo, v34, v19
	v_add_co_ci_u32_e64 v37, null, 0, v35, vcc_lo
	s_clause 0x7
	global_load_dword v38, v[36:37], off offset:4
	global_load_dword v39, v[34:35], off
	global_load_dword v40, v[36:37], off offset:40
	global_load_dword v41, v[34:35], off offset:36
	global_load_dword v42, v[36:37], off offset:76
	global_load_dword v43, v[34:35], off offset:72
	global_load_dword v36, v[36:37], off offset:112
	global_load_dword v34, v[34:35], off offset:108
	v_mov_b32_e32 v35, 0
	v_mov_b32_e32 v37, 0
	s_waitcnt vmcnt(7)
	v_dot4c_i32_i8 v35, v32, v38
	v_dot4c_i32_i8 v37, v31, v38
	v_mov_b32_e32 v38, 0
	v_mul_lo_u32 v35, v33, v35
	v_cvt_f32_i32_e32 v37, v37
	s_waitcnt vmcnt(5)
	v_dot4c_i32_i8 v38, v29, v40
	v_fma_mix_f32 v37, v39, v37, 0 op_sel_hi:[1,0,0]
	v_mul_lo_u32 v38, v30, v38
	v_cvt_f32_i32_e32 v35, v35
	v_fma_mix_f32 v35, v39, v35, 0 op_sel_hi:[1,0,0]
	v_cvt_f32_i32_e32 v38, v38
	s_waitcnt vmcnt(4)
	v_fma_mix_f32 v35, v41, v38, v35 op_sel_hi:[1,0,0]
	v_mov_b32_e32 v38, 0
	v_dot4c_i32_i8 v38, v28, v40
	v_cvt_f32_i32_e32 v38, v38
	v_fma_mix_f32 v37, v41, v38, v37 op_sel_hi:[1,0,0]
	v_mov_b32_e32 v38, 0
	s_waitcnt vmcnt(3)
	v_dot4c_i32_i8 v38, v26, v42
	v_mul_lo_u32 v38, v27, v38
	v_cvt_f32_i32_e32 v38, v38
	s_waitcnt vmcnt(2)
	v_fma_mix_f32 v35, v43, v38, v35 op_sel_hi:[1,0,0]
	v_mov_b32_e32 v38, 0
	v_dot4c_i32_i8 v38, v25, v42
	v_cvt_f32_i32_e32 v38, v38
	v_fma_mix_f32 v37, v43, v38, v37 op_sel_hi:[1,0,0]
	v_mov_b32_e32 v38, 0
	s_waitcnt vmcnt(1)
	v_dot4c_i32_i8 v38, v23, v36
	v_mul_lo_u32 v38, v24, v38
	v_cvt_f32_i32_e32 v38, v38
	s_waitcnt vmcnt(0)
	v_fma_mix_f32 v35, v34, v38, v35 op_sel_hi:[1,0,0]
	v_mov_b32_e32 v38, 0
	v_dot4c_i32_i8 v38, v22, v36
	v_cvt_f32_i32_e32 v36, v38
	v_fma_mix_f32 v34, v34, v36, v37 op_sel_hi:[1,0,0]
	v_mul_f32_e32 v34, v34, v21
	v_fma_mix_f32 v34, v35, v20, -v34 op_sel_hi:[0,1,0]
	v_add_f32_e32 v10, v10, v34
	v_mad_u64_u32 v[34:35], null, v16, 36, v[2:3]
	v_add_nc_u32_e32 v16, 16, v16
	v_add_co_u32 v36, vcc_lo, v34, v19
	v_add_co_ci_u32_e64 v37, null, 0, v35, vcc_lo
	s_clause 0x7
	global_load_dword v38, v[36:37], off offset:4
	global_load_dword v39, v[34:35], off
	global_load_dword v40, v[36:37], off offset:40
	global_load_dword v41, v[34:35], off offset:36
	global_load_dword v42, v[36:37], off offset:76
	global_load_dword v43, v[34:35], off offset:72
	global_load_dword v36, v[36:37], off offset:112
	global_load_dword v34, v[34:35], off offset:108
	v_mov_b32_e32 v35, 0
	v_mov_b32_e32 v37, 0
	s_waitcnt vmcnt(7)
	v_dot4c_i32_i8 v35, v32, v38
	v_dot4c_i32_i8 v37, v31, v38
	v_mov_b32_e32 v38, 0
	v_mul_lo_u32 v35, v33, v35
	v_cvt_f32_i32_e32 v37, v37
	s_waitcnt vmcnt(5)
	v_dot4c_i32_i8 v38, v29, v40
	v_fma_mix_f32 v37, v39, v37, 0 op_sel_hi:[1,0,0]
	v_mul_lo_u32 v38, v30, v38
	v_cvt_f32_i32_e32 v35, v35
	v_fma_mix_f32 v35, v39, v35, 0 op_sel_hi:[1,0,0]
	v_cvt_f32_i32_e32 v38, v38
	s_waitcnt vmcnt(4)
	v_fma_mix_f32 v35, v41, v38, v35 op_sel_hi:[1,0,0]
	v_mov_b32_e32 v38, 0
	v_dot4c_i32_i8 v38, v28, v40
	v_cvt_f32_i32_e32 v38, v38
	v_fma_mix_f32 v37, v41, v38, v37 op_sel_hi:[1,0,0]
	v_mov_b32_e32 v38, 0
	s_waitcnt vmcnt(3)
	v_dot4c_i32_i8 v38, v26, v42
	v_mul_lo_u32 v38, v27, v38
	v_cvt_f32_i32_e32 v38, v38
	s_waitcnt vmcnt(2)
	v_fma_mix_f32 v35, v43, v38, v35 op_sel_hi:[1,0,0]
	v_mov_b32_e32 v38, 0
	v_dot4c_i32_i8 v38, v25, v42
	v_cvt_f32_i32_e32 v38, v38
	v_fma_mix_f32 v37, v43, v38, v37 op_sel_hi:[1,0,0]
	v_mov_b32_e32 v38, 0
	s_waitcnt vmcnt(1)
	v_dot4c_i32_i8 v38, v23, v36
	v_mul_lo_u32 v38, v24, v38
	v_cvt_f32_i32_e32 v38, v38
	s_waitcnt vmcnt(0)
	v_fma_mix_f32 v35, v34, v38, v35 op_sel_hi:[1,0,0]
	v_mov_b32_e32 v38, 0
	v_dot4c_i32_i8 v38, v22, v36
	v_cvt_f32_i32_e32 v36, v38
	;; [unrolled: 59-line block ×3, first 2 shown]
	v_fma_mix_f32 v34, v34, v36, v37 op_sel_hi:[1,0,0]
	v_mul_f32_e32 v34, v34, v21
	v_fma_mix_f32 v34, v35, v20, -v34 op_sel_hi:[0,1,0]
	v_add_f32_e32 v7, v7, v34
	v_mad_u64_u32 v[34:35], null, v17, 36, v[2:3]
	v_add_nc_u32_e32 v17, 16, v17
	v_add_co_u32 v36, vcc_lo, v34, v19
	v_add_co_ci_u32_e64 v37, null, 0, v35, vcc_lo
	s_clause 0x7
	global_load_dword v38, v[36:37], off offset:4
	global_load_dword v39, v[34:35], off
	global_load_dword v40, v[36:37], off offset:40
	global_load_dword v41, v[34:35], off offset:36
	;; [unrolled: 1-line block ×6, first 2 shown]
	v_mov_b32_e32 v35, 0
	v_add_co_u32 v4, vcc_lo, 0x240, v4
	v_add_co_ci_u32_e64 v5, null, 0, v5, vcc_lo
	v_cmp_le_u32_e32 vcc_lo, s10, v11
	s_or_b32 s0, vcc_lo, s0
	s_waitcnt vmcnt(7)
	v_dot4c_i32_i8 v35, v32, v38
	v_mul_lo_u32 v32, v33, v35
	v_mov_b32_e32 v33, 0
	v_dot4c_i32_i8 v33, v31, v38
	v_cvt_f32_i32_e32 v32, v32
	v_cvt_f32_i32_e32 v31, v33
	v_mov_b32_e32 v33, 0
	s_waitcnt vmcnt(6)
	v_fma_mix_f32 v32, v39, v32, 0 op_sel_hi:[1,0,0]
	v_fma_mix_f32 v31, v39, v31, 0 op_sel_hi:[1,0,0]
	s_waitcnt vmcnt(5)
	v_dot4c_i32_i8 v33, v29, v40
	v_mul_lo_u32 v29, v30, v33
	v_mov_b32_e32 v30, 0
	v_dot4c_i32_i8 v30, v28, v40
	v_cvt_f32_i32_e32 v29, v29
	v_cvt_f32_i32_e32 v28, v30
	v_mov_b32_e32 v30, 0
	s_waitcnt vmcnt(4)
	v_fma_mix_f32 v29, v41, v29, v32 op_sel_hi:[1,0,0]
	v_fma_mix_f32 v28, v41, v28, v31 op_sel_hi:[1,0,0]
	;; [unrolled: 11-line block ×3, first 2 shown]
	s_waitcnt vmcnt(1)
	v_dot4c_i32_i8 v27, v23, v36
	v_mul_lo_u32 v23, v24, v27
	v_mov_b32_e32 v24, 0
	v_dot4c_i32_i8 v24, v22, v36
	v_cvt_f32_i32_e32 v23, v23
	v_cvt_f32_i32_e32 v22, v24
	s_waitcnt vmcnt(0)
	v_fma_mix_f32 v23, v34, v23, v26 op_sel_hi:[1,0,0]
	v_fma_mix_f32 v22, v34, v22, v25 op_sel_hi:[1,0,0]
	v_mul_f32_e32 v21, v22, v21
	v_fma_mix_f32 v20, v23, v20, -v21 op_sel_hi:[0,1,0]
	v_add_f32_e32 v8, v8, v20
	s_andn2_b32 exec_lo, exec_lo, s0
	s_cbranch_execnz .LBB104_2
; %bb.3:
	s_or_b32 exec_lo, exec_lo, s0
.LBB104_4:
	s_or_b32 exec_lo, exec_lo, s9
	s_mov_b32 s1, 0
	; wave barrier
	buffer_gl0_inv
	s_mov_b32 s0, exec_lo
	v_cmpx_eq_u32_e32 0, v1
	s_cbranch_execz .LBB104_15
; %bb.5:
	v_mbcnt_lo_u32_b32 v5, -1, 0
	s_load_dwordx2 s[4:5], s[4:5], 0x38
	s_mul_i32 s0, s14, s7
	s_mul_i32 s3, s18, s8
	s_add_i32 s0, s0, s6
	v_xor_b32_e32 v1, 16, v5
	v_xor_b32_e32 v2, 8, v5
	s_add_i32 s0, s0, s3
	s_lshl_b64 s[0:1], s[0:1], 2
	v_cmp_gt_i32_e32 vcc_lo, 32, v1
	v_cndmask_b32_e32 v1, v5, v1, vcc_lo
	v_cmp_gt_i32_e32 vcc_lo, 32, v2
	v_lshlrev_b32_e32 v1, 2, v1
	v_cndmask_b32_e32 v2, v5, v2, vcc_lo
	s_waitcnt lgkmcnt(0)
	s_add_u32 s0, s4, s0
	s_addc_u32 s1, s5, s1
	ds_bpermute_b32 v3, v1, v12
	v_lshlrev_b32_e32 v2, 2, v2
	s_waitcnt lgkmcnt(0)
	v_add_f32_e32 v4, v12, v3
	v_xor_b32_e32 v3, 4, v5
	v_xor_b32_e32 v12, 1, v5
	ds_bpermute_b32 v6, v2, v4
	v_cmp_gt_i32_e32 vcc_lo, 32, v3
	v_cndmask_b32_e32 v3, v5, v3, vcc_lo
	v_lshlrev_b32_e32 v3, 2, v3
	s_waitcnt lgkmcnt(0)
	v_add_f32_e32 v6, v4, v6
	v_xor_b32_e32 v4, 2, v5
	ds_bpermute_b32 v11, v3, v6
	v_cmp_gt_i32_e32 vcc_lo, 32, v4
	v_cndmask_b32_e32 v4, v5, v4, vcc_lo
	v_cmp_gt_i32_e32 vcc_lo, 32, v12
	v_lshlrev_b32_e32 v4, 2, v4
	v_cndmask_b32_e32 v5, v5, v12, vcc_lo
	v_cmp_eq_u32_e32 vcc_lo, 0, v0
	v_lshlrev_b32_e32 v5, 2, v5
	s_waitcnt lgkmcnt(0)
	v_add_f32_e32 v6, v6, v11
	ds_bpermute_b32 v11, v4, v6
	s_waitcnt lgkmcnt(0)
	v_add_f32_e32 v6, v6, v11
	ds_bpermute_b32 v11, v5, v6
	s_and_saveexec_b32 s3, vcc_lo
	s_cbranch_execz .LBB104_7
; %bb.6:
	s_waitcnt lgkmcnt(0)
	v_add_f32_e32 v0, v6, v11
	v_mov_b32_e32 v6, 0
	global_store_dword v6, v0, s[0:1]
.LBB104_7:
	s_or_b32 exec_lo, exec_lo, s3
	ds_bpermute_b32 v0, v1, v10
	s_waitcnt lgkmcnt(0)
	v_add_f32_e32 v0, v10, v0
	ds_bpermute_b32 v6, v2, v0
	s_waitcnt lgkmcnt(0)
	v_add_f32_e32 v0, v0, v6
	;; [unrolled: 3-line block ×4, first 2 shown]
	ds_bpermute_b32 v6, v5, v0
	s_and_saveexec_b32 s4, vcc_lo
	s_cbranch_execz .LBB104_9
; %bb.8:
	s_mov_b32 s3, 0
	s_waitcnt lgkmcnt(0)
	v_add_f32_e32 v0, v0, v6
	s_lshl_b64 s[6:7], s[2:3], 2
	v_mov_b32_e32 v6, 0
	s_add_u32 s6, s0, s6
	s_addc_u32 s7, s1, s7
	global_store_dword v6, v0, s[6:7]
.LBB104_9:
	s_or_b32 exec_lo, exec_lo, s4
	ds_bpermute_b32 v0, v1, v9
	s_waitcnt lgkmcnt(0)
	v_add_f32_e32 v0, v9, v0
	ds_bpermute_b32 v6, v2, v0
	s_waitcnt lgkmcnt(0)
	v_add_f32_e32 v0, v0, v6
	;; [unrolled: 3-line block ×4, first 2 shown]
	ds_bpermute_b32 v6, v5, v0
	s_and_saveexec_b32 s3, vcc_lo
	s_cbranch_execz .LBB104_11
; %bb.10:
	s_lshl_b32 s4, s2, 1
	s_mov_b32 s5, 0
	s_waitcnt lgkmcnt(0)
	v_add_f32_e32 v0, v0, v6
	s_lshl_b64 s[4:5], s[4:5], 2
	v_mov_b32_e32 v6, 0
	s_add_u32 s4, s0, s4
	s_addc_u32 s5, s1, s5
	global_store_dword v6, v0, s[4:5]
.LBB104_11:
	s_or_b32 exec_lo, exec_lo, s3
	ds_bpermute_b32 v0, v1, v7
	s_waitcnt lgkmcnt(0)
	v_add_f32_e32 v0, v7, v0
	ds_bpermute_b32 v6, v2, v0
	s_waitcnt lgkmcnt(0)
	v_add_f32_e32 v0, v0, v6
	;; [unrolled: 3-line block ×4, first 2 shown]
	ds_bpermute_b32 v6, v5, v0
	s_and_saveexec_b32 s3, vcc_lo
	s_cbranch_execz .LBB104_13
; %bb.12:
	s_mul_i32 s4, s2, 3
	s_mov_b32 s5, 0
	s_waitcnt lgkmcnt(0)
	v_add_f32_e32 v0, v0, v6
	s_lshl_b64 s[4:5], s[4:5], 2
	v_mov_b32_e32 v6, 0
	s_add_u32 s4, s0, s4
	s_addc_u32 s5, s1, s5
	global_store_dword v6, v0, s[4:5]
.LBB104_13:
	s_or_b32 exec_lo, exec_lo, s3
	ds_bpermute_b32 v0, v1, v8
	s_waitcnt lgkmcnt(0)
	v_add_f32_e32 v0, v8, v0
	ds_bpermute_b32 v1, v2, v0
	s_waitcnt lgkmcnt(0)
	v_add_f32_e32 v0, v0, v1
	;; [unrolled: 3-line block ×4, first 2 shown]
	ds_bpermute_b32 v1, v5, v0
	s_and_b32 exec_lo, exec_lo, vcc_lo
	s_cbranch_execz .LBB104_15
; %bb.14:
	s_lshl_b32 s2, s2, 2
	s_mov_b32 s3, 0
	s_waitcnt lgkmcnt(0)
	v_add_f32_e32 v0, v0, v1
	s_lshl_b64 s[2:3], s[2:3], 2
	v_mov_b32_e32 v1, 0
	s_add_u32 s0, s0, s2
	s_addc_u32 s1, s1, s3
	global_store_dword v1, v0, s[0:1]
.LBB104_15:
	s_endpgm
	.section	.rodata,"a",@progbits
	.p2align	6, 0x0
	.amdhsa_kernel _ZL13mul_mat_vec_qIL9ggml_type10ELi5ELb0ELb0EEvPKvS2_PKi31ggml_cuda_mm_fusion_args_devicePfj15HIP_vector_typeIjLj3EEjjjS8_jjjS8_jjjj
		.amdhsa_group_segment_fixed_size 0
		.amdhsa_private_segment_fixed_size 0
		.amdhsa_kernarg_size 144
		.amdhsa_user_sgpr_count 6
		.amdhsa_user_sgpr_private_segment_buffer 1
		.amdhsa_user_sgpr_dispatch_ptr 0
		.amdhsa_user_sgpr_queue_ptr 0
		.amdhsa_user_sgpr_kernarg_segment_ptr 1
		.amdhsa_user_sgpr_dispatch_id 0
		.amdhsa_user_sgpr_flat_scratch_init 0
		.amdhsa_user_sgpr_private_segment_size 0
		.amdhsa_wavefront_size32 1
		.amdhsa_uses_dynamic_stack 0
		.amdhsa_system_sgpr_private_segment_wavefront_offset 0
		.amdhsa_system_sgpr_workgroup_id_x 1
		.amdhsa_system_sgpr_workgroup_id_y 1
		.amdhsa_system_sgpr_workgroup_id_z 1
		.amdhsa_system_sgpr_workgroup_info 0
		.amdhsa_system_vgpr_workitem_id 1
		.amdhsa_next_free_vgpr 44
		.amdhsa_next_free_sgpr 26
		.amdhsa_reserve_vcc 1
		.amdhsa_reserve_flat_scratch 0
		.amdhsa_float_round_mode_32 0
		.amdhsa_float_round_mode_16_64 0
		.amdhsa_float_denorm_mode_32 3
		.amdhsa_float_denorm_mode_16_64 3
		.amdhsa_dx10_clamp 1
		.amdhsa_ieee_mode 1
		.amdhsa_fp16_overflow 0
		.amdhsa_workgroup_processor_mode 1
		.amdhsa_memory_ordered 1
		.amdhsa_forward_progress 1
		.amdhsa_shared_vgpr_count 0
		.amdhsa_exception_fp_ieee_invalid_op 0
		.amdhsa_exception_fp_denorm_src 0
		.amdhsa_exception_fp_ieee_div_zero 0
		.amdhsa_exception_fp_ieee_overflow 0
		.amdhsa_exception_fp_ieee_underflow 0
		.amdhsa_exception_fp_ieee_inexact 0
		.amdhsa_exception_int_div_zero 0
	.end_amdhsa_kernel
	.section	.text._ZL13mul_mat_vec_qIL9ggml_type10ELi5ELb0ELb0EEvPKvS2_PKi31ggml_cuda_mm_fusion_args_devicePfj15HIP_vector_typeIjLj3EEjjjS8_jjjS8_jjjj,"axG",@progbits,_ZL13mul_mat_vec_qIL9ggml_type10ELi5ELb0ELb0EEvPKvS2_PKi31ggml_cuda_mm_fusion_args_devicePfj15HIP_vector_typeIjLj3EEjjjS8_jjjS8_jjjj,comdat
.Lfunc_end104:
	.size	_ZL13mul_mat_vec_qIL9ggml_type10ELi5ELb0ELb0EEvPKvS2_PKi31ggml_cuda_mm_fusion_args_devicePfj15HIP_vector_typeIjLj3EEjjjS8_jjjS8_jjjj, .Lfunc_end104-_ZL13mul_mat_vec_qIL9ggml_type10ELi5ELb0ELb0EEvPKvS2_PKi31ggml_cuda_mm_fusion_args_devicePfj15HIP_vector_typeIjLj3EEjjjS8_jjjS8_jjjj
                                        ; -- End function
	.set _ZL13mul_mat_vec_qIL9ggml_type10ELi5ELb0ELb0EEvPKvS2_PKi31ggml_cuda_mm_fusion_args_devicePfj15HIP_vector_typeIjLj3EEjjjS8_jjjS8_jjjj.num_vgpr, 44
	.set _ZL13mul_mat_vec_qIL9ggml_type10ELi5ELb0ELb0EEvPKvS2_PKi31ggml_cuda_mm_fusion_args_devicePfj15HIP_vector_typeIjLj3EEjjjS8_jjjS8_jjjj.num_agpr, 0
	.set _ZL13mul_mat_vec_qIL9ggml_type10ELi5ELb0ELb0EEvPKvS2_PKi31ggml_cuda_mm_fusion_args_devicePfj15HIP_vector_typeIjLj3EEjjjS8_jjjS8_jjjj.numbered_sgpr, 26
	.set _ZL13mul_mat_vec_qIL9ggml_type10ELi5ELb0ELb0EEvPKvS2_PKi31ggml_cuda_mm_fusion_args_devicePfj15HIP_vector_typeIjLj3EEjjjS8_jjjS8_jjjj.num_named_barrier, 0
	.set _ZL13mul_mat_vec_qIL9ggml_type10ELi5ELb0ELb0EEvPKvS2_PKi31ggml_cuda_mm_fusion_args_devicePfj15HIP_vector_typeIjLj3EEjjjS8_jjjS8_jjjj.private_seg_size, 0
	.set _ZL13mul_mat_vec_qIL9ggml_type10ELi5ELb0ELb0EEvPKvS2_PKi31ggml_cuda_mm_fusion_args_devicePfj15HIP_vector_typeIjLj3EEjjjS8_jjjS8_jjjj.uses_vcc, 1
	.set _ZL13mul_mat_vec_qIL9ggml_type10ELi5ELb0ELb0EEvPKvS2_PKi31ggml_cuda_mm_fusion_args_devicePfj15HIP_vector_typeIjLj3EEjjjS8_jjjS8_jjjj.uses_flat_scratch, 0
	.set _ZL13mul_mat_vec_qIL9ggml_type10ELi5ELb0ELb0EEvPKvS2_PKi31ggml_cuda_mm_fusion_args_devicePfj15HIP_vector_typeIjLj3EEjjjS8_jjjS8_jjjj.has_dyn_sized_stack, 0
	.set _ZL13mul_mat_vec_qIL9ggml_type10ELi5ELb0ELb0EEvPKvS2_PKi31ggml_cuda_mm_fusion_args_devicePfj15HIP_vector_typeIjLj3EEjjjS8_jjjS8_jjjj.has_recursion, 0
	.set _ZL13mul_mat_vec_qIL9ggml_type10ELi5ELb0ELb0EEvPKvS2_PKi31ggml_cuda_mm_fusion_args_devicePfj15HIP_vector_typeIjLj3EEjjjS8_jjjS8_jjjj.has_indirect_call, 0
	.section	.AMDGPU.csdata,"",@progbits
; Kernel info:
; codeLenInByte = 3068
; TotalNumSgprs: 28
; NumVgprs: 44
; ScratchSize: 0
; MemoryBound: 0
; FloatMode: 240
; IeeeMode: 1
; LDSByteSize: 0 bytes/workgroup (compile time only)
; SGPRBlocks: 0
; VGPRBlocks: 5
; NumSGPRsForWavesPerEU: 28
; NumVGPRsForWavesPerEU: 44
; Occupancy: 16
; WaveLimiterHint : 0
; COMPUTE_PGM_RSRC2:SCRATCH_EN: 0
; COMPUTE_PGM_RSRC2:USER_SGPR: 6
; COMPUTE_PGM_RSRC2:TRAP_HANDLER: 0
; COMPUTE_PGM_RSRC2:TGID_X_EN: 1
; COMPUTE_PGM_RSRC2:TGID_Y_EN: 1
; COMPUTE_PGM_RSRC2:TGID_Z_EN: 1
; COMPUTE_PGM_RSRC2:TIDIG_COMP_CNT: 1
	.section	.text._ZL13mul_mat_vec_qIL9ggml_type10ELi6ELb0ELb0EEvPKvS2_PKi31ggml_cuda_mm_fusion_args_devicePfj15HIP_vector_typeIjLj3EEjjjS8_jjjS8_jjjj,"axG",@progbits,_ZL13mul_mat_vec_qIL9ggml_type10ELi6ELb0ELb0EEvPKvS2_PKi31ggml_cuda_mm_fusion_args_devicePfj15HIP_vector_typeIjLj3EEjjjS8_jjjS8_jjjj,comdat
	.globl	_ZL13mul_mat_vec_qIL9ggml_type10ELi6ELb0ELb0EEvPKvS2_PKi31ggml_cuda_mm_fusion_args_devicePfj15HIP_vector_typeIjLj3EEjjjS8_jjjS8_jjjj ; -- Begin function _ZL13mul_mat_vec_qIL9ggml_type10ELi6ELb0ELb0EEvPKvS2_PKi31ggml_cuda_mm_fusion_args_devicePfj15HIP_vector_typeIjLj3EEjjjS8_jjjS8_jjjj
	.p2align	8
	.type	_ZL13mul_mat_vec_qIL9ggml_type10ELi6ELb0ELb0EEvPKvS2_PKi31ggml_cuda_mm_fusion_args_devicePfj15HIP_vector_typeIjLj3EEjjjS8_jjjS8_jjjj,@function
_ZL13mul_mat_vec_qIL9ggml_type10ELi6ELb0ELb0EEvPKvS2_PKi31ggml_cuda_mm_fusion_args_devicePfj15HIP_vector_typeIjLj3EEjjjS8_jjjS8_jjjj: ; @_ZL13mul_mat_vec_qIL9ggml_type10ELi6ELb0ELb0EEvPKvS2_PKi31ggml_cuda_mm_fusion_args_devicePfj15HIP_vector_typeIjLj3EEjjjS8_jjjS8_jjjj
; %bb.0:
	s_clause 0x5
	s_load_dword s9, s[4:5], 0x40
	s_load_dwordx4 s[0:3], s[4:5], 0x50
	s_load_dword s11, s[4:5], 0x60
	s_load_dwordx4 s[12:15], s[4:5], 0x68
	;; [unrolled: 2-line block ×3, first 2 shown]
	v_lshl_or_b32 v2, v1, 5, v0
	v_mov_b32_e32 v9, 0
	v_mov_b32_e32 v8, 0
	;; [unrolled: 1-line block ×4, first 2 shown]
	v_lshrrev_b32_e32 v13, 4, v2
	v_mov_b32_e32 v12, 0
	v_mov_b32_e32 v14, 0
	s_waitcnt lgkmcnt(0)
	s_lshr_b32 s10, s9, 8
	s_mov_b32 s9, exec_lo
	v_cmpx_gt_u32_e64 s10, v13
	s_cbranch_execz .LBB105_4
; %bb.1:
	s_load_dwordx4 s[20:23], s[4:5], 0x0
	v_bfe_u32 v2, v0, 3, 1
	s_mul_hi_u32 s3, s3, s7
	v_lshrrev_b32_e32 v4, 1, v0
	s_mul_hi_u32 s15, s15, s8
	s_mul_i32 s17, s17, s8
	v_mul_hi_u32_u24_e32 v3, 0x90, v2
	v_mul_u32_u24_e32 v2, 0x90, v2
	s_add_i32 s3, s7, s3
	s_add_i32 s15, s8, s15
	s_mul_i32 s13, s13, s7
	s_mul_hi_u32 s19, s17, 36
	s_mul_i32 s17, s17, 36
	s_lshr_b32 s3, s3, s11
	s_lshr_b32 s11, s15, s24
	v_and_b32_e32 v6, 4, v4
	v_mad_u64_u32 v[4:5], null, 0x120, v13, v[2:3]
	s_mul_hi_u32 s25, s13, 36
	s_mul_i32 s13, s13, 36
	s_mul_i32 s3, s3, s12
	s_waitcnt lgkmcnt(0)
	s_add_u32 s12, s22, s17
	v_bfe_u32 v7, v0, 2, 1
	v_mov_b32_e32 v9, 0
	v_lshlrev_b32_e32 v8, 3, v13
	s_addc_u32 s15, s23, s19
	s_add_u32 s12, s12, s13
	s_addc_u32 s13, s15, s25
	v_and_b32_e32 v10, 15, v0
	v_and_b32_e32 v11, 7, v0
	v_mad_u64_u32 v[2:3], null, v6, 36, s[12:13]
	v_and_or_b32 v15, v0, 8, v7
	v_mad_u64_u32 v[6:7], null, s1, 3, v[8:9]
	v_add_nc_u32_e32 v17, s1, v8
	v_lshl_add_u32 v18, s1, 1, v8
	v_lshl_add_u32 v19, s1, 2, v8
	v_mad_u64_u32 v[7:8], null, s1, 5, v[8:9]
	v_add_co_u32 v4, vcc_lo, s12, v4
	s_mul_i32 s0, s0, s6
	v_lshlrev_b32_e32 v16, 2, v11
	v_add_co_ci_u32_e64 v5, null, s13, v5, vcc_lo
	v_lshlrev_b32_e32 v20, 2, v10
	v_lshlrev_b32_e32 v21, 2, v11
	v_mov_b32_e32 v8, 0
	v_mov_b32_e32 v10, 0
	;; [unrolled: 1-line block ×5, first 2 shown]
	s_mul_i32 s11, s11, s16
	s_add_i32 s3, s3, s0
	s_mov_b32 s0, 0
	s_add_i32 s1, s11, s3
.LBB105_2:                              ; =>This Inner Loop Header: Depth=1
	v_add_nc_u32_e32 v22, s1, v13
	v_mov_b32_e32 v44, 0
	v_mov_b32_e32 v45, 0
	v_add_nc_u32_e32 v13, 2, v13
	v_mad_i64_i32 v[22:23], null, 0x54, v22, s[20:21]
	v_add_co_u32 v24, vcc_lo, v22, v20
	v_add_co_ci_u32_e64 v25, null, 0, v23, vcc_lo
	global_load_dword v26, v[24:25], off offset:16
	v_add_co_u32 v24, vcc_lo, v22, v15
	v_add_co_ci_u32_e64 v25, null, 0, v23, vcc_lo
	v_add_co_u32 v36, vcc_lo, v4, v16
	s_clause 0x1
	global_load_dword v22, v[22:23], off offset:80
	global_load_ubyte v23, v[24:25], off
	v_add_co_ci_u32_e64 v37, null, 0, v5, vcc_lo
	s_waitcnt vmcnt(2)
	v_lshrrev_b32_e32 v27, 2, v26
	v_and_b32_e32 v34, 0x3030303, v26
	v_and_b32_e32 v31, 0x3030303, v27
	v_lshrrev_b32_e32 v27, 4, v26
	s_waitcnt vmcnt(0)
	v_and_b32_e32 v35, 15, v23
	v_lshrrev_b32_e32 v23, 4, v23
	v_and_b32_e32 v28, 0x3030303, v27
	v_mul_lo_u32 v33, 0x1010101, v23
	global_load_ubyte v23, v[24:25], off offset:2
	s_waitcnt vmcnt(0)
	v_and_b32_e32 v32, 15, v23
	v_lshrrev_b32_e32 v23, 4, v23
	v_mul_lo_u32 v30, 0x1010101, v23
	global_load_ubyte v23, v[24:25], off offset:4
	s_waitcnt vmcnt(0)
	v_and_b32_e32 v29, 15, v23
	v_lshrrev_b32_e32 v23, 4, v23
	v_mul_lo_u32 v27, 0x1010101, v23
	global_load_ubyte v23, v[24:25], off offset:6
	s_clause 0x7
	global_load_dword v38, v[36:37], off offset:4
	global_load_dword v39, v[4:5], off
	global_load_dword v40, v[36:37], off offset:40
	global_load_dword v41, v[4:5], off offset:36
	;; [unrolled: 1-line block ×6, first 2 shown]
	v_lshrrev_b32_e32 v24, 6, v26
	v_and_b32_e32 v25, 0x3030303, v24
	s_waitcnt vmcnt(7)
	v_dot4c_i32_i8 v44, v34, v38
	v_dot4c_i32_i8 v45, v33, v38
	v_mul_lo_u32 v44, v35, v44
	v_cvt_f32_i32_e32 v38, v45
	v_and_b32_e32 v26, 15, v23
	v_lshrrev_b32_e32 v23, 4, v23
	s_waitcnt vmcnt(6)
	v_fma_mix_f32 v38, v39, v38, 0 op_sel_hi:[1,0,0]
	v_cvt_f32_i32_e32 v44, v44
	v_mul_lo_u32 v24, 0x1010101, v23
	v_cvt_f32_f16_sdwa v23, v22 dst_sel:DWORD dst_unused:UNUSED_PAD src0_sel:WORD_1
	v_fma_mix_f32 v44, v39, v44, 0 op_sel_hi:[1,0,0]
	v_mov_b32_e32 v39, 0
	s_waitcnt vmcnt(5)
	v_dot4c_i32_i8 v39, v31, v40
	v_mul_lo_u32 v39, v32, v39
	v_cvt_f32_i32_e32 v39, v39
	s_waitcnt vmcnt(4)
	v_fma_mix_f32 v39, v41, v39, v44 op_sel_hi:[1,0,0]
	v_mov_b32_e32 v44, 0
	v_dot4c_i32_i8 v44, v30, v40
	v_cvt_f32_i32_e32 v40, v44
	v_fma_mix_f32 v38, v41, v40, v38 op_sel_hi:[1,0,0]
	v_mov_b32_e32 v40, 0
	s_waitcnt vmcnt(3)
	v_dot4c_i32_i8 v40, v28, v42
	v_mul_lo_u32 v40, v29, v40
	v_cvt_f32_i32_e32 v40, v40
	s_waitcnt vmcnt(2)
	v_fma_mix_f32 v39, v43, v40, v39 op_sel_hi:[1,0,0]
	v_mov_b32_e32 v40, 0
	v_dot4c_i32_i8 v40, v27, v42
	v_cvt_f32_i32_e32 v40, v40
	;; [unrolled: 11-line block ×3, first 2 shown]
	v_fma_mix_f32 v36, v37, v36, v38 op_sel_hi:[1,0,0]
	v_mul_f32_e32 v36, v36, v23
	v_fma_mix_f32 v36, v39, v22, -v36 op_sel_hi:[0,1,0]
	v_add_f32_e32 v14, v14, v36
	v_mad_u64_u32 v[36:37], null, v17, 36, v[2:3]
	v_add_nc_u32_e32 v17, 16, v17
	v_add_co_u32 v38, vcc_lo, v36, v21
	v_add_co_ci_u32_e64 v39, null, 0, v37, vcc_lo
	s_clause 0x7
	global_load_dword v40, v[38:39], off offset:4
	global_load_dword v41, v[36:37], off
	global_load_dword v42, v[38:39], off offset:40
	global_load_dword v43, v[36:37], off offset:36
	global_load_dword v44, v[38:39], off offset:76
	global_load_dword v45, v[36:37], off offset:72
	global_load_dword v38, v[38:39], off offset:112
	global_load_dword v36, v[36:37], off offset:108
	v_mov_b32_e32 v37, 0
	v_mov_b32_e32 v39, 0
	s_waitcnt vmcnt(7)
	v_dot4c_i32_i8 v37, v34, v40
	v_dot4c_i32_i8 v39, v33, v40
	v_mov_b32_e32 v40, 0
	v_mul_lo_u32 v37, v35, v37
	v_cvt_f32_i32_e32 v39, v39
	s_waitcnt vmcnt(5)
	v_dot4c_i32_i8 v40, v31, v42
	v_fma_mix_f32 v39, v41, v39, 0 op_sel_hi:[1,0,0]
	v_mul_lo_u32 v40, v32, v40
	v_cvt_f32_i32_e32 v37, v37
	v_fma_mix_f32 v37, v41, v37, 0 op_sel_hi:[1,0,0]
	v_cvt_f32_i32_e32 v40, v40
	s_waitcnt vmcnt(4)
	v_fma_mix_f32 v37, v43, v40, v37 op_sel_hi:[1,0,0]
	v_mov_b32_e32 v40, 0
	v_dot4c_i32_i8 v40, v30, v42
	v_cvt_f32_i32_e32 v40, v40
	v_fma_mix_f32 v39, v43, v40, v39 op_sel_hi:[1,0,0]
	v_mov_b32_e32 v40, 0
	s_waitcnt vmcnt(3)
	v_dot4c_i32_i8 v40, v28, v44
	v_mul_lo_u32 v40, v29, v40
	v_cvt_f32_i32_e32 v40, v40
	s_waitcnt vmcnt(2)
	v_fma_mix_f32 v37, v45, v40, v37 op_sel_hi:[1,0,0]
	v_mov_b32_e32 v40, 0
	v_dot4c_i32_i8 v40, v27, v44
	v_cvt_f32_i32_e32 v40, v40
	v_fma_mix_f32 v39, v45, v40, v39 op_sel_hi:[1,0,0]
	v_mov_b32_e32 v40, 0
	s_waitcnt vmcnt(1)
	v_dot4c_i32_i8 v40, v25, v38
	v_mul_lo_u32 v40, v26, v40
	v_cvt_f32_i32_e32 v40, v40
	s_waitcnt vmcnt(0)
	v_fma_mix_f32 v37, v36, v40, v37 op_sel_hi:[1,0,0]
	v_mov_b32_e32 v40, 0
	v_dot4c_i32_i8 v40, v24, v38
	v_cvt_f32_i32_e32 v38, v40
	v_fma_mix_f32 v36, v36, v38, v39 op_sel_hi:[1,0,0]
	v_mul_f32_e32 v36, v36, v23
	v_fma_mix_f32 v36, v37, v22, -v36 op_sel_hi:[0,1,0]
	v_add_f32_e32 v12, v12, v36
	v_mad_u64_u32 v[36:37], null, v18, 36, v[2:3]
	v_add_nc_u32_e32 v18, 16, v18
	v_add_co_u32 v38, vcc_lo, v36, v21
	v_add_co_ci_u32_e64 v39, null, 0, v37, vcc_lo
	s_clause 0x7
	global_load_dword v40, v[38:39], off offset:4
	global_load_dword v41, v[36:37], off
	global_load_dword v42, v[38:39], off offset:40
	global_load_dword v43, v[36:37], off offset:36
	global_load_dword v44, v[38:39], off offset:76
	global_load_dword v45, v[36:37], off offset:72
	global_load_dword v38, v[38:39], off offset:112
	global_load_dword v36, v[36:37], off offset:108
	v_mov_b32_e32 v37, 0
	v_mov_b32_e32 v39, 0
	s_waitcnt vmcnt(7)
	v_dot4c_i32_i8 v37, v34, v40
	v_dot4c_i32_i8 v39, v33, v40
	v_mov_b32_e32 v40, 0
	v_mul_lo_u32 v37, v35, v37
	v_cvt_f32_i32_e32 v39, v39
	s_waitcnt vmcnt(5)
	v_dot4c_i32_i8 v40, v31, v42
	v_fma_mix_f32 v39, v41, v39, 0 op_sel_hi:[1,0,0]
	v_mul_lo_u32 v40, v32, v40
	v_cvt_f32_i32_e32 v37, v37
	v_fma_mix_f32 v37, v41, v37, 0 op_sel_hi:[1,0,0]
	v_cvt_f32_i32_e32 v40, v40
	s_waitcnt vmcnt(4)
	v_fma_mix_f32 v37, v43, v40, v37 op_sel_hi:[1,0,0]
	v_mov_b32_e32 v40, 0
	v_dot4c_i32_i8 v40, v30, v42
	v_cvt_f32_i32_e32 v40, v40
	v_fma_mix_f32 v39, v43, v40, v39 op_sel_hi:[1,0,0]
	v_mov_b32_e32 v40, 0
	s_waitcnt vmcnt(3)
	v_dot4c_i32_i8 v40, v28, v44
	v_mul_lo_u32 v40, v29, v40
	v_cvt_f32_i32_e32 v40, v40
	s_waitcnt vmcnt(2)
	v_fma_mix_f32 v37, v45, v40, v37 op_sel_hi:[1,0,0]
	v_mov_b32_e32 v40, 0
	v_dot4c_i32_i8 v40, v27, v44
	v_cvt_f32_i32_e32 v40, v40
	v_fma_mix_f32 v39, v45, v40, v39 op_sel_hi:[1,0,0]
	v_mov_b32_e32 v40, 0
	s_waitcnt vmcnt(1)
	v_dot4c_i32_i8 v40, v25, v38
	v_mul_lo_u32 v40, v26, v40
	v_cvt_f32_i32_e32 v40, v40
	s_waitcnt vmcnt(0)
	v_fma_mix_f32 v37, v36, v40, v37 op_sel_hi:[1,0,0]
	v_mov_b32_e32 v40, 0
	v_dot4c_i32_i8 v40, v24, v38
	v_cvt_f32_i32_e32 v38, v40
	;; [unrolled: 59-line block ×4, first 2 shown]
	v_fma_mix_f32 v36, v36, v38, v39 op_sel_hi:[1,0,0]
	v_mul_f32_e32 v36, v36, v23
	v_fma_mix_f32 v36, v37, v22, -v36 op_sel_hi:[0,1,0]
	v_add_f32_e32 v8, v8, v36
	v_mad_u64_u32 v[36:37], null, v7, 36, v[2:3]
	v_add_nc_u32_e32 v7, 16, v7
	v_add_co_u32 v38, vcc_lo, v36, v21
	v_add_co_ci_u32_e64 v39, null, 0, v37, vcc_lo
	s_clause 0x7
	global_load_dword v40, v[38:39], off offset:4
	global_load_dword v41, v[36:37], off
	global_load_dword v42, v[38:39], off offset:40
	global_load_dword v43, v[36:37], off offset:36
	;; [unrolled: 1-line block ×6, first 2 shown]
	v_mov_b32_e32 v37, 0
	v_add_co_u32 v4, vcc_lo, 0x240, v4
	v_add_co_ci_u32_e64 v5, null, 0, v5, vcc_lo
	v_cmp_le_u32_e32 vcc_lo, s10, v13
	s_or_b32 s0, vcc_lo, s0
	s_waitcnt vmcnt(7)
	v_dot4c_i32_i8 v37, v34, v40
	v_mul_lo_u32 v34, v35, v37
	v_mov_b32_e32 v35, 0
	v_dot4c_i32_i8 v35, v33, v40
	v_cvt_f32_i32_e32 v34, v34
	v_cvt_f32_i32_e32 v33, v35
	v_mov_b32_e32 v35, 0
	s_waitcnt vmcnt(6)
	v_fma_mix_f32 v34, v41, v34, 0 op_sel_hi:[1,0,0]
	v_fma_mix_f32 v33, v41, v33, 0 op_sel_hi:[1,0,0]
	s_waitcnt vmcnt(5)
	v_dot4c_i32_i8 v35, v31, v42
	v_mul_lo_u32 v31, v32, v35
	v_mov_b32_e32 v32, 0
	v_dot4c_i32_i8 v32, v30, v42
	v_cvt_f32_i32_e32 v31, v31
	v_cvt_f32_i32_e32 v30, v32
	v_mov_b32_e32 v32, 0
	s_waitcnt vmcnt(4)
	v_fma_mix_f32 v31, v43, v31, v34 op_sel_hi:[1,0,0]
	v_fma_mix_f32 v30, v43, v30, v33 op_sel_hi:[1,0,0]
	;; [unrolled: 11-line block ×3, first 2 shown]
	s_waitcnt vmcnt(1)
	v_dot4c_i32_i8 v29, v25, v38
	v_mul_lo_u32 v25, v26, v29
	v_mov_b32_e32 v26, 0
	v_dot4c_i32_i8 v26, v24, v38
	v_cvt_f32_i32_e32 v25, v25
	v_cvt_f32_i32_e32 v24, v26
	s_waitcnt vmcnt(0)
	v_fma_mix_f32 v25, v36, v25, v28 op_sel_hi:[1,0,0]
	v_fma_mix_f32 v24, v36, v24, v27 op_sel_hi:[1,0,0]
	v_mul_f32_e32 v23, v24, v23
	v_fma_mix_f32 v22, v25, v22, -v23 op_sel_hi:[0,1,0]
	v_add_f32_e32 v9, v9, v22
	s_andn2_b32 exec_lo, exec_lo, s0
	s_cbranch_execnz .LBB105_2
; %bb.3:
	s_or_b32 exec_lo, exec_lo, s0
.LBB105_4:
	s_or_b32 exec_lo, exec_lo, s9
	s_mov_b32 s1, 0
	; wave barrier
	buffer_gl0_inv
	s_mov_b32 s0, exec_lo
	v_cmpx_eq_u32_e32 0, v1
	s_cbranch_execz .LBB105_17
; %bb.5:
	v_mbcnt_lo_u32_b32 v5, -1, 0
	s_load_dwordx2 s[4:5], s[4:5], 0x38
	s_mul_i32 s0, s14, s7
	s_mul_i32 s3, s18, s8
	s_add_i32 s0, s0, s6
	v_xor_b32_e32 v1, 16, v5
	v_xor_b32_e32 v2, 8, v5
	;; [unrolled: 1-line block ×3, first 2 shown]
	s_add_i32 s0, s0, s3
	s_lshl_b64 s[0:1], s[0:1], 2
	v_cmp_gt_i32_e32 vcc_lo, 32, v1
	v_cndmask_b32_e32 v1, v5, v1, vcc_lo
	v_cmp_gt_i32_e32 vcc_lo, 32, v2
	v_lshlrev_b32_e32 v1, 2, v1
	v_cndmask_b32_e32 v2, v5, v2, vcc_lo
	s_waitcnt lgkmcnt(0)
	s_add_u32 s0, s4, s0
	s_addc_u32 s1, s5, s1
	ds_bpermute_b32 v3, v1, v14
	v_lshlrev_b32_e32 v2, 2, v2
	s_waitcnt lgkmcnt(0)
	v_add_f32_e32 v4, v14, v3
	v_xor_b32_e32 v3, 4, v5
	ds_bpermute_b32 v6, v2, v4
	v_cmp_gt_i32_e32 vcc_lo, 32, v3
	v_cndmask_b32_e32 v3, v5, v3, vcc_lo
	v_lshlrev_b32_e32 v3, 2, v3
	s_waitcnt lgkmcnt(0)
	v_add_f32_e32 v6, v4, v6
	v_xor_b32_e32 v4, 2, v5
	ds_bpermute_b32 v7, v3, v6
	v_cmp_gt_i32_e32 vcc_lo, 32, v4
	v_cndmask_b32_e32 v4, v5, v4, vcc_lo
	v_cmp_gt_i32_e32 vcc_lo, 32, v13
	v_lshlrev_b32_e32 v4, 2, v4
	v_cndmask_b32_e32 v5, v5, v13, vcc_lo
	v_cmp_eq_u32_e32 vcc_lo, 0, v0
	v_lshlrev_b32_e32 v5, 2, v5
	s_waitcnt lgkmcnt(0)
	v_add_f32_e32 v6, v6, v7
	ds_bpermute_b32 v7, v4, v6
	s_waitcnt lgkmcnt(0)
	v_add_f32_e32 v6, v6, v7
	ds_bpermute_b32 v7, v5, v6
	s_and_saveexec_b32 s3, vcc_lo
	s_cbranch_execz .LBB105_7
; %bb.6:
	s_waitcnt lgkmcnt(0)
	v_add_f32_e32 v0, v6, v7
	v_mov_b32_e32 v6, 0
	global_store_dword v6, v0, s[0:1]
.LBB105_7:
	s_or_b32 exec_lo, exec_lo, s3
	ds_bpermute_b32 v0, v1, v12
	s_waitcnt lgkmcnt(0)
	v_add_f32_e32 v0, v12, v0
	ds_bpermute_b32 v6, v2, v0
	s_waitcnt lgkmcnt(0)
	v_add_f32_e32 v0, v0, v6
	;; [unrolled: 3-line block ×4, first 2 shown]
	ds_bpermute_b32 v6, v5, v0
	s_and_saveexec_b32 s4, vcc_lo
	s_cbranch_execz .LBB105_9
; %bb.8:
	s_mov_b32 s3, 0
	s_waitcnt lgkmcnt(0)
	v_add_f32_e32 v0, v0, v6
	s_lshl_b64 s[6:7], s[2:3], 2
	v_mov_b32_e32 v6, 0
	s_add_u32 s6, s0, s6
	s_addc_u32 s7, s1, s7
	global_store_dword v6, v0, s[6:7]
.LBB105_9:
	s_or_b32 exec_lo, exec_lo, s4
	ds_bpermute_b32 v0, v1, v11
	s_waitcnt lgkmcnt(0)
	v_add_f32_e32 v0, v11, v0
	ds_bpermute_b32 v6, v2, v0
	s_waitcnt lgkmcnt(0)
	v_add_f32_e32 v0, v0, v6
	;; [unrolled: 3-line block ×4, first 2 shown]
	ds_bpermute_b32 v6, v5, v0
	s_and_saveexec_b32 s3, vcc_lo
	s_cbranch_execz .LBB105_11
; %bb.10:
	s_lshl_b32 s4, s2, 1
	s_mov_b32 s5, 0
	s_waitcnt lgkmcnt(0)
	v_add_f32_e32 v0, v0, v6
	s_lshl_b64 s[4:5], s[4:5], 2
	v_mov_b32_e32 v6, 0
	s_add_u32 s4, s0, s4
	s_addc_u32 s5, s1, s5
	global_store_dword v6, v0, s[4:5]
.LBB105_11:
	s_or_b32 exec_lo, exec_lo, s3
	ds_bpermute_b32 v0, v1, v10
	s_waitcnt lgkmcnt(0)
	v_add_f32_e32 v0, v10, v0
	ds_bpermute_b32 v6, v2, v0
	s_waitcnt lgkmcnt(0)
	v_add_f32_e32 v0, v0, v6
	;; [unrolled: 3-line block ×4, first 2 shown]
	ds_bpermute_b32 v6, v5, v0
	s_and_saveexec_b32 s3, vcc_lo
	s_cbranch_execz .LBB105_13
; %bb.12:
	s_mul_i32 s4, s2, 3
	s_mov_b32 s5, 0
	s_waitcnt lgkmcnt(0)
	v_add_f32_e32 v0, v0, v6
	s_lshl_b64 s[4:5], s[4:5], 2
	v_mov_b32_e32 v6, 0
	s_add_u32 s4, s0, s4
	s_addc_u32 s5, s1, s5
	global_store_dword v6, v0, s[4:5]
.LBB105_13:
	s_or_b32 exec_lo, exec_lo, s3
	ds_bpermute_b32 v0, v1, v8
	s_waitcnt lgkmcnt(0)
	v_add_f32_e32 v0, v8, v0
	ds_bpermute_b32 v6, v2, v0
	s_waitcnt lgkmcnt(0)
	v_add_f32_e32 v0, v0, v6
	;; [unrolled: 3-line block ×4, first 2 shown]
	ds_bpermute_b32 v6, v5, v0
	s_and_saveexec_b32 s3, vcc_lo
	s_cbranch_execz .LBB105_15
; %bb.14:
	s_lshl_b32 s4, s2, 2
	s_mov_b32 s5, 0
	s_waitcnt lgkmcnt(0)
	v_add_f32_e32 v0, v0, v6
	s_lshl_b64 s[4:5], s[4:5], 2
	v_mov_b32_e32 v6, 0
	s_add_u32 s4, s0, s4
	s_addc_u32 s5, s1, s5
	global_store_dword v6, v0, s[4:5]
.LBB105_15:
	s_or_b32 exec_lo, exec_lo, s3
	ds_bpermute_b32 v0, v1, v9
	s_waitcnt lgkmcnt(0)
	v_add_f32_e32 v0, v9, v0
	ds_bpermute_b32 v1, v2, v0
	s_waitcnt lgkmcnt(0)
	v_add_f32_e32 v0, v0, v1
	ds_bpermute_b32 v1, v3, v0
	s_waitcnt lgkmcnt(0)
	v_add_f32_e32 v0, v0, v1
	ds_bpermute_b32 v1, v4, v0
	s_waitcnt lgkmcnt(0)
	v_add_f32_e32 v0, v0, v1
	ds_bpermute_b32 v1, v5, v0
	s_and_b32 exec_lo, exec_lo, vcc_lo
	s_cbranch_execz .LBB105_17
; %bb.16:
	s_mul_i32 s2, s2, 5
	s_mov_b32 s3, 0
	s_waitcnt lgkmcnt(0)
	v_add_f32_e32 v0, v0, v1
	s_lshl_b64 s[2:3], s[2:3], 2
	v_mov_b32_e32 v1, 0
	s_add_u32 s0, s0, s2
	s_addc_u32 s1, s1, s3
	global_store_dword v1, v0, s[0:1]
.LBB105_17:
	s_endpgm
	.section	.rodata,"a",@progbits
	.p2align	6, 0x0
	.amdhsa_kernel _ZL13mul_mat_vec_qIL9ggml_type10ELi6ELb0ELb0EEvPKvS2_PKi31ggml_cuda_mm_fusion_args_devicePfj15HIP_vector_typeIjLj3EEjjjS8_jjjS8_jjjj
		.amdhsa_group_segment_fixed_size 0
		.amdhsa_private_segment_fixed_size 0
		.amdhsa_kernarg_size 144
		.amdhsa_user_sgpr_count 6
		.amdhsa_user_sgpr_private_segment_buffer 1
		.amdhsa_user_sgpr_dispatch_ptr 0
		.amdhsa_user_sgpr_queue_ptr 0
		.amdhsa_user_sgpr_kernarg_segment_ptr 1
		.amdhsa_user_sgpr_dispatch_id 0
		.amdhsa_user_sgpr_flat_scratch_init 0
		.amdhsa_user_sgpr_private_segment_size 0
		.amdhsa_wavefront_size32 1
		.amdhsa_uses_dynamic_stack 0
		.amdhsa_system_sgpr_private_segment_wavefront_offset 0
		.amdhsa_system_sgpr_workgroup_id_x 1
		.amdhsa_system_sgpr_workgroup_id_y 1
		.amdhsa_system_sgpr_workgroup_id_z 1
		.amdhsa_system_sgpr_workgroup_info 0
		.amdhsa_system_vgpr_workitem_id 1
		.amdhsa_next_free_vgpr 46
		.amdhsa_next_free_sgpr 26
		.amdhsa_reserve_vcc 1
		.amdhsa_reserve_flat_scratch 0
		.amdhsa_float_round_mode_32 0
		.amdhsa_float_round_mode_16_64 0
		.amdhsa_float_denorm_mode_32 3
		.amdhsa_float_denorm_mode_16_64 3
		.amdhsa_dx10_clamp 1
		.amdhsa_ieee_mode 1
		.amdhsa_fp16_overflow 0
		.amdhsa_workgroup_processor_mode 1
		.amdhsa_memory_ordered 1
		.amdhsa_forward_progress 1
		.amdhsa_shared_vgpr_count 0
		.amdhsa_exception_fp_ieee_invalid_op 0
		.amdhsa_exception_fp_denorm_src 0
		.amdhsa_exception_fp_ieee_div_zero 0
		.amdhsa_exception_fp_ieee_overflow 0
		.amdhsa_exception_fp_ieee_underflow 0
		.amdhsa_exception_fp_ieee_inexact 0
		.amdhsa_exception_int_div_zero 0
	.end_amdhsa_kernel
	.section	.text._ZL13mul_mat_vec_qIL9ggml_type10ELi6ELb0ELb0EEvPKvS2_PKi31ggml_cuda_mm_fusion_args_devicePfj15HIP_vector_typeIjLj3EEjjjS8_jjjS8_jjjj,"axG",@progbits,_ZL13mul_mat_vec_qIL9ggml_type10ELi6ELb0ELb0EEvPKvS2_PKi31ggml_cuda_mm_fusion_args_devicePfj15HIP_vector_typeIjLj3EEjjjS8_jjjS8_jjjj,comdat
.Lfunc_end105:
	.size	_ZL13mul_mat_vec_qIL9ggml_type10ELi6ELb0ELb0EEvPKvS2_PKi31ggml_cuda_mm_fusion_args_devicePfj15HIP_vector_typeIjLj3EEjjjS8_jjjS8_jjjj, .Lfunc_end105-_ZL13mul_mat_vec_qIL9ggml_type10ELi6ELb0ELb0EEvPKvS2_PKi31ggml_cuda_mm_fusion_args_devicePfj15HIP_vector_typeIjLj3EEjjjS8_jjjS8_jjjj
                                        ; -- End function
	.set _ZL13mul_mat_vec_qIL9ggml_type10ELi6ELb0ELb0EEvPKvS2_PKi31ggml_cuda_mm_fusion_args_devicePfj15HIP_vector_typeIjLj3EEjjjS8_jjjS8_jjjj.num_vgpr, 46
	.set _ZL13mul_mat_vec_qIL9ggml_type10ELi6ELb0ELb0EEvPKvS2_PKi31ggml_cuda_mm_fusion_args_devicePfj15HIP_vector_typeIjLj3EEjjjS8_jjjS8_jjjj.num_agpr, 0
	.set _ZL13mul_mat_vec_qIL9ggml_type10ELi6ELb0ELb0EEvPKvS2_PKi31ggml_cuda_mm_fusion_args_devicePfj15HIP_vector_typeIjLj3EEjjjS8_jjjS8_jjjj.numbered_sgpr, 26
	.set _ZL13mul_mat_vec_qIL9ggml_type10ELi6ELb0ELb0EEvPKvS2_PKi31ggml_cuda_mm_fusion_args_devicePfj15HIP_vector_typeIjLj3EEjjjS8_jjjS8_jjjj.num_named_barrier, 0
	.set _ZL13mul_mat_vec_qIL9ggml_type10ELi6ELb0ELb0EEvPKvS2_PKi31ggml_cuda_mm_fusion_args_devicePfj15HIP_vector_typeIjLj3EEjjjS8_jjjS8_jjjj.private_seg_size, 0
	.set _ZL13mul_mat_vec_qIL9ggml_type10ELi6ELb0ELb0EEvPKvS2_PKi31ggml_cuda_mm_fusion_args_devicePfj15HIP_vector_typeIjLj3EEjjjS8_jjjS8_jjjj.uses_vcc, 1
	.set _ZL13mul_mat_vec_qIL9ggml_type10ELi6ELb0ELb0EEvPKvS2_PKi31ggml_cuda_mm_fusion_args_devicePfj15HIP_vector_typeIjLj3EEjjjS8_jjjS8_jjjj.uses_flat_scratch, 0
	.set _ZL13mul_mat_vec_qIL9ggml_type10ELi6ELb0ELb0EEvPKvS2_PKi31ggml_cuda_mm_fusion_args_devicePfj15HIP_vector_typeIjLj3EEjjjS8_jjjS8_jjjj.has_dyn_sized_stack, 0
	.set _ZL13mul_mat_vec_qIL9ggml_type10ELi6ELb0ELb0EEvPKvS2_PKi31ggml_cuda_mm_fusion_args_devicePfj15HIP_vector_typeIjLj3EEjjjS8_jjjS8_jjjj.has_recursion, 0
	.set _ZL13mul_mat_vec_qIL9ggml_type10ELi6ELb0ELb0EEvPKvS2_PKi31ggml_cuda_mm_fusion_args_devicePfj15HIP_vector_typeIjLj3EEjjjS8_jjjS8_jjjj.has_indirect_call, 0
	.section	.AMDGPU.csdata,"",@progbits
; Kernel info:
; codeLenInByte = 3540
; TotalNumSgprs: 28
; NumVgprs: 46
; ScratchSize: 0
; MemoryBound: 0
; FloatMode: 240
; IeeeMode: 1
; LDSByteSize: 0 bytes/workgroup (compile time only)
; SGPRBlocks: 0
; VGPRBlocks: 5
; NumSGPRsForWavesPerEU: 28
; NumVGPRsForWavesPerEU: 46
; Occupancy: 16
; WaveLimiterHint : 0
; COMPUTE_PGM_RSRC2:SCRATCH_EN: 0
; COMPUTE_PGM_RSRC2:USER_SGPR: 6
; COMPUTE_PGM_RSRC2:TRAP_HANDLER: 0
; COMPUTE_PGM_RSRC2:TGID_X_EN: 1
; COMPUTE_PGM_RSRC2:TGID_Y_EN: 1
; COMPUTE_PGM_RSRC2:TGID_Z_EN: 1
; COMPUTE_PGM_RSRC2:TIDIG_COMP_CNT: 1
	.section	.text._ZL13mul_mat_vec_qIL9ggml_type10ELi7ELb0ELb0EEvPKvS2_PKi31ggml_cuda_mm_fusion_args_devicePfj15HIP_vector_typeIjLj3EEjjjS8_jjjS8_jjjj,"axG",@progbits,_ZL13mul_mat_vec_qIL9ggml_type10ELi7ELb0ELb0EEvPKvS2_PKi31ggml_cuda_mm_fusion_args_devicePfj15HIP_vector_typeIjLj3EEjjjS8_jjjS8_jjjj,comdat
	.globl	_ZL13mul_mat_vec_qIL9ggml_type10ELi7ELb0ELb0EEvPKvS2_PKi31ggml_cuda_mm_fusion_args_devicePfj15HIP_vector_typeIjLj3EEjjjS8_jjjS8_jjjj ; -- Begin function _ZL13mul_mat_vec_qIL9ggml_type10ELi7ELb0ELb0EEvPKvS2_PKi31ggml_cuda_mm_fusion_args_devicePfj15HIP_vector_typeIjLj3EEjjjS8_jjjS8_jjjj
	.p2align	8
	.type	_ZL13mul_mat_vec_qIL9ggml_type10ELi7ELb0ELb0EEvPKvS2_PKi31ggml_cuda_mm_fusion_args_devicePfj15HIP_vector_typeIjLj3EEjjjS8_jjjS8_jjjj,@function
_ZL13mul_mat_vec_qIL9ggml_type10ELi7ELb0ELb0EEvPKvS2_PKi31ggml_cuda_mm_fusion_args_devicePfj15HIP_vector_typeIjLj3EEjjjS8_jjjS8_jjjj: ; @_ZL13mul_mat_vec_qIL9ggml_type10ELi7ELb0ELb0EEvPKvS2_PKi31ggml_cuda_mm_fusion_args_devicePfj15HIP_vector_typeIjLj3EEjjjS8_jjjS8_jjjj
; %bb.0:
	s_clause 0x5
	s_load_dword s9, s[4:5], 0x40
	s_load_dwordx4 s[0:3], s[4:5], 0x50
	s_load_dword s11, s[4:5], 0x60
	s_load_dwordx4 s[12:15], s[4:5], 0x68
	;; [unrolled: 2-line block ×3, first 2 shown]
	v_lshl_or_b32 v2, v1, 5, v0
	v_mov_b32_e32 v6, 0
	v_mov_b32_e32 v7, 0
	;; [unrolled: 1-line block ×4, first 2 shown]
	v_lshrrev_b32_e32 v12, 4, v2
	v_mov_b32_e32 v10, 0
	v_mov_b32_e32 v11, 0
	;; [unrolled: 1-line block ×3, first 2 shown]
	s_waitcnt lgkmcnt(0)
	s_lshr_b32 s10, s9, 8
	s_mov_b32 s9, exec_lo
	v_cmpx_gt_u32_e64 s10, v12
	s_cbranch_execz .LBB106_4
; %bb.1:
	s_load_dwordx4 s[20:23], s[4:5], 0x0
	v_bfe_u32 v2, v0, 3, 1
	v_lshrrev_b32_e32 v4, 1, v0
	s_mul_hi_u32 s3, s3, s7
	s_mul_hi_u32 s15, s15, s8
	s_mul_i32 s17, s17, s8
	v_mul_hi_u32_u24_e32 v3, 0x90, v2
	v_mul_u32_u24_e32 v2, 0x90, v2
	s_add_i32 s3, s7, s3
	s_add_i32 s15, s8, s15
	s_mul_i32 s13, s13, s7
	s_mul_hi_u32 s19, s17, 36
	s_mul_i32 s17, s17, 36
	s_lshr_b32 s3, s3, s11
	v_and_b32_e32 v8, 4, v4
	v_mad_u64_u32 v[4:5], null, 0x120, v12, v[2:3]
	s_lshr_b32 s11, s15, s24
	s_mul_hi_u32 s25, s13, 36
	s_mul_i32 s13, s13, 36
	s_mul_i32 s3, s3, s12
	s_waitcnt lgkmcnt(0)
	s_add_u32 s12, s22, s17
	s_addc_u32 s15, s23, s19
	s_add_u32 s12, s12, s13
	v_and_b32_e32 v7, 15, v0
	s_addc_u32 s13, s15, s25
	v_bfe_u32 v9, v0, 2, 1
	v_and_b32_e32 v10, 7, v0
	v_mad_u64_u32 v[2:3], null, v8, 36, s[12:13]
	v_add_co_u32 v4, vcc_lo, s12, v4
	s_mul_i32 s0, s0, s6
	v_mov_b32_e32 v6, 0
	v_and_or_b32 v14, v0, 8, v9
	v_lshlrev_b32_e32 v15, 2, v10
	v_add_co_ci_u32_e64 v5, null, s13, v5, vcc_lo
	v_lshlrev_b32_e32 v16, 3, v12
	v_lshlrev_b32_e32 v17, 2, v7
	;; [unrolled: 1-line block ×3, first 2 shown]
	v_mov_b32_e32 v7, 0
	v_mov_b32_e32 v8, 0
	v_mov_b32_e32 v9, 0
	v_mov_b32_e32 v10, 0
	v_mov_b32_e32 v11, 0
	v_mov_b32_e32 v13, 0
	s_mul_i32 s11, s11, s16
	s_add_i32 s3, s3, s0
	s_lshl_b32 s12, s1, 2
	s_add_i32 s0, s11, s3
	s_lshl_b32 s3, s1, 1
	s_mul_i32 s11, s1, 3
	s_mul_i32 s13, s1, 5
	;; [unrolled: 1-line block ×3, first 2 shown]
	s_mov_b32 s15, 0
.LBB106_2:                              ; =>This Inner Loop Header: Depth=1
	v_add_nc_u32_e32 v19, s0, v12
	v_mov_b32_e32 v41, 0
	v_mov_b32_e32 v42, 0
	v_add_nc_u32_e32 v12, 2, v12
	v_mad_i64_i32 v[19:20], null, 0x54, v19, s[20:21]
	v_add_co_u32 v21, vcc_lo, v19, v17
	v_add_co_ci_u32_e64 v22, null, 0, v20, vcc_lo
	global_load_dword v23, v[21:22], off offset:16
	v_add_co_u32 v21, vcc_lo, v19, v14
	v_add_co_ci_u32_e64 v22, null, 0, v20, vcc_lo
	v_add_co_u32 v33, vcc_lo, v4, v15
	s_clause 0x1
	global_load_dword v19, v[19:20], off offset:80
	global_load_ubyte v20, v[21:22], off
	v_add_co_ci_u32_e64 v34, null, 0, v5, vcc_lo
	s_waitcnt vmcnt(2)
	v_lshrrev_b32_e32 v24, 2, v23
	v_and_b32_e32 v31, 0x3030303, v23
	v_and_b32_e32 v28, 0x3030303, v24
	v_lshrrev_b32_e32 v24, 4, v23
	s_waitcnt vmcnt(0)
	v_and_b32_e32 v32, 15, v20
	v_lshrrev_b32_e32 v20, 4, v20
	v_and_b32_e32 v25, 0x3030303, v24
	v_mul_lo_u32 v30, 0x1010101, v20
	global_load_ubyte v20, v[21:22], off offset:2
	s_waitcnt vmcnt(0)
	v_and_b32_e32 v29, 15, v20
	v_lshrrev_b32_e32 v20, 4, v20
	v_mul_lo_u32 v27, 0x1010101, v20
	global_load_ubyte v20, v[21:22], off offset:4
	s_waitcnt vmcnt(0)
	v_and_b32_e32 v26, 15, v20
	v_lshrrev_b32_e32 v20, 4, v20
	v_mul_lo_u32 v24, 0x1010101, v20
	global_load_ubyte v20, v[21:22], off offset:6
	s_clause 0x7
	global_load_dword v35, v[33:34], off offset:4
	global_load_dword v36, v[4:5], off
	global_load_dword v37, v[33:34], off offset:40
	global_load_dword v38, v[4:5], off offset:36
	;; [unrolled: 1-line block ×6, first 2 shown]
	v_lshrrev_b32_e32 v21, 6, v23
	v_and_b32_e32 v22, 0x3030303, v21
	s_waitcnt vmcnt(7)
	v_dot4c_i32_i8 v41, v31, v35
	v_dot4c_i32_i8 v42, v30, v35
	v_mul_lo_u32 v41, v32, v41
	v_cvt_f32_i32_e32 v35, v42
	v_and_b32_e32 v23, 15, v20
	v_lshrrev_b32_e32 v20, 4, v20
	s_waitcnt vmcnt(6)
	v_fma_mix_f32 v35, v36, v35, 0 op_sel_hi:[1,0,0]
	v_cvt_f32_i32_e32 v41, v41
	v_mul_lo_u32 v21, 0x1010101, v20
	v_cvt_f32_f16_sdwa v20, v19 dst_sel:DWORD dst_unused:UNUSED_PAD src0_sel:WORD_1
	v_fma_mix_f32 v41, v36, v41, 0 op_sel_hi:[1,0,0]
	v_mov_b32_e32 v36, 0
	s_waitcnt vmcnt(5)
	v_dot4c_i32_i8 v36, v28, v37
	v_mul_lo_u32 v36, v29, v36
	v_cvt_f32_i32_e32 v36, v36
	s_waitcnt vmcnt(4)
	v_fma_mix_f32 v36, v38, v36, v41 op_sel_hi:[1,0,0]
	v_mov_b32_e32 v41, 0
	v_dot4c_i32_i8 v41, v27, v37
	v_cvt_f32_i32_e32 v37, v41
	v_fma_mix_f32 v35, v38, v37, v35 op_sel_hi:[1,0,0]
	v_mov_b32_e32 v37, 0
	s_waitcnt vmcnt(3)
	v_dot4c_i32_i8 v37, v25, v39
	v_mul_lo_u32 v37, v26, v37
	v_cvt_f32_i32_e32 v37, v37
	s_waitcnt vmcnt(2)
	v_fma_mix_f32 v36, v40, v37, v36 op_sel_hi:[1,0,0]
	v_mov_b32_e32 v37, 0
	v_dot4c_i32_i8 v37, v24, v39
	v_cvt_f32_i32_e32 v37, v37
	;; [unrolled: 11-line block ×3, first 2 shown]
	v_fma_mix_f32 v33, v34, v33, v35 op_sel_hi:[1,0,0]
	v_mul_f32_e32 v33, v33, v20
	v_fma_mix_f32 v33, v36, v19, -v33 op_sel_hi:[0,1,0]
	v_add_f32_e32 v13, v13, v33
	v_add_nc_u32_e32 v33, s1, v16
	v_mad_u64_u32 v[33:34], null, v33, 36, v[2:3]
	v_add_co_u32 v35, vcc_lo, v33, v18
	v_add_co_ci_u32_e64 v36, null, 0, v34, vcc_lo
	s_clause 0x7
	global_load_dword v37, v[35:36], off offset:4
	global_load_dword v38, v[33:34], off
	global_load_dword v39, v[35:36], off offset:40
	global_load_dword v40, v[33:34], off offset:36
	global_load_dword v41, v[35:36], off offset:76
	global_load_dword v42, v[33:34], off offset:72
	global_load_dword v35, v[35:36], off offset:112
	global_load_dword v33, v[33:34], off offset:108
	v_mov_b32_e32 v34, 0
	v_mov_b32_e32 v36, 0
	s_waitcnt vmcnt(7)
	v_dot4c_i32_i8 v34, v31, v37
	v_dot4c_i32_i8 v36, v30, v37
	v_mov_b32_e32 v37, 0
	v_mul_lo_u32 v34, v32, v34
	v_cvt_f32_i32_e32 v36, v36
	s_waitcnt vmcnt(5)
	v_dot4c_i32_i8 v37, v28, v39
	v_fma_mix_f32 v36, v38, v36, 0 op_sel_hi:[1,0,0]
	v_mul_lo_u32 v37, v29, v37
	v_cvt_f32_i32_e32 v34, v34
	v_fma_mix_f32 v34, v38, v34, 0 op_sel_hi:[1,0,0]
	v_cvt_f32_i32_e32 v37, v37
	s_waitcnt vmcnt(4)
	v_fma_mix_f32 v34, v40, v37, v34 op_sel_hi:[1,0,0]
	v_mov_b32_e32 v37, 0
	v_dot4c_i32_i8 v37, v27, v39
	v_cvt_f32_i32_e32 v37, v37
	v_fma_mix_f32 v36, v40, v37, v36 op_sel_hi:[1,0,0]
	v_mov_b32_e32 v37, 0
	s_waitcnt vmcnt(3)
	v_dot4c_i32_i8 v37, v25, v41
	v_mul_lo_u32 v37, v26, v37
	v_cvt_f32_i32_e32 v37, v37
	s_waitcnt vmcnt(2)
	v_fma_mix_f32 v34, v42, v37, v34 op_sel_hi:[1,0,0]
	v_mov_b32_e32 v37, 0
	v_dot4c_i32_i8 v37, v24, v41
	v_cvt_f32_i32_e32 v37, v37
	v_fma_mix_f32 v36, v42, v37, v36 op_sel_hi:[1,0,0]
	v_mov_b32_e32 v37, 0
	s_waitcnt vmcnt(1)
	v_dot4c_i32_i8 v37, v22, v35
	v_mul_lo_u32 v37, v23, v37
	v_cvt_f32_i32_e32 v37, v37
	s_waitcnt vmcnt(0)
	v_fma_mix_f32 v34, v33, v37, v34 op_sel_hi:[1,0,0]
	v_mov_b32_e32 v37, 0
	v_dot4c_i32_i8 v37, v21, v35
	v_cvt_f32_i32_e32 v35, v37
	v_fma_mix_f32 v33, v33, v35, v36 op_sel_hi:[1,0,0]
	v_mul_f32_e32 v33, v33, v20
	v_fma_mix_f32 v33, v34, v19, -v33 op_sel_hi:[0,1,0]
	v_add_f32_e32 v11, v11, v33
	v_add_nc_u32_e32 v33, s3, v16
	v_mad_u64_u32 v[33:34], null, v33, 36, v[2:3]
	v_add_co_u32 v35, vcc_lo, v33, v18
	v_add_co_ci_u32_e64 v36, null, 0, v34, vcc_lo
	s_clause 0x7
	global_load_dword v37, v[35:36], off offset:4
	global_load_dword v38, v[33:34], off
	global_load_dword v39, v[35:36], off offset:40
	global_load_dword v40, v[33:34], off offset:36
	global_load_dword v41, v[35:36], off offset:76
	global_load_dword v42, v[33:34], off offset:72
	global_load_dword v35, v[35:36], off offset:112
	global_load_dword v33, v[33:34], off offset:108
	v_mov_b32_e32 v34, 0
	v_mov_b32_e32 v36, 0
	s_waitcnt vmcnt(7)
	v_dot4c_i32_i8 v34, v31, v37
	v_dot4c_i32_i8 v36, v30, v37
	v_mov_b32_e32 v37, 0
	v_mul_lo_u32 v34, v32, v34
	v_cvt_f32_i32_e32 v36, v36
	s_waitcnt vmcnt(5)
	v_dot4c_i32_i8 v37, v28, v39
	v_fma_mix_f32 v36, v38, v36, 0 op_sel_hi:[1,0,0]
	v_mul_lo_u32 v37, v29, v37
	v_cvt_f32_i32_e32 v34, v34
	v_fma_mix_f32 v34, v38, v34, 0 op_sel_hi:[1,0,0]
	v_cvt_f32_i32_e32 v37, v37
	s_waitcnt vmcnt(4)
	v_fma_mix_f32 v34, v40, v37, v34 op_sel_hi:[1,0,0]
	v_mov_b32_e32 v37, 0
	v_dot4c_i32_i8 v37, v27, v39
	v_cvt_f32_i32_e32 v37, v37
	v_fma_mix_f32 v36, v40, v37, v36 op_sel_hi:[1,0,0]
	v_mov_b32_e32 v37, 0
	s_waitcnt vmcnt(3)
	v_dot4c_i32_i8 v37, v25, v41
	v_mul_lo_u32 v37, v26, v37
	v_cvt_f32_i32_e32 v37, v37
	s_waitcnt vmcnt(2)
	v_fma_mix_f32 v34, v42, v37, v34 op_sel_hi:[1,0,0]
	v_mov_b32_e32 v37, 0
	v_dot4c_i32_i8 v37, v24, v41
	v_cvt_f32_i32_e32 v37, v37
	v_fma_mix_f32 v36, v42, v37, v36 op_sel_hi:[1,0,0]
	v_mov_b32_e32 v37, 0
	s_waitcnt vmcnt(1)
	v_dot4c_i32_i8 v37, v22, v35
	v_mul_lo_u32 v37, v23, v37
	v_cvt_f32_i32_e32 v37, v37
	s_waitcnt vmcnt(0)
	v_fma_mix_f32 v34, v33, v37, v34 op_sel_hi:[1,0,0]
	v_mov_b32_e32 v37, 0
	v_dot4c_i32_i8 v37, v21, v35
	v_cvt_f32_i32_e32 v35, v37
	;; [unrolled: 59-line block ×5, first 2 shown]
	v_fma_mix_f32 v33, v33, v35, v36 op_sel_hi:[1,0,0]
	v_mul_f32_e32 v33, v33, v20
	v_fma_mix_f32 v33, v34, v19, -v33 op_sel_hi:[0,1,0]
	v_add_f32_e32 v7, v7, v33
	v_add_nc_u32_e32 v33, s16, v16
	v_add_nc_u32_e32 v16, 16, v16
	v_mad_u64_u32 v[33:34], null, v33, 36, v[2:3]
	v_add_co_u32 v35, vcc_lo, v33, v18
	v_add_co_ci_u32_e64 v36, null, 0, v34, vcc_lo
	s_clause 0x7
	global_load_dword v37, v[35:36], off offset:4
	global_load_dword v38, v[33:34], off
	global_load_dword v39, v[35:36], off offset:40
	global_load_dword v40, v[33:34], off offset:36
	;; [unrolled: 1-line block ×6, first 2 shown]
	v_mov_b32_e32 v34, 0
	v_add_co_u32 v4, vcc_lo, 0x240, v4
	v_add_co_ci_u32_e64 v5, null, 0, v5, vcc_lo
	v_cmp_le_u32_e32 vcc_lo, s10, v12
	s_or_b32 s15, vcc_lo, s15
	s_waitcnt vmcnt(7)
	v_dot4c_i32_i8 v34, v31, v37
	v_mul_lo_u32 v31, v32, v34
	v_mov_b32_e32 v32, 0
	v_dot4c_i32_i8 v32, v30, v37
	v_cvt_f32_i32_e32 v31, v31
	v_cvt_f32_i32_e32 v30, v32
	v_mov_b32_e32 v32, 0
	s_waitcnt vmcnt(6)
	v_fma_mix_f32 v31, v38, v31, 0 op_sel_hi:[1,0,0]
	v_fma_mix_f32 v30, v38, v30, 0 op_sel_hi:[1,0,0]
	s_waitcnt vmcnt(5)
	v_dot4c_i32_i8 v32, v28, v39
	v_mul_lo_u32 v28, v29, v32
	v_mov_b32_e32 v29, 0
	v_dot4c_i32_i8 v29, v27, v39
	v_cvt_f32_i32_e32 v28, v28
	v_cvt_f32_i32_e32 v27, v29
	v_mov_b32_e32 v29, 0
	s_waitcnt vmcnt(4)
	v_fma_mix_f32 v28, v40, v28, v31 op_sel_hi:[1,0,0]
	v_fma_mix_f32 v27, v40, v27, v30 op_sel_hi:[1,0,0]
	;; [unrolled: 11-line block ×3, first 2 shown]
	s_waitcnt vmcnt(1)
	v_dot4c_i32_i8 v26, v22, v35
	v_mul_lo_u32 v22, v23, v26
	v_mov_b32_e32 v23, 0
	v_dot4c_i32_i8 v23, v21, v35
	v_cvt_f32_i32_e32 v22, v22
	v_cvt_f32_i32_e32 v21, v23
	s_waitcnt vmcnt(0)
	v_fma_mix_f32 v22, v33, v22, v25 op_sel_hi:[1,0,0]
	v_fma_mix_f32 v21, v33, v21, v24 op_sel_hi:[1,0,0]
	v_mul_f32_e32 v20, v21, v20
	v_fma_mix_f32 v19, v22, v19, -v20 op_sel_hi:[0,1,0]
	v_add_f32_e32 v6, v6, v19
	s_andn2_b32 exec_lo, exec_lo, s15
	s_cbranch_execnz .LBB106_2
; %bb.3:
	s_or_b32 exec_lo, exec_lo, s15
.LBB106_4:
	s_or_b32 exec_lo, exec_lo, s9
	s_mov_b32 s1, 0
	; wave barrier
	buffer_gl0_inv
	s_mov_b32 s0, exec_lo
	v_cmpx_eq_u32_e32 0, v1
	s_cbranch_execz .LBB106_19
; %bb.5:
	v_mbcnt_lo_u32_b32 v5, -1, 0
	s_load_dwordx2 s[4:5], s[4:5], 0x38
	s_mul_i32 s0, s14, s7
	s_mul_i32 s3, s18, s8
	s_add_i32 s0, s0, s6
	v_xor_b32_e32 v1, 16, v5
	v_xor_b32_e32 v2, 8, v5
	;; [unrolled: 1-line block ×3, first 2 shown]
	s_add_i32 s0, s0, s3
	s_lshl_b64 s[0:1], s[0:1], 2
	v_cmp_gt_i32_e32 vcc_lo, 32, v1
	v_cndmask_b32_e32 v1, v5, v1, vcc_lo
	v_cmp_gt_i32_e32 vcc_lo, 32, v2
	v_lshlrev_b32_e32 v1, 2, v1
	v_cndmask_b32_e32 v2, v5, v2, vcc_lo
	s_waitcnt lgkmcnt(0)
	s_add_u32 s0, s4, s0
	s_addc_u32 s1, s5, s1
	ds_bpermute_b32 v3, v1, v13
	v_lshlrev_b32_e32 v2, 2, v2
	s_waitcnt lgkmcnt(0)
	v_add_f32_e32 v4, v13, v3
	v_xor_b32_e32 v3, 4, v5
	ds_bpermute_b32 v12, v2, v4
	v_cmp_gt_i32_e32 vcc_lo, 32, v3
	v_cndmask_b32_e32 v3, v5, v3, vcc_lo
	v_lshlrev_b32_e32 v3, 2, v3
	s_waitcnt lgkmcnt(0)
	v_add_f32_e32 v12, v4, v12
	v_xor_b32_e32 v4, 2, v5
	ds_bpermute_b32 v13, v3, v12
	v_cmp_gt_i32_e32 vcc_lo, 32, v4
	v_cndmask_b32_e32 v4, v5, v4, vcc_lo
	v_cmp_gt_i32_e32 vcc_lo, 32, v14
	v_lshlrev_b32_e32 v4, 2, v4
	v_cndmask_b32_e32 v5, v5, v14, vcc_lo
	v_cmp_eq_u32_e32 vcc_lo, 0, v0
	v_lshlrev_b32_e32 v5, 2, v5
	s_waitcnt lgkmcnt(0)
	v_add_f32_e32 v12, v12, v13
	ds_bpermute_b32 v13, v4, v12
	s_waitcnt lgkmcnt(0)
	v_add_f32_e32 v12, v12, v13
	ds_bpermute_b32 v13, v5, v12
	s_and_saveexec_b32 s3, vcc_lo
	s_cbranch_execz .LBB106_7
; %bb.6:
	s_waitcnt lgkmcnt(0)
	v_add_f32_e32 v0, v12, v13
	v_mov_b32_e32 v12, 0
	global_store_dword v12, v0, s[0:1]
.LBB106_7:
	s_or_b32 exec_lo, exec_lo, s3
	ds_bpermute_b32 v0, v1, v11
	s_waitcnt lgkmcnt(0)
	v_add_f32_e32 v0, v11, v0
	ds_bpermute_b32 v11, v2, v0
	s_waitcnt lgkmcnt(0)
	v_add_f32_e32 v0, v0, v11
	;; [unrolled: 3-line block ×4, first 2 shown]
	ds_bpermute_b32 v11, v5, v0
	s_and_saveexec_b32 s4, vcc_lo
	s_cbranch_execz .LBB106_9
; %bb.8:
	s_mov_b32 s3, 0
	s_waitcnt lgkmcnt(0)
	v_add_f32_e32 v0, v0, v11
	s_lshl_b64 s[6:7], s[2:3], 2
	v_mov_b32_e32 v11, 0
	s_add_u32 s6, s0, s6
	s_addc_u32 s7, s1, s7
	global_store_dword v11, v0, s[6:7]
.LBB106_9:
	s_or_b32 exec_lo, exec_lo, s4
	ds_bpermute_b32 v0, v1, v10
	s_waitcnt lgkmcnt(0)
	v_add_f32_e32 v0, v10, v0
	ds_bpermute_b32 v10, v2, v0
	s_waitcnt lgkmcnt(0)
	v_add_f32_e32 v0, v0, v10
	;; [unrolled: 3-line block ×4, first 2 shown]
	ds_bpermute_b32 v10, v5, v0
	s_and_saveexec_b32 s3, vcc_lo
	s_cbranch_execz .LBB106_11
; %bb.10:
	s_lshl_b32 s4, s2, 1
	s_mov_b32 s5, 0
	s_waitcnt lgkmcnt(0)
	v_add_f32_e32 v0, v0, v10
	s_lshl_b64 s[4:5], s[4:5], 2
	v_mov_b32_e32 v10, 0
	s_add_u32 s4, s0, s4
	s_addc_u32 s5, s1, s5
	global_store_dword v10, v0, s[4:5]
.LBB106_11:
	s_or_b32 exec_lo, exec_lo, s3
	ds_bpermute_b32 v0, v1, v9
	s_waitcnt lgkmcnt(0)
	v_add_f32_e32 v0, v9, v0
	ds_bpermute_b32 v9, v2, v0
	s_waitcnt lgkmcnt(0)
	v_add_f32_e32 v0, v0, v9
	;; [unrolled: 3-line block ×4, first 2 shown]
	ds_bpermute_b32 v9, v5, v0
	s_and_saveexec_b32 s3, vcc_lo
	s_cbranch_execz .LBB106_13
; %bb.12:
	s_mul_i32 s4, s2, 3
	s_mov_b32 s5, 0
	s_waitcnt lgkmcnt(0)
	v_add_f32_e32 v0, v0, v9
	s_lshl_b64 s[4:5], s[4:5], 2
	v_mov_b32_e32 v9, 0
	s_add_u32 s4, s0, s4
	s_addc_u32 s5, s1, s5
	global_store_dword v9, v0, s[4:5]
.LBB106_13:
	s_or_b32 exec_lo, exec_lo, s3
	ds_bpermute_b32 v0, v1, v8
	s_waitcnt lgkmcnt(0)
	v_add_f32_e32 v0, v8, v0
	ds_bpermute_b32 v8, v2, v0
	s_waitcnt lgkmcnt(0)
	v_add_f32_e32 v0, v0, v8
	;; [unrolled: 3-line block ×4, first 2 shown]
	ds_bpermute_b32 v8, v5, v0
	s_and_saveexec_b32 s3, vcc_lo
	s_cbranch_execz .LBB106_15
; %bb.14:
	s_lshl_b32 s4, s2, 2
	s_mov_b32 s5, 0
	s_waitcnt lgkmcnt(0)
	v_add_f32_e32 v0, v0, v8
	s_lshl_b64 s[4:5], s[4:5], 2
	v_mov_b32_e32 v8, 0
	s_add_u32 s4, s0, s4
	s_addc_u32 s5, s1, s5
	global_store_dword v8, v0, s[4:5]
.LBB106_15:
	s_or_b32 exec_lo, exec_lo, s3
	ds_bpermute_b32 v0, v1, v7
	s_waitcnt lgkmcnt(0)
	v_add_f32_e32 v0, v7, v0
	ds_bpermute_b32 v7, v2, v0
	s_waitcnt lgkmcnt(0)
	v_add_f32_e32 v0, v0, v7
	;; [unrolled: 3-line block ×4, first 2 shown]
	ds_bpermute_b32 v7, v5, v0
	s_and_saveexec_b32 s3, vcc_lo
	s_cbranch_execz .LBB106_17
; %bb.16:
	s_mul_i32 s4, s2, 5
	s_mov_b32 s5, 0
	s_waitcnt lgkmcnt(0)
	v_add_f32_e32 v0, v0, v7
	s_lshl_b64 s[4:5], s[4:5], 2
	v_mov_b32_e32 v7, 0
	s_add_u32 s4, s0, s4
	s_addc_u32 s5, s1, s5
	global_store_dword v7, v0, s[4:5]
.LBB106_17:
	s_or_b32 exec_lo, exec_lo, s3
	ds_bpermute_b32 v0, v1, v6
	s_waitcnt lgkmcnt(0)
	v_add_f32_e32 v0, v6, v0
	ds_bpermute_b32 v1, v2, v0
	s_waitcnt lgkmcnt(0)
	v_add_f32_e32 v0, v0, v1
	;; [unrolled: 3-line block ×4, first 2 shown]
	ds_bpermute_b32 v1, v5, v0
	s_and_b32 exec_lo, exec_lo, vcc_lo
	s_cbranch_execz .LBB106_19
; %bb.18:
	s_mul_i32 s2, s2, 6
	s_mov_b32 s3, 0
	s_waitcnt lgkmcnt(0)
	v_add_f32_e32 v0, v0, v1
	s_lshl_b64 s[2:3], s[2:3], 2
	v_mov_b32_e32 v1, 0
	s_add_u32 s0, s0, s2
	s_addc_u32 s1, s1, s3
	global_store_dword v1, v0, s[0:1]
.LBB106_19:
	s_endpgm
	.section	.rodata,"a",@progbits
	.p2align	6, 0x0
	.amdhsa_kernel _ZL13mul_mat_vec_qIL9ggml_type10ELi7ELb0ELb0EEvPKvS2_PKi31ggml_cuda_mm_fusion_args_devicePfj15HIP_vector_typeIjLj3EEjjjS8_jjjS8_jjjj
		.amdhsa_group_segment_fixed_size 0
		.amdhsa_private_segment_fixed_size 0
		.amdhsa_kernarg_size 144
		.amdhsa_user_sgpr_count 6
		.amdhsa_user_sgpr_private_segment_buffer 1
		.amdhsa_user_sgpr_dispatch_ptr 0
		.amdhsa_user_sgpr_queue_ptr 0
		.amdhsa_user_sgpr_kernarg_segment_ptr 1
		.amdhsa_user_sgpr_dispatch_id 0
		.amdhsa_user_sgpr_flat_scratch_init 0
		.amdhsa_user_sgpr_private_segment_size 0
		.amdhsa_wavefront_size32 1
		.amdhsa_uses_dynamic_stack 0
		.amdhsa_system_sgpr_private_segment_wavefront_offset 0
		.amdhsa_system_sgpr_workgroup_id_x 1
		.amdhsa_system_sgpr_workgroup_id_y 1
		.amdhsa_system_sgpr_workgroup_id_z 1
		.amdhsa_system_sgpr_workgroup_info 0
		.amdhsa_system_vgpr_workitem_id 1
		.amdhsa_next_free_vgpr 43
		.amdhsa_next_free_sgpr 26
		.amdhsa_reserve_vcc 1
		.amdhsa_reserve_flat_scratch 0
		.amdhsa_float_round_mode_32 0
		.amdhsa_float_round_mode_16_64 0
		.amdhsa_float_denorm_mode_32 3
		.amdhsa_float_denorm_mode_16_64 3
		.amdhsa_dx10_clamp 1
		.amdhsa_ieee_mode 1
		.amdhsa_fp16_overflow 0
		.amdhsa_workgroup_processor_mode 1
		.amdhsa_memory_ordered 1
		.amdhsa_forward_progress 1
		.amdhsa_shared_vgpr_count 0
		.amdhsa_exception_fp_ieee_invalid_op 0
		.amdhsa_exception_fp_denorm_src 0
		.amdhsa_exception_fp_ieee_div_zero 0
		.amdhsa_exception_fp_ieee_overflow 0
		.amdhsa_exception_fp_ieee_underflow 0
		.amdhsa_exception_fp_ieee_inexact 0
		.amdhsa_exception_int_div_zero 0
	.end_amdhsa_kernel
	.section	.text._ZL13mul_mat_vec_qIL9ggml_type10ELi7ELb0ELb0EEvPKvS2_PKi31ggml_cuda_mm_fusion_args_devicePfj15HIP_vector_typeIjLj3EEjjjS8_jjjS8_jjjj,"axG",@progbits,_ZL13mul_mat_vec_qIL9ggml_type10ELi7ELb0ELb0EEvPKvS2_PKi31ggml_cuda_mm_fusion_args_devicePfj15HIP_vector_typeIjLj3EEjjjS8_jjjS8_jjjj,comdat
.Lfunc_end106:
	.size	_ZL13mul_mat_vec_qIL9ggml_type10ELi7ELb0ELb0EEvPKvS2_PKi31ggml_cuda_mm_fusion_args_devicePfj15HIP_vector_typeIjLj3EEjjjS8_jjjS8_jjjj, .Lfunc_end106-_ZL13mul_mat_vec_qIL9ggml_type10ELi7ELb0ELb0EEvPKvS2_PKi31ggml_cuda_mm_fusion_args_devicePfj15HIP_vector_typeIjLj3EEjjjS8_jjjS8_jjjj
                                        ; -- End function
	.set _ZL13mul_mat_vec_qIL9ggml_type10ELi7ELb0ELb0EEvPKvS2_PKi31ggml_cuda_mm_fusion_args_devicePfj15HIP_vector_typeIjLj3EEjjjS8_jjjS8_jjjj.num_vgpr, 43
	.set _ZL13mul_mat_vec_qIL9ggml_type10ELi7ELb0ELb0EEvPKvS2_PKi31ggml_cuda_mm_fusion_args_devicePfj15HIP_vector_typeIjLj3EEjjjS8_jjjS8_jjjj.num_agpr, 0
	.set _ZL13mul_mat_vec_qIL9ggml_type10ELi7ELb0ELb0EEvPKvS2_PKi31ggml_cuda_mm_fusion_args_devicePfj15HIP_vector_typeIjLj3EEjjjS8_jjjS8_jjjj.numbered_sgpr, 26
	.set _ZL13mul_mat_vec_qIL9ggml_type10ELi7ELb0ELb0EEvPKvS2_PKi31ggml_cuda_mm_fusion_args_devicePfj15HIP_vector_typeIjLj3EEjjjS8_jjjS8_jjjj.num_named_barrier, 0
	.set _ZL13mul_mat_vec_qIL9ggml_type10ELi7ELb0ELb0EEvPKvS2_PKi31ggml_cuda_mm_fusion_args_devicePfj15HIP_vector_typeIjLj3EEjjjS8_jjjS8_jjjj.private_seg_size, 0
	.set _ZL13mul_mat_vec_qIL9ggml_type10ELi7ELb0ELb0EEvPKvS2_PKi31ggml_cuda_mm_fusion_args_devicePfj15HIP_vector_typeIjLj3EEjjjS8_jjjS8_jjjj.uses_vcc, 1
	.set _ZL13mul_mat_vec_qIL9ggml_type10ELi7ELb0ELb0EEvPKvS2_PKi31ggml_cuda_mm_fusion_args_devicePfj15HIP_vector_typeIjLj3EEjjjS8_jjjS8_jjjj.uses_flat_scratch, 0
	.set _ZL13mul_mat_vec_qIL9ggml_type10ELi7ELb0ELb0EEvPKvS2_PKi31ggml_cuda_mm_fusion_args_devicePfj15HIP_vector_typeIjLj3EEjjjS8_jjjS8_jjjj.has_dyn_sized_stack, 0
	.set _ZL13mul_mat_vec_qIL9ggml_type10ELi7ELb0ELb0EEvPKvS2_PKi31ggml_cuda_mm_fusion_args_devicePfj15HIP_vector_typeIjLj3EEjjjS8_jjjS8_jjjj.has_recursion, 0
	.set _ZL13mul_mat_vec_qIL9ggml_type10ELi7ELb0ELb0EEvPKvS2_PKi31ggml_cuda_mm_fusion_args_devicePfj15HIP_vector_typeIjLj3EEjjjS8_jjjS8_jjjj.has_indirect_call, 0
	.section	.AMDGPU.csdata,"",@progbits
; Kernel info:
; codeLenInByte = 3992
; TotalNumSgprs: 28
; NumVgprs: 43
; ScratchSize: 0
; MemoryBound: 0
; FloatMode: 240
; IeeeMode: 1
; LDSByteSize: 0 bytes/workgroup (compile time only)
; SGPRBlocks: 0
; VGPRBlocks: 5
; NumSGPRsForWavesPerEU: 28
; NumVGPRsForWavesPerEU: 43
; Occupancy: 16
; WaveLimiterHint : 0
; COMPUTE_PGM_RSRC2:SCRATCH_EN: 0
; COMPUTE_PGM_RSRC2:USER_SGPR: 6
; COMPUTE_PGM_RSRC2:TRAP_HANDLER: 0
; COMPUTE_PGM_RSRC2:TGID_X_EN: 1
; COMPUTE_PGM_RSRC2:TGID_Y_EN: 1
; COMPUTE_PGM_RSRC2:TGID_Z_EN: 1
; COMPUTE_PGM_RSRC2:TIDIG_COMP_CNT: 1
	.section	.text._ZL13mul_mat_vec_qIL9ggml_type10ELi8ELb0ELb0EEvPKvS2_PKi31ggml_cuda_mm_fusion_args_devicePfj15HIP_vector_typeIjLj3EEjjjS8_jjjS8_jjjj,"axG",@progbits,_ZL13mul_mat_vec_qIL9ggml_type10ELi8ELb0ELb0EEvPKvS2_PKi31ggml_cuda_mm_fusion_args_devicePfj15HIP_vector_typeIjLj3EEjjjS8_jjjS8_jjjj,comdat
	.globl	_ZL13mul_mat_vec_qIL9ggml_type10ELi8ELb0ELb0EEvPKvS2_PKi31ggml_cuda_mm_fusion_args_devicePfj15HIP_vector_typeIjLj3EEjjjS8_jjjS8_jjjj ; -- Begin function _ZL13mul_mat_vec_qIL9ggml_type10ELi8ELb0ELb0EEvPKvS2_PKi31ggml_cuda_mm_fusion_args_devicePfj15HIP_vector_typeIjLj3EEjjjS8_jjjS8_jjjj
	.p2align	8
	.type	_ZL13mul_mat_vec_qIL9ggml_type10ELi8ELb0ELb0EEvPKvS2_PKi31ggml_cuda_mm_fusion_args_devicePfj15HIP_vector_typeIjLj3EEjjjS8_jjjS8_jjjj,@function
_ZL13mul_mat_vec_qIL9ggml_type10ELi8ELb0ELb0EEvPKvS2_PKi31ggml_cuda_mm_fusion_args_devicePfj15HIP_vector_typeIjLj3EEjjjS8_jjjS8_jjjj: ; @_ZL13mul_mat_vec_qIL9ggml_type10ELi8ELb0ELb0EEvPKvS2_PKi31ggml_cuda_mm_fusion_args_devicePfj15HIP_vector_typeIjLj3EEjjjS8_jjjS8_jjjj
; %bb.0:
	s_clause 0x5
	s_load_dword s9, s[4:5], 0x40
	s_load_dwordx4 s[0:3], s[4:5], 0x50
	s_load_dword s11, s[4:5], 0x60
	s_load_dwordx4 s[12:15], s[4:5], 0x68
	;; [unrolled: 2-line block ×3, first 2 shown]
	v_lshl_or_b32 v2, v1, 5, v0
	v_mov_b32_e32 v6, 0
	v_mov_b32_e32 v7, 0
	;; [unrolled: 1-line block ×4, first 2 shown]
	v_lshrrev_b32_e32 v13, 4, v2
	v_mov_b32_e32 v10, 0
	v_mov_b32_e32 v11, 0
	v_mov_b32_e32 v12, 0
	v_mov_b32_e32 v14, 0
	s_waitcnt lgkmcnt(0)
	s_lshr_b32 s10, s9, 8
	s_mov_b32 s9, exec_lo
	v_cmpx_gt_u32_e64 s10, v13
	s_cbranch_execz .LBB107_4
; %bb.1:
	s_load_dwordx4 s[20:23], s[4:5], 0x0
	v_bfe_u32 v2, v0, 3, 1
	v_lshrrev_b32_e32 v4, 1, v0
	s_mul_hi_u32 s3, s3, s7
	s_mul_hi_u32 s15, s15, s8
	s_mul_i32 s17, s17, s8
	v_mul_hi_u32_u24_e32 v3, 0x90, v2
	v_mul_u32_u24_e32 v2, 0x90, v2
	s_add_i32 s3, s7, s3
	s_add_i32 s15, s8, s15
	s_mul_i32 s13, s13, s7
	s_mul_hi_u32 s19, s17, 36
	s_mul_i32 s17, s17, 36
	s_lshr_b32 s3, s3, s11
	v_and_b32_e32 v8, 4, v4
	v_mad_u64_u32 v[4:5], null, 0x120, v13, v[2:3]
	s_lshr_b32 s11, s15, s24
	s_mul_hi_u32 s25, s13, 36
	s_mul_i32 s13, s13, 36
	s_mul_i32 s3, s3, s12
	s_waitcnt lgkmcnt(0)
	s_add_u32 s12, s22, s17
	s_addc_u32 s15, s23, s19
	s_add_u32 s12, s12, s13
	v_and_b32_e32 v7, 15, v0
	s_addc_u32 s13, s15, s25
	v_bfe_u32 v9, v0, 2, 1
	v_and_b32_e32 v10, 7, v0
	v_mad_u64_u32 v[2:3], null, v8, 36, s[12:13]
	v_add_co_u32 v4, vcc_lo, s12, v4
	s_mul_i32 s0, s0, s6
	v_mov_b32_e32 v6, 0
	v_and_or_b32 v15, v0, 8, v9
	v_lshlrev_b32_e32 v16, 2, v10
	v_add_co_ci_u32_e64 v5, null, s13, v5, vcc_lo
	v_lshlrev_b32_e32 v17, 3, v13
	v_lshlrev_b32_e32 v18, 2, v7
	;; [unrolled: 1-line block ×3, first 2 shown]
	v_mov_b32_e32 v7, 0
	v_mov_b32_e32 v8, 0
	;; [unrolled: 1-line block ×7, first 2 shown]
	s_mul_i32 s11, s11, s16
	s_add_i32 s3, s3, s0
	s_lshl_b32 s12, s1, 2
	s_add_i32 s0, s11, s3
	s_lshl_b32 s3, s1, 1
	s_mul_i32 s11, s1, 3
	s_mul_i32 s13, s1, 5
	;; [unrolled: 1-line block ×4, first 2 shown]
	s_mov_b32 s16, 0
.LBB107_2:                              ; =>This Inner Loop Header: Depth=1
	v_add_nc_u32_e32 v20, s0, v13
	v_mov_b32_e32 v42, 0
	v_mov_b32_e32 v43, 0
	v_add_nc_u32_e32 v13, 2, v13
	v_mad_i64_i32 v[20:21], null, 0x54, v20, s[20:21]
	v_add_co_u32 v22, vcc_lo, v20, v18
	v_add_co_ci_u32_e64 v23, null, 0, v21, vcc_lo
	global_load_dword v24, v[22:23], off offset:16
	v_add_co_u32 v22, vcc_lo, v20, v15
	v_add_co_ci_u32_e64 v23, null, 0, v21, vcc_lo
	v_add_co_u32 v34, vcc_lo, v4, v16
	s_clause 0x1
	global_load_dword v20, v[20:21], off offset:80
	global_load_ubyte v21, v[22:23], off
	v_add_co_ci_u32_e64 v35, null, 0, v5, vcc_lo
	s_waitcnt vmcnt(2)
	v_lshrrev_b32_e32 v25, 2, v24
	v_and_b32_e32 v32, 0x3030303, v24
	v_and_b32_e32 v29, 0x3030303, v25
	v_lshrrev_b32_e32 v25, 4, v24
	s_waitcnt vmcnt(0)
	v_and_b32_e32 v33, 15, v21
	v_lshrrev_b32_e32 v21, 4, v21
	v_and_b32_e32 v26, 0x3030303, v25
	v_mul_lo_u32 v31, 0x1010101, v21
	global_load_ubyte v21, v[22:23], off offset:2
	s_waitcnt vmcnt(0)
	v_and_b32_e32 v30, 15, v21
	v_lshrrev_b32_e32 v21, 4, v21
	v_mul_lo_u32 v28, 0x1010101, v21
	global_load_ubyte v21, v[22:23], off offset:4
	s_waitcnt vmcnt(0)
	v_and_b32_e32 v27, 15, v21
	v_lshrrev_b32_e32 v21, 4, v21
	v_mul_lo_u32 v25, 0x1010101, v21
	global_load_ubyte v21, v[22:23], off offset:6
	s_clause 0x7
	global_load_dword v36, v[34:35], off offset:4
	global_load_dword v37, v[4:5], off
	global_load_dword v38, v[34:35], off offset:40
	global_load_dword v39, v[4:5], off offset:36
	;; [unrolled: 1-line block ×6, first 2 shown]
	v_lshrrev_b32_e32 v22, 6, v24
	v_and_b32_e32 v23, 0x3030303, v22
	s_waitcnt vmcnt(7)
	v_dot4c_i32_i8 v42, v32, v36
	v_dot4c_i32_i8 v43, v31, v36
	v_mul_lo_u32 v42, v33, v42
	v_cvt_f32_i32_e32 v36, v43
	v_and_b32_e32 v24, 15, v21
	v_lshrrev_b32_e32 v21, 4, v21
	s_waitcnt vmcnt(6)
	v_fma_mix_f32 v36, v37, v36, 0 op_sel_hi:[1,0,0]
	v_cvt_f32_i32_e32 v42, v42
	v_mul_lo_u32 v22, 0x1010101, v21
	v_cvt_f32_f16_sdwa v21, v20 dst_sel:DWORD dst_unused:UNUSED_PAD src0_sel:WORD_1
	v_fma_mix_f32 v42, v37, v42, 0 op_sel_hi:[1,0,0]
	v_mov_b32_e32 v37, 0
	s_waitcnt vmcnt(5)
	v_dot4c_i32_i8 v37, v29, v38
	v_mul_lo_u32 v37, v30, v37
	v_cvt_f32_i32_e32 v37, v37
	s_waitcnt vmcnt(4)
	v_fma_mix_f32 v37, v39, v37, v42 op_sel_hi:[1,0,0]
	v_mov_b32_e32 v42, 0
	v_dot4c_i32_i8 v42, v28, v38
	v_cvt_f32_i32_e32 v38, v42
	v_fma_mix_f32 v36, v39, v38, v36 op_sel_hi:[1,0,0]
	v_mov_b32_e32 v38, 0
	s_waitcnt vmcnt(3)
	v_dot4c_i32_i8 v38, v26, v40
	v_mul_lo_u32 v38, v27, v38
	v_cvt_f32_i32_e32 v38, v38
	s_waitcnt vmcnt(2)
	v_fma_mix_f32 v37, v41, v38, v37 op_sel_hi:[1,0,0]
	v_mov_b32_e32 v38, 0
	v_dot4c_i32_i8 v38, v25, v40
	v_cvt_f32_i32_e32 v38, v38
	;; [unrolled: 11-line block ×3, first 2 shown]
	v_fma_mix_f32 v34, v35, v34, v36 op_sel_hi:[1,0,0]
	v_mul_f32_e32 v34, v34, v21
	v_fma_mix_f32 v34, v37, v20, -v34 op_sel_hi:[0,1,0]
	v_add_f32_e32 v14, v14, v34
	v_add_nc_u32_e32 v34, s1, v17
	v_mad_u64_u32 v[34:35], null, v34, 36, v[2:3]
	v_add_co_u32 v36, vcc_lo, v34, v19
	v_add_co_ci_u32_e64 v37, null, 0, v35, vcc_lo
	s_clause 0x7
	global_load_dword v38, v[36:37], off offset:4
	global_load_dword v39, v[34:35], off
	global_load_dword v40, v[36:37], off offset:40
	global_load_dword v41, v[34:35], off offset:36
	global_load_dword v42, v[36:37], off offset:76
	global_load_dword v43, v[34:35], off offset:72
	global_load_dword v36, v[36:37], off offset:112
	global_load_dword v34, v[34:35], off offset:108
	v_mov_b32_e32 v35, 0
	v_mov_b32_e32 v37, 0
	s_waitcnt vmcnt(7)
	v_dot4c_i32_i8 v35, v32, v38
	v_dot4c_i32_i8 v37, v31, v38
	v_mov_b32_e32 v38, 0
	v_mul_lo_u32 v35, v33, v35
	v_cvt_f32_i32_e32 v37, v37
	s_waitcnt vmcnt(5)
	v_dot4c_i32_i8 v38, v29, v40
	v_fma_mix_f32 v37, v39, v37, 0 op_sel_hi:[1,0,0]
	v_mul_lo_u32 v38, v30, v38
	v_cvt_f32_i32_e32 v35, v35
	v_fma_mix_f32 v35, v39, v35, 0 op_sel_hi:[1,0,0]
	v_cvt_f32_i32_e32 v38, v38
	s_waitcnt vmcnt(4)
	v_fma_mix_f32 v35, v41, v38, v35 op_sel_hi:[1,0,0]
	v_mov_b32_e32 v38, 0
	v_dot4c_i32_i8 v38, v28, v40
	v_cvt_f32_i32_e32 v38, v38
	v_fma_mix_f32 v37, v41, v38, v37 op_sel_hi:[1,0,0]
	v_mov_b32_e32 v38, 0
	s_waitcnt vmcnt(3)
	v_dot4c_i32_i8 v38, v26, v42
	v_mul_lo_u32 v38, v27, v38
	v_cvt_f32_i32_e32 v38, v38
	s_waitcnt vmcnt(2)
	v_fma_mix_f32 v35, v43, v38, v35 op_sel_hi:[1,0,0]
	v_mov_b32_e32 v38, 0
	v_dot4c_i32_i8 v38, v25, v42
	v_cvt_f32_i32_e32 v38, v38
	v_fma_mix_f32 v37, v43, v38, v37 op_sel_hi:[1,0,0]
	v_mov_b32_e32 v38, 0
	s_waitcnt vmcnt(1)
	v_dot4c_i32_i8 v38, v23, v36
	v_mul_lo_u32 v38, v24, v38
	v_cvt_f32_i32_e32 v38, v38
	s_waitcnt vmcnt(0)
	v_fma_mix_f32 v35, v34, v38, v35 op_sel_hi:[1,0,0]
	v_mov_b32_e32 v38, 0
	v_dot4c_i32_i8 v38, v22, v36
	v_cvt_f32_i32_e32 v36, v38
	v_fma_mix_f32 v34, v34, v36, v37 op_sel_hi:[1,0,0]
	v_mul_f32_e32 v34, v34, v21
	v_fma_mix_f32 v34, v35, v20, -v34 op_sel_hi:[0,1,0]
	v_add_f32_e32 v12, v12, v34
	v_add_nc_u32_e32 v34, s3, v17
	v_mad_u64_u32 v[34:35], null, v34, 36, v[2:3]
	v_add_co_u32 v36, vcc_lo, v34, v19
	v_add_co_ci_u32_e64 v37, null, 0, v35, vcc_lo
	s_clause 0x7
	global_load_dword v38, v[36:37], off offset:4
	global_load_dword v39, v[34:35], off
	global_load_dword v40, v[36:37], off offset:40
	global_load_dword v41, v[34:35], off offset:36
	global_load_dword v42, v[36:37], off offset:76
	global_load_dword v43, v[34:35], off offset:72
	global_load_dword v36, v[36:37], off offset:112
	global_load_dword v34, v[34:35], off offset:108
	v_mov_b32_e32 v35, 0
	v_mov_b32_e32 v37, 0
	s_waitcnt vmcnt(7)
	v_dot4c_i32_i8 v35, v32, v38
	v_dot4c_i32_i8 v37, v31, v38
	v_mov_b32_e32 v38, 0
	v_mul_lo_u32 v35, v33, v35
	v_cvt_f32_i32_e32 v37, v37
	s_waitcnt vmcnt(5)
	v_dot4c_i32_i8 v38, v29, v40
	v_fma_mix_f32 v37, v39, v37, 0 op_sel_hi:[1,0,0]
	v_mul_lo_u32 v38, v30, v38
	v_cvt_f32_i32_e32 v35, v35
	v_fma_mix_f32 v35, v39, v35, 0 op_sel_hi:[1,0,0]
	v_cvt_f32_i32_e32 v38, v38
	s_waitcnt vmcnt(4)
	v_fma_mix_f32 v35, v41, v38, v35 op_sel_hi:[1,0,0]
	v_mov_b32_e32 v38, 0
	v_dot4c_i32_i8 v38, v28, v40
	v_cvt_f32_i32_e32 v38, v38
	v_fma_mix_f32 v37, v41, v38, v37 op_sel_hi:[1,0,0]
	v_mov_b32_e32 v38, 0
	s_waitcnt vmcnt(3)
	v_dot4c_i32_i8 v38, v26, v42
	v_mul_lo_u32 v38, v27, v38
	v_cvt_f32_i32_e32 v38, v38
	s_waitcnt vmcnt(2)
	v_fma_mix_f32 v35, v43, v38, v35 op_sel_hi:[1,0,0]
	v_mov_b32_e32 v38, 0
	v_dot4c_i32_i8 v38, v25, v42
	v_cvt_f32_i32_e32 v38, v38
	v_fma_mix_f32 v37, v43, v38, v37 op_sel_hi:[1,0,0]
	v_mov_b32_e32 v38, 0
	s_waitcnt vmcnt(1)
	v_dot4c_i32_i8 v38, v23, v36
	v_mul_lo_u32 v38, v24, v38
	v_cvt_f32_i32_e32 v38, v38
	s_waitcnt vmcnt(0)
	v_fma_mix_f32 v35, v34, v38, v35 op_sel_hi:[1,0,0]
	v_mov_b32_e32 v38, 0
	v_dot4c_i32_i8 v38, v22, v36
	v_cvt_f32_i32_e32 v36, v38
	;; [unrolled: 59-line block ×6, first 2 shown]
	v_fma_mix_f32 v34, v34, v36, v37 op_sel_hi:[1,0,0]
	v_mul_f32_e32 v34, v34, v21
	v_fma_mix_f32 v34, v35, v20, -v34 op_sel_hi:[0,1,0]
	v_add_f32_e32 v7, v7, v34
	v_add_nc_u32_e32 v34, s17, v17
	v_add_nc_u32_e32 v17, 16, v17
	v_mad_u64_u32 v[34:35], null, v34, 36, v[2:3]
	v_add_co_u32 v36, vcc_lo, v34, v19
	v_add_co_ci_u32_e64 v37, null, 0, v35, vcc_lo
	s_clause 0x7
	global_load_dword v38, v[36:37], off offset:4
	global_load_dword v39, v[34:35], off
	global_load_dword v40, v[36:37], off offset:40
	global_load_dword v41, v[34:35], off offset:36
	;; [unrolled: 1-line block ×6, first 2 shown]
	v_mov_b32_e32 v35, 0
	v_add_co_u32 v4, vcc_lo, 0x240, v4
	v_add_co_ci_u32_e64 v5, null, 0, v5, vcc_lo
	v_cmp_le_u32_e32 vcc_lo, s10, v13
	s_or_b32 s16, vcc_lo, s16
	s_waitcnt vmcnt(7)
	v_dot4c_i32_i8 v35, v32, v38
	v_mul_lo_u32 v32, v33, v35
	v_mov_b32_e32 v33, 0
	v_dot4c_i32_i8 v33, v31, v38
	v_cvt_f32_i32_e32 v32, v32
	v_cvt_f32_i32_e32 v31, v33
	v_mov_b32_e32 v33, 0
	s_waitcnt vmcnt(6)
	v_fma_mix_f32 v32, v39, v32, 0 op_sel_hi:[1,0,0]
	v_fma_mix_f32 v31, v39, v31, 0 op_sel_hi:[1,0,0]
	s_waitcnt vmcnt(5)
	v_dot4c_i32_i8 v33, v29, v40
	v_mul_lo_u32 v29, v30, v33
	v_mov_b32_e32 v30, 0
	v_dot4c_i32_i8 v30, v28, v40
	v_cvt_f32_i32_e32 v29, v29
	v_cvt_f32_i32_e32 v28, v30
	v_mov_b32_e32 v30, 0
	s_waitcnt vmcnt(4)
	v_fma_mix_f32 v29, v41, v29, v32 op_sel_hi:[1,0,0]
	v_fma_mix_f32 v28, v41, v28, v31 op_sel_hi:[1,0,0]
	;; [unrolled: 11-line block ×3, first 2 shown]
	s_waitcnt vmcnt(1)
	v_dot4c_i32_i8 v27, v23, v36
	v_mul_lo_u32 v23, v24, v27
	v_mov_b32_e32 v24, 0
	v_dot4c_i32_i8 v24, v22, v36
	v_cvt_f32_i32_e32 v23, v23
	v_cvt_f32_i32_e32 v22, v24
	s_waitcnt vmcnt(0)
	v_fma_mix_f32 v23, v34, v23, v26 op_sel_hi:[1,0,0]
	v_fma_mix_f32 v22, v34, v22, v25 op_sel_hi:[1,0,0]
	v_mul_f32_e32 v21, v22, v21
	v_fma_mix_f32 v20, v23, v20, -v21 op_sel_hi:[0,1,0]
	v_add_f32_e32 v6, v6, v20
	s_andn2_b32 exec_lo, exec_lo, s16
	s_cbranch_execnz .LBB107_2
; %bb.3:
	s_or_b32 exec_lo, exec_lo, s16
.LBB107_4:
	s_or_b32 exec_lo, exec_lo, s9
	s_mov_b32 s1, 0
	; wave barrier
	buffer_gl0_inv
	s_mov_b32 s0, exec_lo
	v_cmpx_eq_u32_e32 0, v1
	s_cbranch_execz .LBB107_21
; %bb.5:
	v_mbcnt_lo_u32_b32 v5, -1, 0
	s_load_dwordx2 s[4:5], s[4:5], 0x38
	s_mul_i32 s0, s14, s7
	s_mul_i32 s3, s18, s8
	s_add_i32 s0, s0, s6
	v_xor_b32_e32 v1, 16, v5
	v_xor_b32_e32 v2, 8, v5
	v_xor_b32_e32 v15, 1, v5
	s_add_i32 s0, s0, s3
	s_lshl_b64 s[0:1], s[0:1], 2
	v_cmp_gt_i32_e32 vcc_lo, 32, v1
	v_cndmask_b32_e32 v1, v5, v1, vcc_lo
	v_cmp_gt_i32_e32 vcc_lo, 32, v2
	v_lshlrev_b32_e32 v1, 2, v1
	v_cndmask_b32_e32 v2, v5, v2, vcc_lo
	s_waitcnt lgkmcnt(0)
	s_add_u32 s0, s4, s0
	s_addc_u32 s1, s5, s1
	ds_bpermute_b32 v3, v1, v14
	v_lshlrev_b32_e32 v2, 2, v2
	s_waitcnt lgkmcnt(0)
	v_add_f32_e32 v4, v14, v3
	v_xor_b32_e32 v3, 4, v5
	ds_bpermute_b32 v13, v2, v4
	v_cmp_gt_i32_e32 vcc_lo, 32, v3
	v_cndmask_b32_e32 v3, v5, v3, vcc_lo
	v_lshlrev_b32_e32 v3, 2, v3
	s_waitcnt lgkmcnt(0)
	v_add_f32_e32 v13, v4, v13
	v_xor_b32_e32 v4, 2, v5
	ds_bpermute_b32 v14, v3, v13
	v_cmp_gt_i32_e32 vcc_lo, 32, v4
	v_cndmask_b32_e32 v4, v5, v4, vcc_lo
	v_cmp_gt_i32_e32 vcc_lo, 32, v15
	v_lshlrev_b32_e32 v4, 2, v4
	v_cndmask_b32_e32 v5, v5, v15, vcc_lo
	v_cmp_eq_u32_e32 vcc_lo, 0, v0
	v_lshlrev_b32_e32 v5, 2, v5
	s_waitcnt lgkmcnt(0)
	v_add_f32_e32 v13, v13, v14
	ds_bpermute_b32 v14, v4, v13
	s_waitcnt lgkmcnt(0)
	v_add_f32_e32 v13, v13, v14
	ds_bpermute_b32 v14, v5, v13
	s_and_saveexec_b32 s3, vcc_lo
	s_cbranch_execz .LBB107_7
; %bb.6:
	s_waitcnt lgkmcnt(0)
	v_add_f32_e32 v0, v13, v14
	v_mov_b32_e32 v13, 0
	global_store_dword v13, v0, s[0:1]
.LBB107_7:
	s_or_b32 exec_lo, exec_lo, s3
	ds_bpermute_b32 v0, v1, v12
	s_waitcnt lgkmcnt(0)
	v_add_f32_e32 v0, v12, v0
	ds_bpermute_b32 v12, v2, v0
	s_waitcnt lgkmcnt(0)
	v_add_f32_e32 v0, v0, v12
	;; [unrolled: 3-line block ×4, first 2 shown]
	ds_bpermute_b32 v12, v5, v0
	s_and_saveexec_b32 s4, vcc_lo
	s_cbranch_execz .LBB107_9
; %bb.8:
	s_mov_b32 s3, 0
	s_waitcnt lgkmcnt(0)
	v_add_f32_e32 v0, v0, v12
	s_lshl_b64 s[6:7], s[2:3], 2
	v_mov_b32_e32 v12, 0
	s_add_u32 s6, s0, s6
	s_addc_u32 s7, s1, s7
	global_store_dword v12, v0, s[6:7]
.LBB107_9:
	s_or_b32 exec_lo, exec_lo, s4
	ds_bpermute_b32 v0, v1, v11
	s_waitcnt lgkmcnt(0)
	v_add_f32_e32 v0, v11, v0
	ds_bpermute_b32 v11, v2, v0
	s_waitcnt lgkmcnt(0)
	v_add_f32_e32 v0, v0, v11
	;; [unrolled: 3-line block ×4, first 2 shown]
	ds_bpermute_b32 v11, v5, v0
	s_and_saveexec_b32 s3, vcc_lo
	s_cbranch_execz .LBB107_11
; %bb.10:
	s_lshl_b32 s4, s2, 1
	s_mov_b32 s5, 0
	s_waitcnt lgkmcnt(0)
	v_add_f32_e32 v0, v0, v11
	s_lshl_b64 s[4:5], s[4:5], 2
	v_mov_b32_e32 v11, 0
	s_add_u32 s4, s0, s4
	s_addc_u32 s5, s1, s5
	global_store_dword v11, v0, s[4:5]
.LBB107_11:
	s_or_b32 exec_lo, exec_lo, s3
	ds_bpermute_b32 v0, v1, v10
	s_waitcnt lgkmcnt(0)
	v_add_f32_e32 v0, v10, v0
	ds_bpermute_b32 v10, v2, v0
	s_waitcnt lgkmcnt(0)
	v_add_f32_e32 v0, v0, v10
	;; [unrolled: 3-line block ×4, first 2 shown]
	ds_bpermute_b32 v10, v5, v0
	s_and_saveexec_b32 s3, vcc_lo
	s_cbranch_execz .LBB107_13
; %bb.12:
	s_mul_i32 s4, s2, 3
	s_mov_b32 s5, 0
	s_waitcnt lgkmcnt(0)
	v_add_f32_e32 v0, v0, v10
	s_lshl_b64 s[4:5], s[4:5], 2
	v_mov_b32_e32 v10, 0
	s_add_u32 s4, s0, s4
	s_addc_u32 s5, s1, s5
	global_store_dword v10, v0, s[4:5]
.LBB107_13:
	s_or_b32 exec_lo, exec_lo, s3
	ds_bpermute_b32 v0, v1, v9
	s_waitcnt lgkmcnt(0)
	v_add_f32_e32 v0, v9, v0
	ds_bpermute_b32 v9, v2, v0
	s_waitcnt lgkmcnt(0)
	v_add_f32_e32 v0, v0, v9
	;; [unrolled: 3-line block ×4, first 2 shown]
	ds_bpermute_b32 v9, v5, v0
	s_and_saveexec_b32 s3, vcc_lo
	s_cbranch_execz .LBB107_15
; %bb.14:
	s_lshl_b32 s4, s2, 2
	s_mov_b32 s5, 0
	s_waitcnt lgkmcnt(0)
	v_add_f32_e32 v0, v0, v9
	s_lshl_b64 s[4:5], s[4:5], 2
	v_mov_b32_e32 v9, 0
	s_add_u32 s4, s0, s4
	s_addc_u32 s5, s1, s5
	global_store_dword v9, v0, s[4:5]
.LBB107_15:
	s_or_b32 exec_lo, exec_lo, s3
	ds_bpermute_b32 v0, v1, v8
	s_waitcnt lgkmcnt(0)
	v_add_f32_e32 v0, v8, v0
	ds_bpermute_b32 v8, v2, v0
	s_waitcnt lgkmcnt(0)
	v_add_f32_e32 v0, v0, v8
	;; [unrolled: 3-line block ×4, first 2 shown]
	ds_bpermute_b32 v8, v5, v0
	s_and_saveexec_b32 s3, vcc_lo
	s_cbranch_execz .LBB107_17
; %bb.16:
	s_mul_i32 s4, s2, 5
	s_mov_b32 s5, 0
	s_waitcnt lgkmcnt(0)
	v_add_f32_e32 v0, v0, v8
	s_lshl_b64 s[4:5], s[4:5], 2
	v_mov_b32_e32 v8, 0
	s_add_u32 s4, s0, s4
	s_addc_u32 s5, s1, s5
	global_store_dword v8, v0, s[4:5]
.LBB107_17:
	s_or_b32 exec_lo, exec_lo, s3
	ds_bpermute_b32 v0, v1, v7
	s_waitcnt lgkmcnt(0)
	v_add_f32_e32 v0, v7, v0
	ds_bpermute_b32 v7, v2, v0
	s_waitcnt lgkmcnt(0)
	v_add_f32_e32 v0, v0, v7
	;; [unrolled: 3-line block ×4, first 2 shown]
	ds_bpermute_b32 v7, v5, v0
	s_and_saveexec_b32 s3, vcc_lo
	s_cbranch_execz .LBB107_19
; %bb.18:
	s_mul_i32 s4, s2, 6
	s_mov_b32 s5, 0
	s_waitcnt lgkmcnt(0)
	v_add_f32_e32 v0, v0, v7
	s_lshl_b64 s[4:5], s[4:5], 2
	v_mov_b32_e32 v7, 0
	s_add_u32 s4, s0, s4
	s_addc_u32 s5, s1, s5
	global_store_dword v7, v0, s[4:5]
.LBB107_19:
	s_or_b32 exec_lo, exec_lo, s3
	ds_bpermute_b32 v0, v1, v6
	s_waitcnt lgkmcnt(0)
	v_add_f32_e32 v0, v6, v0
	ds_bpermute_b32 v1, v2, v0
	s_waitcnt lgkmcnt(0)
	v_add_f32_e32 v0, v0, v1
	;; [unrolled: 3-line block ×4, first 2 shown]
	ds_bpermute_b32 v1, v5, v0
	s_and_b32 exec_lo, exec_lo, vcc_lo
	s_cbranch_execz .LBB107_21
; %bb.20:
	s_mul_i32 s2, s2, 7
	s_mov_b32 s3, 0
	s_waitcnt lgkmcnt(0)
	v_add_f32_e32 v0, v0, v1
	s_lshl_b64 s[2:3], s[2:3], 2
	v_mov_b32_e32 v1, 0
	s_add_u32 s0, s0, s2
	s_addc_u32 s1, s1, s3
	global_store_dword v1, v0, s[0:1]
.LBB107_21:
	s_endpgm
	.section	.rodata,"a",@progbits
	.p2align	6, 0x0
	.amdhsa_kernel _ZL13mul_mat_vec_qIL9ggml_type10ELi8ELb0ELb0EEvPKvS2_PKi31ggml_cuda_mm_fusion_args_devicePfj15HIP_vector_typeIjLj3EEjjjS8_jjjS8_jjjj
		.amdhsa_group_segment_fixed_size 0
		.amdhsa_private_segment_fixed_size 0
		.amdhsa_kernarg_size 144
		.amdhsa_user_sgpr_count 6
		.amdhsa_user_sgpr_private_segment_buffer 1
		.amdhsa_user_sgpr_dispatch_ptr 0
		.amdhsa_user_sgpr_queue_ptr 0
		.amdhsa_user_sgpr_kernarg_segment_ptr 1
		.amdhsa_user_sgpr_dispatch_id 0
		.amdhsa_user_sgpr_flat_scratch_init 0
		.amdhsa_user_sgpr_private_segment_size 0
		.amdhsa_wavefront_size32 1
		.amdhsa_uses_dynamic_stack 0
		.amdhsa_system_sgpr_private_segment_wavefront_offset 0
		.amdhsa_system_sgpr_workgroup_id_x 1
		.amdhsa_system_sgpr_workgroup_id_y 1
		.amdhsa_system_sgpr_workgroup_id_z 1
		.amdhsa_system_sgpr_workgroup_info 0
		.amdhsa_system_vgpr_workitem_id 1
		.amdhsa_next_free_vgpr 44
		.amdhsa_next_free_sgpr 26
		.amdhsa_reserve_vcc 1
		.amdhsa_reserve_flat_scratch 0
		.amdhsa_float_round_mode_32 0
		.amdhsa_float_round_mode_16_64 0
		.amdhsa_float_denorm_mode_32 3
		.amdhsa_float_denorm_mode_16_64 3
		.amdhsa_dx10_clamp 1
		.amdhsa_ieee_mode 1
		.amdhsa_fp16_overflow 0
		.amdhsa_workgroup_processor_mode 1
		.amdhsa_memory_ordered 1
		.amdhsa_forward_progress 1
		.amdhsa_shared_vgpr_count 0
		.amdhsa_exception_fp_ieee_invalid_op 0
		.amdhsa_exception_fp_denorm_src 0
		.amdhsa_exception_fp_ieee_div_zero 0
		.amdhsa_exception_fp_ieee_overflow 0
		.amdhsa_exception_fp_ieee_underflow 0
		.amdhsa_exception_fp_ieee_inexact 0
		.amdhsa_exception_int_div_zero 0
	.end_amdhsa_kernel
	.section	.text._ZL13mul_mat_vec_qIL9ggml_type10ELi8ELb0ELb0EEvPKvS2_PKi31ggml_cuda_mm_fusion_args_devicePfj15HIP_vector_typeIjLj3EEjjjS8_jjjS8_jjjj,"axG",@progbits,_ZL13mul_mat_vec_qIL9ggml_type10ELi8ELb0ELb0EEvPKvS2_PKi31ggml_cuda_mm_fusion_args_devicePfj15HIP_vector_typeIjLj3EEjjjS8_jjjS8_jjjj,comdat
.Lfunc_end107:
	.size	_ZL13mul_mat_vec_qIL9ggml_type10ELi8ELb0ELb0EEvPKvS2_PKi31ggml_cuda_mm_fusion_args_devicePfj15HIP_vector_typeIjLj3EEjjjS8_jjjS8_jjjj, .Lfunc_end107-_ZL13mul_mat_vec_qIL9ggml_type10ELi8ELb0ELb0EEvPKvS2_PKi31ggml_cuda_mm_fusion_args_devicePfj15HIP_vector_typeIjLj3EEjjjS8_jjjS8_jjjj
                                        ; -- End function
	.set _ZL13mul_mat_vec_qIL9ggml_type10ELi8ELb0ELb0EEvPKvS2_PKi31ggml_cuda_mm_fusion_args_devicePfj15HIP_vector_typeIjLj3EEjjjS8_jjjS8_jjjj.num_vgpr, 44
	.set _ZL13mul_mat_vec_qIL9ggml_type10ELi8ELb0ELb0EEvPKvS2_PKi31ggml_cuda_mm_fusion_args_devicePfj15HIP_vector_typeIjLj3EEjjjS8_jjjS8_jjjj.num_agpr, 0
	.set _ZL13mul_mat_vec_qIL9ggml_type10ELi8ELb0ELb0EEvPKvS2_PKi31ggml_cuda_mm_fusion_args_devicePfj15HIP_vector_typeIjLj3EEjjjS8_jjjS8_jjjj.numbered_sgpr, 26
	.set _ZL13mul_mat_vec_qIL9ggml_type10ELi8ELb0ELb0EEvPKvS2_PKi31ggml_cuda_mm_fusion_args_devicePfj15HIP_vector_typeIjLj3EEjjjS8_jjjS8_jjjj.num_named_barrier, 0
	.set _ZL13mul_mat_vec_qIL9ggml_type10ELi8ELb0ELb0EEvPKvS2_PKi31ggml_cuda_mm_fusion_args_devicePfj15HIP_vector_typeIjLj3EEjjjS8_jjjS8_jjjj.private_seg_size, 0
	.set _ZL13mul_mat_vec_qIL9ggml_type10ELi8ELb0ELb0EEvPKvS2_PKi31ggml_cuda_mm_fusion_args_devicePfj15HIP_vector_typeIjLj3EEjjjS8_jjjS8_jjjj.uses_vcc, 1
	.set _ZL13mul_mat_vec_qIL9ggml_type10ELi8ELb0ELb0EEvPKvS2_PKi31ggml_cuda_mm_fusion_args_devicePfj15HIP_vector_typeIjLj3EEjjjS8_jjjS8_jjjj.uses_flat_scratch, 0
	.set _ZL13mul_mat_vec_qIL9ggml_type10ELi8ELb0ELb0EEvPKvS2_PKi31ggml_cuda_mm_fusion_args_devicePfj15HIP_vector_typeIjLj3EEjjjS8_jjjS8_jjjj.has_dyn_sized_stack, 0
	.set _ZL13mul_mat_vec_qIL9ggml_type10ELi8ELb0ELb0EEvPKvS2_PKi31ggml_cuda_mm_fusion_args_devicePfj15HIP_vector_typeIjLj3EEjjjS8_jjjS8_jjjj.has_recursion, 0
	.set _ZL13mul_mat_vec_qIL9ggml_type10ELi8ELb0ELb0EEvPKvS2_PKi31ggml_cuda_mm_fusion_args_devicePfj15HIP_vector_typeIjLj3EEjjjS8_jjjS8_jjjj.has_indirect_call, 0
	.section	.AMDGPU.csdata,"",@progbits
; Kernel info:
; codeLenInByte = 4460
; TotalNumSgprs: 28
; NumVgprs: 44
; ScratchSize: 0
; MemoryBound: 0
; FloatMode: 240
; IeeeMode: 1
; LDSByteSize: 0 bytes/workgroup (compile time only)
; SGPRBlocks: 0
; VGPRBlocks: 5
; NumSGPRsForWavesPerEU: 28
; NumVGPRsForWavesPerEU: 44
; Occupancy: 16
; WaveLimiterHint : 0
; COMPUTE_PGM_RSRC2:SCRATCH_EN: 0
; COMPUTE_PGM_RSRC2:USER_SGPR: 6
; COMPUTE_PGM_RSRC2:TRAP_HANDLER: 0
; COMPUTE_PGM_RSRC2:TGID_X_EN: 1
; COMPUTE_PGM_RSRC2:TGID_Y_EN: 1
; COMPUTE_PGM_RSRC2:TGID_Z_EN: 1
; COMPUTE_PGM_RSRC2:TIDIG_COMP_CNT: 1
	.section	.text._ZL17mul_mat_vec_q_moeIL9ggml_type11ELi2EEvPKvS2_PKiPfj15HIP_vector_typeIjLj3EEjjjjjjjjj,"axG",@progbits,_ZL17mul_mat_vec_q_moeIL9ggml_type11ELi2EEvPKvS2_PKiPfj15HIP_vector_typeIjLj3EEjjjjjjjjj,comdat
	.globl	_ZL17mul_mat_vec_q_moeIL9ggml_type11ELi2EEvPKvS2_PKiPfj15HIP_vector_typeIjLj3EEjjjjjjjjj ; -- Begin function _ZL17mul_mat_vec_q_moeIL9ggml_type11ELi2EEvPKvS2_PKiPfj15HIP_vector_typeIjLj3EEjjjjjjjjj
	.p2align	8
	.type	_ZL17mul_mat_vec_q_moeIL9ggml_type11ELi2EEvPKvS2_PKiPfj15HIP_vector_typeIjLj3EEjjjjjjjjj,@function
_ZL17mul_mat_vec_q_moeIL9ggml_type11ELi2EEvPKvS2_PKiPfj15HIP_vector_typeIjLj3EEjjjjjjjjj: ; @_ZL17mul_mat_vec_q_moeIL9ggml_type11ELi2EEvPKvS2_PKiPfj15HIP_vector_typeIjLj3EEjjjjjjjjj
; %bb.0:
	s_load_dwordx8 s[16:23], s[4:5], 0x30
	s_mov_b32 s0, exec_lo
	s_waitcnt lgkmcnt(0)
	v_cmpx_gt_u32_e64 s23, v1
	s_cbranch_execz .LBB108_7
; %bb.1:
	s_clause 0x2
	s_load_dword s1, s[4:5], 0x20
	s_load_dword s0, s[4:5], 0x50
	s_load_dwordx8 s[8:15], s[4:5], 0x0
	v_lshrrev_b32_e32 v8, 4, v0
	v_mov_b32_e32 v9, 0
	v_mov_b32_e32 v3, 0
	s_mov_b32 s24, s7
	s_lshl_b32 s6, s6, 1
	s_mov_b32 s23, exec_lo
	s_waitcnt lgkmcnt(0)
	s_lshr_b32 s7, s1, 8
	v_cmpx_gt_u32_e64 s7, v8
	s_cbranch_execz .LBB108_5
; %bb.2:
	v_mad_u64_u32 v[2:3], null, s0, v1, s[24:25]
	v_mov_b32_e32 v3, 0
	s_load_dwordx4 s[0:3], s[4:5], 0x24
	v_bfe_u32 v12, v0, 3, 1
	v_lshrrev_b32_e32 v13, 4, v0
	v_and_b32_e32 v11, 8, v0
	v_mul_lo_u32 v7, s18, v1
	v_lshlrev_b64 v[4:5], 2, v[2:3]
	v_bfe_u32 v2, v0, 2, 1
	v_and_b32_e32 v9, 7, v0
	s_waitcnt lgkmcnt(0)
	s_add_i32 s3, s6, 1
	v_or_b32_e32 v14, v2, v11
	v_add_co_u32 v4, vcc_lo, s12, v4
	v_add_co_ci_u32_e64 v5, null, s13, v5, vcc_lo
	v_lshlrev_b32_e32 v21, 1, v9
	v_or_b32_e32 v15, 4, v14
	v_lshrrev_b32_e32 v11, 1, v11
	global_load_dword v6, v[4:5], off
	v_lshrrev_b32_e32 v4, 1, v0
	v_lshlrev_b32_e32 v5, 1, v0
	s_mul_hi_u32 s0, s0, s24
	s_add_i32 s0, s24, s0
	v_and_b32_e32 v10, 4, v4
	v_and_b32_e32 v20, 30, v5
	v_mul_hi_u32_u24_e32 v5, 0x90, v12
	v_mul_u32_u24_e32 v4, 0x90, v12
	s_lshr_b32 s0, s0, s1
	v_lshlrev_b32_e32 v12, 2, v9
	s_mul_i32 s0, s0, s2
	v_or_b32_e32 v9, 6, v14
	v_mad_u64_u32 v[4:5], null, 0x120, v13, v[4:5]
	s_sub_i32 s0, s24, s0
	v_and_b32_e32 v13, 5, v15
	s_mul_i32 s0, s0, s21
	v_lshrrev_b32_e32 v14, 1, v15
	s_mul_i32 s1, s0, 36
	v_and_b32_e32 v15, 7, v9
	v_mad_u64_u32 v[18:19], null, v7, 36, v[4:5]
	v_and_b32_e32 v16, 3, v9
	v_lshrrev_b32_e32 v9, 1, v9
	s_mul_hi_u32 s0, s0, 36
	s_add_u32 s1, s10, s1
	s_addc_u32 s0, s11, s0
	v_and_b32_e32 v17, 6, v9
	v_mov_b32_e32 v9, v3
	s_waitcnt vmcnt(0)
	v_mul_lo_u32 v6, v6, s20
	v_mad_u64_u32 v[4:5], null, s6, s17, v[6:7]
	v_mad_u64_u32 v[5:6], null, s17, s3, v[6:7]
	v_add_co_u32 v6, vcc_lo, s1, v18
	v_add_co_ci_u32_e64 v7, null, s0, v19, vcc_lo
	v_lshlrev_b32_e32 v18, 1, v20
	v_lshlrev_b32_e32 v19, 1, v21
	s_mov_b32 s1, 0
.LBB108_3:                              ; =>This Inner Loop Header: Depth=1
	v_add_nc_u32_e32 v20, v4, v8
	v_add_co_u32 v24, vcc_lo, v6, v12
	v_add_nc_u32_e32 v21, v5, v8
	v_add_co_ci_u32_e64 v25, null, 0, v7, vcc_lo
	v_mad_i64_i32 v[26:27], null, 0x6e, v20, s[8:9]
	v_mad_i64_i32 v[28:29], null, 0x6e, v21, s[8:9]
	s_clause 0x3
	global_load_dword v20, v[24:25], off offset:4
	global_load_dword v21, v[24:25], off offset:40
	;; [unrolled: 1-line block ×4, first 2 shown]
	v_add_nc_u32_e32 v8, 2, v8
	v_add_co_u32 v30, vcc_lo, v26, v18
	v_add_co_ci_u32_e64 v31, null, 0, v27, vcc_lo
	v_add_co_u32 v32, vcc_lo, v26, v19
	v_add_co_ci_u32_e64 v33, null, 0, v27, vcc_lo
	;; [unrolled: 2-line block ×10, first 2 shown]
	v_add_co_u32 v50, vcc_lo, v28, v15
	global_load_ushort v24, v[28:29], off offset:108
	v_add_co_ci_u32_e64 v51, null, 0, v29, vcc_lo
	v_add_co_u32 v28, vcc_lo, v28, v16
	v_add_co_ci_u32_e64 v29, null, 0, v29, vcc_lo
	s_clause 0x12
	global_load_ushort v25, v[26:27], off offset:108
	global_load_dword v26, v[32:33], off
	global_load_ubyte v27, v[34:35], off offset:96
	global_load_ubyte v32, v[34:35], off offset:106
	;; [unrolled: 1-line block ×4, first 2 shown]
	global_load_dword v30, v[30:31], off offset:32
	global_load_dword v31, v[44:45], off
	global_load_ubyte v37, v[46:47], off offset:96
	global_load_ubyte v44, v[46:47], off offset:98
	global_load_dword v42, v[42:43], off offset:32
	global_load_ubyte v34, v[34:35], off offset:104
	global_load_ubyte v35, v[38:39], off offset:96
	;; [unrolled: 1-line block ×8, first 2 shown]
	v_cmp_le_u32_e64 s0, s7, v8
	s_or_b32 s1, s0, s1
	s_waitcnt vmcnt(17)
	v_ashrrev_i32_e32 v26, v10, v26
	s_waitcnt vmcnt(16)
	v_bfe_u32 v27, v27, v11, 4
	s_waitcnt vmcnt(15)
	v_lshrrev_b32_e32 v32, v11, v32
	s_waitcnt vmcnt(14)
	v_bfe_u32 v33, v33, v11, 4
	s_waitcnt vmcnt(13)
	v_bfe_u32 v36, v36, v11, 4
	s_waitcnt vmcnt(12)
	v_lshrrev_b32_e32 v29, 4, v30
	v_not_b32_e32 v26, v26
	s_waitcnt vmcnt(11)
	v_ashrrev_i32_e32 v31, v10, v31
	v_lshlrev_b32_e32 v32, 4, v32
	s_waitcnt vmcnt(8)
	v_lshrrev_b32_e32 v45, 4, v42
	s_waitcnt vmcnt(7)
	v_lshrrev_b32_e32 v46, v11, v34
	v_lshrrev_b32_e32 v34, v14, v34
	s_waitcnt vmcnt(5)
	v_lshrrev_b32_e32 v38, v17, v38
	v_and_b32_e32 v53, 0x3030303, v29
	v_bfe_u32 v35, v35, v11, 4
	v_lshlrev_b32_e32 v46, 4, v46
	s_waitcnt vmcnt(1)
	v_bfe_u32 v43, v43, v11, 4
	s_waitcnt vmcnt(0)
	v_lshrrev_b32_e32 v28, v17, v28
	v_lshlrev_b32_e32 v34, 4, v34
	v_lshrrev_b32_e32 v51, v11, v39
	v_and_or_b32 v27, v46, 48, v27
	v_and_b32_e32 v46, 0x4040404, v26
	v_lshlrev_b32_e32 v28, 4, v28
	v_lshrrev_b32_e32 v39, v14, v39
	v_not_b32_e32 v31, v31
	v_lshlrev_b32_e32 v38, 4, v38
	v_and_or_b32 v33, v34, 48, v33
	v_lshrrev_b16 v34, 8, v53
	v_and_or_b32 v28, v28, 48, v43
	v_lshrrev_b16 v43, 8, v46
	v_bfe_u32 v37, v37, v11, 4
	v_lshrrev_b32_e32 v40, v11, v40
	v_bfe_u32 v41, v41, v11, 4
	v_and_b32_e32 v54, 0x3030303, v45
	v_lshlrev_b32_e32 v51, 4, v51
	v_lshlrev_b32_e32 v39, 4, v39
	v_and_or_b32 v32, v32, 48, v36
	v_lshrrev_b32_e32 v36, 16, v53
	v_and_or_b32 v35, v38, 48, v35
	v_and_b32_e32 v38, 0x4040404, v31
	v_sub_nc_u16 v34, v34, v43
	v_lshrrev_b32_e32 v43, 24, v46
	v_sub_nc_u16 v53, v53, v46
	v_lshrrev_b32_e32 v46, 16, v46
	v_bfe_u32 v44, v44, v11, 4
	v_bfe_u32 v29, v29, 24, 2
	v_lshlrev_b32_e32 v40, 4, v40
	v_and_or_b32 v37, v51, 48, v37
	v_lshrrev_b16 v51, 8, v54
	v_and_or_b32 v39, v39, 48, v41
	v_lshlrev_b32_e32 v41, 2, v26
	v_sub_nc_u16 v36, v36, v46
	v_lshrrev_b16 v46, 8, v38
	v_and_b32_e32 v47, 0x3030303, v30
	v_bfe_u32 v45, v45, 24, 2
	v_and_or_b32 v40, v40, 48, v44
	v_lshrrev_b32_e32 v44, 16, v54
	v_sub_nc_u16 v29, v29, v43
	v_sub_nc_u16 v46, v51, v46
	v_lshrrev_b32_e32 v51, 24, v38
	v_sub_nc_u16 v54, v54, v38
	v_lshrrev_b32_e32 v38, 16, v38
	v_and_b32_e32 v41, 0x4040404, v41
	v_lshrrev_b32_e32 v49, 2, v30
	v_lshrrev_b16 v56, 8, v47
	v_sub_nc_u16 v45, v45, v51
	v_lshlrev_b32_e32 v51, 1, v26
	v_sub_nc_u16 v38, v44, v38
	v_lshrrev_b16 v44, 8, v41
	v_lshlrev_b16 v29, 8, v29
	v_bfe_u32 v48, v30, 24, 2
	v_lshrrev_b32_e32 v55, 16, v47
	v_and_b32_e32 v57, 0x3030303, v49
	v_sub_nc_u16 v44, v56, v44
	v_lshrrev_b32_e32 v56, 24, v41
	v_and_b32_e32 v51, 0x4040404, v51
	v_sub_nc_u16 v47, v47, v41
	v_lshrrev_b32_e32 v41, 16, v41
	v_lshlrev_b16 v34, 8, v34
	v_or_b32_sdwa v29, v36, v29 dst_sel:WORD_1 dst_unused:UNUSED_PAD src0_sel:BYTE_0 src1_sel:DWORD
	v_lshlrev_b16 v36, 8, v46
	v_lshlrev_b16 v45, 8, v45
	v_sub_nc_u16 v48, v48, v56
	v_lshrrev_b16 v56, 8, v57
	v_sub_nc_u16 v41, v55, v41
	v_lshrrev_b16 v55, 8, v51
	v_or_b32_sdwa v34, v53, v34 dst_sel:DWORD dst_unused:UNUSED_PAD src0_sel:BYTE_0 src1_sel:DWORD
	v_or_b32_sdwa v36, v54, v36 dst_sel:DWORD dst_unused:UNUSED_PAD src0_sel:BYTE_0 src1_sel:DWORD
	v_or_b32_sdwa v38, v38, v45 dst_sel:WORD_1 dst_unused:UNUSED_PAD src0_sel:BYTE_0 src1_sel:DWORD
	v_bfe_u32 v49, v49, 24, 2
	v_sub_nc_u16 v55, v56, v55
	v_lshrrev_b32_e32 v56, 24, v51
	v_or_b32_sdwa v29, v34, v29 dst_sel:DWORD dst_unused:UNUSED_PAD src0_sel:WORD_0 src1_sel:DWORD
	v_or_b32_sdwa v34, v36, v38 dst_sel:DWORD dst_unused:UNUSED_PAD src0_sel:WORD_0 src1_sel:DWORD
	v_lshlrev_b16 v38, 8, v48
	v_lshrrev_b32_e32 v43, 16, v57
	v_sub_nc_u16 v49, v49, v56
	v_sub_nc_u16 v57, v57, v51
	v_lshrrev_b32_e32 v51, 16, v51
	v_or_b32_sdwa v38, v41, v38 dst_sel:WORD_1 dst_unused:UNUSED_PAD src0_sel:BYTE_0 src1_sel:DWORD
	s_clause 0x2
	global_load_dword v41, v[6:7], off
	global_load_dword v45, v[6:7], off offset:36
	global_load_dword v48, v[6:7], off offset:108
	v_sub_nc_u16 v43, v43, v51
	v_lshlrev_b16 v46, 8, v49
	v_lshrrev_b32_e32 v50, 6, v30
	v_lshrrev_b32_e32 v26, 1, v26
	;; [unrolled: 1-line block ×3, first 2 shown]
	v_and_b32_e32 v52, 0x3030303, v42
	v_or_b32_sdwa v43, v43, v46 dst_sel:WORD_1 dst_unused:UNUSED_PAD src0_sel:BYTE_0 src1_sel:DWORD
	global_load_dword v46, v[6:7], off offset:72
	v_and_b32_e32 v50, 0x3030303, v50
	v_and_b32_e32 v26, 0x4040404, v26
	v_lshrrev_b16 v58, 8, v52
	v_lshrrev_b32_e32 v61, 2, v42
	v_lshlrev_b16 v36, 8, v44
	v_lshrrev_b16 v56, 8, v50
	v_lshrrev_b16 v51, 8, v26
	v_lshlrev_b16 v44, 8, v55
	v_and_b32_e32 v62, 0x3030303, v61
	v_bfe_u32 v61, v61, 24, 2
	v_or_b32_sdwa v36, v47, v36 dst_sel:DWORD dst_unused:UNUSED_PAD src0_sel:BYTE_0 src1_sel:DWORD
	v_sub_nc_u16 v51, v56, v51
	v_lshrrev_b32_e32 v56, 24, v26
	v_lshrrev_b16 v63, 8, v62
	v_or_b32_sdwa v44, v57, v44 dst_sel:DWORD dst_unused:UNUSED_PAD src0_sel:BYTE_0 src1_sel:DWORD
	v_mov_b32_e32 v54, 0
	v_lshlrev_b16 v47, 8, v51
	v_sub_nc_u16 v30, v30, v56
	v_lshrrev_b32_e32 v56, 16, v50
	v_sub_nc_u16 v50, v50, v26
	v_lshrrev_b32_e32 v26, 16, v26
	v_subrev_nc_u32_e32 v27, 32, v27
	v_lshlrev_b16 v30, 8, v30
	v_subrev_nc_u32_e32 v37, 32, v37
	v_or_b32_sdwa v47, v50, v47 dst_sel:DWORD dst_unused:UNUSED_PAD src0_sel:BYTE_0 src1_sel:DWORD
	v_sub_nc_u16 v26, v56, v26
	v_lshlrev_b32_e32 v56, 2, v31
	v_mov_b32_e32 v50, 0
	v_subrev_nc_u32_e32 v32, 32, v32
	v_subrev_nc_u32_e32 v40, 32, v40
	v_or_b32_sdwa v26, v26, v30 dst_sel:WORD_1 dst_unused:UNUSED_PAD src0_sel:BYTE_0 src1_sel:DWORD
	v_and_b32_e32 v56, 0x4040404, v56
	v_mov_b32_e32 v30, 0
	v_dot4c_i32_i8 v50, v34, v23
	v_or_b32_sdwa v34, v44, v43 dst_sel:DWORD dst_unused:UNUSED_PAD src0_sel:WORD_0 src1_sel:DWORD
	v_or_b32_sdwa v26, v47, v26 dst_sel:DWORD dst_unused:UNUSED_PAD src0_sel:WORD_0 src1_sel:DWORD
	v_lshrrev_b16 v59, 8, v56
	v_lshrrev_b32_e32 v60, 24, v56
	v_dot4c_i32_i8 v30, v29, v23
	v_or_b32_sdwa v23, v36, v38 dst_sel:DWORD dst_unused:UNUSED_PAD src0_sel:WORD_0 src1_sel:DWORD
	v_mov_b32_e32 v29, 0
	v_sub_nc_u16 v58, v58, v59
	v_bfe_u32 v59, v42, 24, 2
	v_dot4c_i32_i8 v54, v34, v21
	v_subrev_nc_u32_e32 v33, 32, v33
	v_subrev_nc_u32_e32 v39, 32, v39
	v_lshlrev_b16 v49, 8, v58
	v_sub_nc_u16 v59, v59, v60
	v_lshrrev_b32_e32 v60, 16, v52
	v_sub_nc_u16 v52, v52, v56
	v_lshrrev_b32_e32 v56, 16, v56
	v_mov_b32_e32 v58, 0
	v_lshlrev_b16 v51, 8, v59
	v_subrev_nc_u32_e32 v35, 32, v35
	v_or_b32_sdwa v49, v52, v49 dst_sel:DWORD dst_unused:UNUSED_PAD src0_sel:BYTE_0 src1_sel:DWORD
	v_sub_nc_u16 v56, v60, v56
	v_lshlrev_b32_e32 v60, 1, v31
	v_lshrrev_b32_e32 v31, 1, v31
	v_mov_b32_e32 v52, 0
	v_subrev_nc_u32_e32 v28, 32, v28
	v_or_b32_sdwa v51, v56, v51 dst_sel:WORD_1 dst_unused:UNUSED_PAD src0_sel:BYTE_0 src1_sel:DWORD
	v_and_b32_e32 v60, 0x4040404, v60
	v_and_b32_e32 v31, 0x4040404, v31
	v_mov_b32_e32 v56, 0
	v_dot4c_i32_i8 v52, v23, v20
	v_or_b32_sdwa v36, v49, v51 dst_sel:DWORD dst_unused:UNUSED_PAD src0_sel:WORD_0 src1_sel:DWORD
	v_lshrrev_b16 v64, 8, v60
	v_lshrrev_b16 v66, 8, v31
	v_dot4c_i32_i8 v56, v26, v22
	v_mul_lo_u32 v26, v32, v54
	v_dot4c_i32_i8 v58, v36, v20
	v_sub_nc_u16 v63, v63, v64
	v_lshrrev_b32_e32 v64, 24, v60
	v_mul_lo_u32 v23, v33, v30
	v_mul_lo_u32 v20, v39, v50
	;; [unrolled: 1-line block ×3, first 2 shown]
	v_lshlrev_b16 v53, 8, v63
	v_sub_nc_u16 v61, v61, v64
	v_lshrrev_b32_e32 v64, 16, v62
	v_sub_nc_u16 v62, v62, v60
	v_lshrrev_b32_e32 v60, 16, v60
	v_cvt_f32_i32_e32 v26, v26
	v_lshlrev_b16 v55, 8, v61
	v_cvt_f32_i32_e32 v23, v23
	v_or_b32_sdwa v53, v62, v53 dst_sel:DWORD dst_unused:UNUSED_PAD src0_sel:BYTE_0 src1_sel:DWORD
	v_sub_nc_u16 v60, v64, v60
	v_lshrrev_b32_e32 v64, 6, v42
	v_lshrrev_b32_e32 v42, 30, v42
	v_cvt_f32_i32_e32 v20, v20
	v_add_co_u32 v6, vcc_lo, 0x240, v6
	v_and_b32_e32 v64, 0x3030303, v64
	v_or_b32_sdwa v55, v60, v55 dst_sel:WORD_1 dst_unused:UNUSED_PAD src0_sel:BYTE_0 src1_sel:DWORD
	v_add_co_ci_u32_e64 v7, null, 0, v7, vcc_lo
	v_lshrrev_b16 v65, 8, v64
	v_or_b32_sdwa v38, v53, v55 dst_sel:DWORD dst_unused:UNUSED_PAD src0_sel:WORD_0 src1_sel:DWORD
	v_sub_nc_u16 v65, v65, v66
	v_lshrrev_b32_e32 v66, 24, v31
	v_lshlrev_b16 v57, 8, v65
	v_sub_nc_u16 v42, v42, v66
	v_lshrrev_b32_e32 v66, 16, v64
	v_sub_nc_u16 v64, v64, v31
	v_lshrrev_b32_e32 v31, 16, v31
	v_lshlrev_b16 v42, 8, v42
	v_or_b32_sdwa v57, v64, v57 dst_sel:DWORD dst_unused:UNUSED_PAD src0_sel:BYTE_0 src1_sel:DWORD
	v_sub_nc_u16 v31, v66, v31
	v_or_b32_sdwa v31, v31, v42 dst_sel:WORD_1 dst_unused:UNUSED_PAD src0_sel:BYTE_0 src1_sel:DWORD
	v_mov_b32_e32 v42, 0
	v_or_b32_sdwa v31, v57, v31 dst_sel:DWORD dst_unused:UNUSED_PAD src0_sel:WORD_0 src1_sel:DWORD
	v_dot4c_i32_i8 v42, v38, v21
	v_mul_lo_u32 v21, v27, v52
	v_dot4c_i32_i8 v29, v31, v22
	v_mul_lo_u32 v22, v37, v58
	v_mul_lo_u32 v27, v40, v42
	v_cvt_f32_i32_e32 v21, v21
	v_mul_lo_u32 v28, v28, v29
	v_cvt_f32_i32_e32 v22, v22
	v_cvt_f32_i32_e32 v27, v27
	s_waitcnt vmcnt(3)
	v_fma_mix_f32 v21, v41, v21, 0 op_sel_hi:[1,0,0]
	v_fma_mix_f32 v22, v41, v22, 0 op_sel_hi:[1,0,0]
	s_waitcnt vmcnt(2)
	v_fma_mix_f32 v21, v45, v26, v21 op_sel_hi:[1,0,0]
	v_fma_mix_f32 v22, v45, v27, v22 op_sel_hi:[1,0,0]
	v_cvt_f32_i32_e32 v26, v30
	v_cvt_f32_i32_e32 v27, v28
	s_waitcnt vmcnt(0)
	v_fma_mix_f32 v21, v46, v23, v21 op_sel_hi:[1,0,0]
	v_fma_mix_f32 v20, v46, v20, v22 op_sel_hi:[1,0,0]
	;; [unrolled: 1-line block ×6, first 2 shown]
	s_andn2_b32 exec_lo, exec_lo, s1
	s_cbranch_execnz .LBB108_3
; %bb.4:
	s_or_b32 exec_lo, exec_lo, s1
.LBB108_5:
	s_or_b32 exec_lo, exec_lo, s23
	v_mbcnt_lo_u32_b32 v2, -1, 0
	v_xor_b32_e32 v4, 16, v2
	v_xor_b32_e32 v6, 8, v2
	;; [unrolled: 1-line block ×3, first 2 shown]
	v_cmp_gt_i32_e32 vcc_lo, 32, v4
	v_cndmask_b32_e32 v4, v2, v4, vcc_lo
	v_cmp_gt_i32_e32 vcc_lo, 32, v6
	v_lshlrev_b32_e32 v4, 2, v4
	v_cndmask_b32_e32 v6, v2, v6, vcc_lo
	v_cmp_gt_i32_e32 vcc_lo, 32, v7
	ds_bpermute_b32 v5, v4, v3
	ds_bpermute_b32 v4, v4, v9
	v_lshlrev_b32_e32 v6, 2, v6
	v_cndmask_b32_e32 v7, v2, v7, vcc_lo
	v_lshlrev_b32_e32 v7, 2, v7
	s_waitcnt lgkmcnt(1)
	v_add_f32_e32 v3, v3, v5
	s_waitcnt lgkmcnt(0)
	v_add_f32_e32 v4, v9, v4
	ds_bpermute_b32 v5, v6, v3
	ds_bpermute_b32 v6, v6, v4
	s_waitcnt lgkmcnt(1)
	v_add_f32_e32 v3, v3, v5
	s_waitcnt lgkmcnt(0)
	v_add_f32_e32 v4, v4, v6
	ds_bpermute_b32 v5, v7, v3
	ds_bpermute_b32 v6, v7, v4
	v_xor_b32_e32 v7, 2, v2
	v_cmp_gt_i32_e32 vcc_lo, 32, v7
	v_cndmask_b32_e32 v7, v2, v7, vcc_lo
	v_lshlrev_b32_e32 v7, 2, v7
	s_waitcnt lgkmcnt(1)
	v_add_f32_e32 v3, v3, v5
	s_waitcnt lgkmcnt(0)
	v_add_f32_e32 v4, v4, v6
	ds_bpermute_b32 v5, v7, v3
	ds_bpermute_b32 v6, v7, v4
	v_xor_b32_e32 v7, 1, v2
	v_cmp_gt_i32_e32 vcc_lo, 32, v7
	v_cndmask_b32_e32 v2, v2, v7, vcc_lo
	v_cmp_gt_u32_e32 vcc_lo, 2, v0
	v_lshlrev_b32_e32 v7, 2, v2
	s_waitcnt lgkmcnt(1)
	v_add_f32_e32 v2, v3, v5
	s_waitcnt lgkmcnt(0)
	v_add_f32_e32 v3, v4, v6
	v_add_nc_u32_e32 v6, s6, v0
	ds_bpermute_b32 v4, v7, v2
	ds_bpermute_b32 v5, v7, v3
	v_cmp_gt_u32_e64 s0, s16, v6
	s_and_b32 s0, vcc_lo, s0
	s_and_b32 exec_lo, exec_lo, s0
	s_cbranch_execz .LBB108_7
; %bb.6:
	v_mul_lo_u32 v1, s19, v1
	v_or_b32_e32 v6, s6, v0
	s_mul_i32 s0, s22, s24
	v_mov_b32_e32 v7, 0
	s_waitcnt lgkmcnt(1)
	v_add_f32_e32 v4, v2, v4
	s_waitcnt lgkmcnt(0)
	v_add_f32_e32 v3, v3, v5
	v_cmp_eq_u32_e32 vcc_lo, 1, v0
	v_add3_u32 v6, v6, v1, s0
	v_cndmask_b32_e32 v3, v4, v3, vcc_lo
	v_lshlrev_b64 v[1:2], 2, v[6:7]
	v_add_co_u32 v0, vcc_lo, s14, v1
	v_add_co_ci_u32_e64 v1, null, s15, v2, vcc_lo
	global_store_dword v[0:1], v3, off
.LBB108_7:
	s_endpgm
	.section	.rodata,"a",@progbits
	.p2align	6, 0x0
	.amdhsa_kernel _ZL17mul_mat_vec_q_moeIL9ggml_type11ELi2EEvPKvS2_PKiPfj15HIP_vector_typeIjLj3EEjjjjjjjjj
		.amdhsa_group_segment_fixed_size 0
		.amdhsa_private_segment_fixed_size 0
		.amdhsa_kernarg_size 84
		.amdhsa_user_sgpr_count 6
		.amdhsa_user_sgpr_private_segment_buffer 1
		.amdhsa_user_sgpr_dispatch_ptr 0
		.amdhsa_user_sgpr_queue_ptr 0
		.amdhsa_user_sgpr_kernarg_segment_ptr 1
		.amdhsa_user_sgpr_dispatch_id 0
		.amdhsa_user_sgpr_flat_scratch_init 0
		.amdhsa_user_sgpr_private_segment_size 0
		.amdhsa_wavefront_size32 1
		.amdhsa_uses_dynamic_stack 0
		.amdhsa_system_sgpr_private_segment_wavefront_offset 0
		.amdhsa_system_sgpr_workgroup_id_x 1
		.amdhsa_system_sgpr_workgroup_id_y 1
		.amdhsa_system_sgpr_workgroup_id_z 0
		.amdhsa_system_sgpr_workgroup_info 0
		.amdhsa_system_vgpr_workitem_id 1
		.amdhsa_next_free_vgpr 67
		.amdhsa_next_free_sgpr 26
		.amdhsa_reserve_vcc 1
		.amdhsa_reserve_flat_scratch 0
		.amdhsa_float_round_mode_32 0
		.amdhsa_float_round_mode_16_64 0
		.amdhsa_float_denorm_mode_32 3
		.amdhsa_float_denorm_mode_16_64 3
		.amdhsa_dx10_clamp 1
		.amdhsa_ieee_mode 1
		.amdhsa_fp16_overflow 0
		.amdhsa_workgroup_processor_mode 1
		.amdhsa_memory_ordered 1
		.amdhsa_forward_progress 1
		.amdhsa_shared_vgpr_count 0
		.amdhsa_exception_fp_ieee_invalid_op 0
		.amdhsa_exception_fp_denorm_src 0
		.amdhsa_exception_fp_ieee_div_zero 0
		.amdhsa_exception_fp_ieee_overflow 0
		.amdhsa_exception_fp_ieee_underflow 0
		.amdhsa_exception_fp_ieee_inexact 0
		.amdhsa_exception_int_div_zero 0
	.end_amdhsa_kernel
	.section	.text._ZL17mul_mat_vec_q_moeIL9ggml_type11ELi2EEvPKvS2_PKiPfj15HIP_vector_typeIjLj3EEjjjjjjjjj,"axG",@progbits,_ZL17mul_mat_vec_q_moeIL9ggml_type11ELi2EEvPKvS2_PKiPfj15HIP_vector_typeIjLj3EEjjjjjjjjj,comdat
.Lfunc_end108:
	.size	_ZL17mul_mat_vec_q_moeIL9ggml_type11ELi2EEvPKvS2_PKiPfj15HIP_vector_typeIjLj3EEjjjjjjjjj, .Lfunc_end108-_ZL17mul_mat_vec_q_moeIL9ggml_type11ELi2EEvPKvS2_PKiPfj15HIP_vector_typeIjLj3EEjjjjjjjjj
                                        ; -- End function
	.set _ZL17mul_mat_vec_q_moeIL9ggml_type11ELi2EEvPKvS2_PKiPfj15HIP_vector_typeIjLj3EEjjjjjjjjj.num_vgpr, 67
	.set _ZL17mul_mat_vec_q_moeIL9ggml_type11ELi2EEvPKvS2_PKiPfj15HIP_vector_typeIjLj3EEjjjjjjjjj.num_agpr, 0
	.set _ZL17mul_mat_vec_q_moeIL9ggml_type11ELi2EEvPKvS2_PKiPfj15HIP_vector_typeIjLj3EEjjjjjjjjj.numbered_sgpr, 26
	.set _ZL17mul_mat_vec_q_moeIL9ggml_type11ELi2EEvPKvS2_PKiPfj15HIP_vector_typeIjLj3EEjjjjjjjjj.num_named_barrier, 0
	.set _ZL17mul_mat_vec_q_moeIL9ggml_type11ELi2EEvPKvS2_PKiPfj15HIP_vector_typeIjLj3EEjjjjjjjjj.private_seg_size, 0
	.set _ZL17mul_mat_vec_q_moeIL9ggml_type11ELi2EEvPKvS2_PKiPfj15HIP_vector_typeIjLj3EEjjjjjjjjj.uses_vcc, 1
	.set _ZL17mul_mat_vec_q_moeIL9ggml_type11ELi2EEvPKvS2_PKiPfj15HIP_vector_typeIjLj3EEjjjjjjjjj.uses_flat_scratch, 0
	.set _ZL17mul_mat_vec_q_moeIL9ggml_type11ELi2EEvPKvS2_PKiPfj15HIP_vector_typeIjLj3EEjjjjjjjjj.has_dyn_sized_stack, 0
	.set _ZL17mul_mat_vec_q_moeIL9ggml_type11ELi2EEvPKvS2_PKiPfj15HIP_vector_typeIjLj3EEjjjjjjjjj.has_recursion, 0
	.set _ZL17mul_mat_vec_q_moeIL9ggml_type11ELi2EEvPKvS2_PKiPfj15HIP_vector_typeIjLj3EEjjjjjjjjj.has_indirect_call, 0
	.section	.AMDGPU.csdata,"",@progbits
; Kernel info:
; codeLenInByte = 2844
; TotalNumSgprs: 28
; NumVgprs: 67
; ScratchSize: 0
; MemoryBound: 0
; FloatMode: 240
; IeeeMode: 1
; LDSByteSize: 0 bytes/workgroup (compile time only)
; SGPRBlocks: 0
; VGPRBlocks: 8
; NumSGPRsForWavesPerEU: 28
; NumVGPRsForWavesPerEU: 67
; Occupancy: 12
; WaveLimiterHint : 1
; COMPUTE_PGM_RSRC2:SCRATCH_EN: 0
; COMPUTE_PGM_RSRC2:USER_SGPR: 6
; COMPUTE_PGM_RSRC2:TRAP_HANDLER: 0
; COMPUTE_PGM_RSRC2:TGID_X_EN: 1
; COMPUTE_PGM_RSRC2:TGID_Y_EN: 1
; COMPUTE_PGM_RSRC2:TGID_Z_EN: 0
; COMPUTE_PGM_RSRC2:TIDIG_COMP_CNT: 1
	.section	.text._ZL13mul_mat_vec_qIL9ggml_type11ELi1ELb1ELb1EEvPKvS2_PKi31ggml_cuda_mm_fusion_args_devicePfj15HIP_vector_typeIjLj3EEjjjS8_jjjS8_jjjj,"axG",@progbits,_ZL13mul_mat_vec_qIL9ggml_type11ELi1ELb1ELb1EEvPKvS2_PKi31ggml_cuda_mm_fusion_args_devicePfj15HIP_vector_typeIjLj3EEjjjS8_jjjS8_jjjj,comdat
	.globl	_ZL13mul_mat_vec_qIL9ggml_type11ELi1ELb1ELb1EEvPKvS2_PKi31ggml_cuda_mm_fusion_args_devicePfj15HIP_vector_typeIjLj3EEjjjS8_jjjS8_jjjj ; -- Begin function _ZL13mul_mat_vec_qIL9ggml_type11ELi1ELb1ELb1EEvPKvS2_PKi31ggml_cuda_mm_fusion_args_devicePfj15HIP_vector_typeIjLj3EEjjjS8_jjjS8_jjjj
	.p2align	8
	.type	_ZL13mul_mat_vec_qIL9ggml_type11ELi1ELb1ELb1EEvPKvS2_PKi31ggml_cuda_mm_fusion_args_devicePfj15HIP_vector_typeIjLj3EEjjjS8_jjjS8_jjjj,@function
_ZL13mul_mat_vec_qIL9ggml_type11ELi1ELb1ELb1EEvPKvS2_PKi31ggml_cuda_mm_fusion_args_devicePfj15HIP_vector_typeIjLj3EEjjjS8_jjjS8_jjjj: ; @_ZL13mul_mat_vec_qIL9ggml_type11ELi1ELb1ELb1EEvPKvS2_PKi31ggml_cuda_mm_fusion_args_devicePfj15HIP_vector_typeIjLj3EEjjjS8_jjjS8_jjjj
; %bb.0:
	s_clause 0x3
	s_load_dwordx8 s[12:19], s[4:5], 0x0
	s_load_dwordx4 s[28:31], s[4:5], 0x20
	s_load_dwordx4 s[36:39], s[4:5], 0x40
	;; [unrolled: 1-line block ×3, first 2 shown]
	s_mov_b32 s10, s7
	s_waitcnt lgkmcnt(0)
	s_cmp_lg_u64 s[16:17], 0
	s_cselect_b32 s0, -1, 0
	s_cmp_eq_u64 s[16:17], 0
	s_cbranch_scc1 .LBB109_5
; %bb.1:
	s_mov_b32 s11, 0
	s_lshl_b64 s[2:3], s[10:11], 2
	s_add_u32 s2, s16, s2
	s_addc_u32 s3, s17, s3
	s_load_dword s33, s[2:3], 0x0
	s_clause 0x1
	s_load_dword s35, s[4:5], 0x50
	s_load_dword s34, s[4:5], 0x78
	s_cbranch_execnz .LBB109_3
.LBB109_2:
	s_load_dwordx2 s[2:3], s[4:5], 0x5c
	s_waitcnt lgkmcnt(0)
	s_mul_hi_u32 s1, s2, s10
	s_add_i32 s1, s10, s1
	s_lshr_b32 s33, s1, s3
.LBB109_3:
	s_andn2_b32 vcc_lo, exec_lo, s0
	s_cbranch_vccnz .LBB109_6
; %bb.4:
	s_mul_hi_u32 s0, s37, s10
	s_waitcnt lgkmcnt(0)
	s_mov_b32 s1, s33
	s_add_i32 s0, s10, s0
	s_lshr_b32 s0, s0, s38
	s_mul_i32 s0, s0, s39
	s_sub_i32 s11, s10, s0
	s_branch .LBB109_7
.LBB109_5:
                                        ; implicit-def: $sgpr33
	s_clause 0x1
	s_load_dword s35, s[4:5], 0x50
	s_load_dword s34, s[4:5], 0x78
	s_branch .LBB109_2
.LBB109_6:
	s_mov_b32 s1, s10
	s_mov_b32 s11, s10
.LBB109_7:
	s_load_dwordx4 s[24:27], s[4:5], 0x80
	v_or_b32_e32 v2, v0, v1
	s_cmp_lg_u64 s[18:19], 0
	v_mov_b32_e32 v4, 0
	v_mov_b32_e32 v5, 0
	s_cselect_b32 s0, -1, 0
	v_cmp_eq_u32_e32 vcc_lo, 0, v2
	s_mov_b32 s17, 0
	s_mul_i32 s2, s1, s22
	s_and_b32 s3, s0, vcc_lo
	s_and_saveexec_b32 s1, s3
	s_cbranch_execz .LBB109_9
; %bb.8:
	s_waitcnt lgkmcnt(0)
	s_mul_i32 s16, s26, s8
	s_mov_b32 s3, s17
	s_lshl_b64 s[38:39], s[16:17], 2
	v_lshlrev_b32_e32 v2, 2, v0
	s_add_u32 s7, s18, s38
	s_addc_u32 s9, s19, s39
	s_lshl_b64 s[16:17], s[2:3], 2
	s_add_u32 s3, s7, s16
	s_addc_u32 s9, s9, s17
	s_ashr_i32 s7, s6, 31
	s_lshl_b64 s[16:17], s[6:7], 2
	s_add_u32 s16, s3, s16
	s_addc_u32 s17, s9, s17
	global_load_dword v5, v2, s[16:17]
.LBB109_9:
	s_or_b32 exec_lo, exec_lo, s1
	s_cmp_lg_u64 s[28:29], 0
	s_cselect_b32 s9, -1, 0
	s_cmp_lg_u64 s[30:31], 0
	s_cselect_b32 s1, -1, 0
	s_and_b32 s3, s1, s9
	s_and_b32 s3, s3, vcc_lo
	s_and_saveexec_b32 s16, s3
	s_cbranch_execz .LBB109_11
; %bb.10:
	s_waitcnt lgkmcnt(0)
	s_mul_i32 s18, s26, s8
	s_mov_b32 s19, 0
	v_lshlrev_b32_e32 v2, 2, v0
	s_lshl_b64 s[38:39], s[18:19], 2
	s_mov_b32 s3, s19
	s_add_u32 s7, s30, s38
	s_addc_u32 s17, s31, s39
	s_lshl_b64 s[2:3], s[2:3], 2
	s_add_u32 s18, s7, s2
	s_addc_u32 s17, s17, s3
	s_ashr_i32 s7, s6, 31
	s_lshl_b64 s[2:3], s[6:7], 2
	s_add_u32 s2, s18, s2
	s_addc_u32 s3, s17, s3
	global_load_dword v4, v2, s[2:3]
.LBB109_11:
	s_or_b32 exec_lo, exec_lo, s16
	v_lshl_or_b32 v2, v1, 5, v0
	v_mov_b32_e32 v7, 0
	v_cndmask_b32_e64 v6, 0, 1, s9
	v_mov_b32_e32 v8, 0
	s_lshr_b32 s3, s36, 8
	v_lshrrev_b32_e32 v9, 4, v2
	s_mov_b32 s7, exec_lo
	v_cmpx_gt_u32_e64 s3, v9
	s_cbranch_execz .LBB109_17
; %bb.12:
	v_and_b32_e32 v3, 8, v0
	v_bfe_u32 v10, v0, 2, 1
	v_bfe_u32 v17, v0, 3, 1
	s_mul_hi_u32 s2, s23, s8
	v_lshrrev_b32_e32 v21, 4, v2
	s_add_i32 s2, s8, s2
	v_or_b32_e32 v12, v10, v3
	v_mul_u32_u24_e32 v2, 0x90, v17
	s_waitcnt lgkmcnt(0)
	s_lshr_b32 s2, s2, s34
	s_mul_i32 s35, s35, s6
	s_mul_i32 s2, s2, s24
	v_or_b32_e32 v14, 4, v12
	v_or_b32_e32 v16, 6, v12
	v_lshrrev_b32_e32 v12, 1, v3
	v_mul_hi_u32_u24_e32 v3, 0x90, v17
	s_mul_i32 s16, s33, s20
	s_mul_i32 s17, s25, s8
	s_add_i32 s2, s2, s35
	v_lshlrev_b32_e32 v8, 1, v0
	v_and_b32_e32 v18, 7, v0
	v_mad_u64_u32 v[2:3], null, 0x120, v21, v[2:3]
	s_mul_i32 s18, s11, s21
	s_add_i32 s11, s16, s2
	s_mul_i32 s16, s17, 36
	s_mul_hi_u32 s17, s17, 36
	s_mul_hi_u32 s2, s18, 36
	s_mul_i32 s18, s18, 36
	s_add_u32 s14, s14, s16
	v_lshrrev_b32_e32 v7, 1, v0
	v_and_b32_e32 v8, 30, v8
	v_lshlrev_b32_e32 v20, 1, v18
	v_lshrrev_b32_e32 v19, 1, v16
	s_addc_u32 s15, s15, s17
	s_add_u32 s14, s14, s18
	s_addc_u32 s2, s15, s2
	v_add_co_u32 v2, vcc_lo, s14, v2
	v_and_b32_e32 v11, 4, v7
	v_mov_b32_e32 v7, 0
	v_and_b32_e32 v13, 5, v14
	v_lshrrev_b32_e32 v14, 1, v14
	v_and_b32_e32 v15, 7, v16
	v_and_b32_e32 v16, 3, v16
	;; [unrolled: 1-line block ×3, first 2 shown]
	v_lshlrev_b32_e32 v18, 2, v18
	v_add_co_ci_u32_e64 v3, null, s2, v3, vcc_lo
	v_lshlrev_b32_e32 v19, 1, v8
	v_lshlrev_b32_e32 v20, 1, v20
	v_mov_b32_e32 v8, 0
	s_mov_b32 s14, 0
	s_branch .LBB109_14
.LBB109_13:                             ;   in Loop: Header=BB109_14 Depth=1
	v_ashrrev_i32_e32 v35, v11, v35
	s_waitcnt vmcnt(6)
	v_and_b32_e32 v38, 0xff, v38
	s_waitcnt vmcnt(5)
	v_lshrrev_b32_sdwa v39, v12, v33 dst_sel:DWORD dst_unused:UNUSED_PAD src0_sel:DWORD src1_sel:BYTE_0
	v_and_b32_e32 v40, 0x3030303, v24
	v_bfe_u32 v41, v24, 24, 2
	v_not_b32_e32 v35, v35
	v_bfe_u32 v38, v38, v12, 4
	v_lshlrev_b32_e32 v39, 4, v39
	v_lshrrev_b32_e32 v44, 2, v24
	v_lshrrev_b16 v46, 8, v40
	v_lshlrev_b32_e32 v43, 2, v35
	v_lshlrev_b32_e32 v49, 1, v35
	v_and_or_b32 v38, v39, 48, v38
	v_lshrrev_b32_e32 v45, 16, v40
	v_and_b32_e32 v47, 0x3030303, v44
	v_and_b32_e32 v43, 0x4040404, v43
	v_bfe_u32 v44, v44, 24, 2
	v_mov_b32_e32 v42, 0
	s_waitcnt vmcnt(0)
	v_and_b32_e32 v37, 0xff, v37
	v_lshrrev_b32_e32 v50, 16, v47
	v_lshrrev_b16 v39, 8, v43
	v_lshrrev_b32_e32 v48, 24, v43
	v_lshrrev_b32_e32 v51, 16, v43
	v_sub_nc_u16 v40, v40, v43
	v_lshrrev_b32_sdwa v36, v12, v36 dst_sel:DWORD dst_unused:UNUSED_PAD src0_sel:DWORD src1_sel:BYTE_0
	v_sub_nc_u16 v39, v46, v39
	v_sub_nc_u16 v41, v41, v48
	v_and_b32_e32 v46, 0x4040404, v49
	v_sub_nc_u16 v43, v45, v51
	v_lshrrev_b16 v45, 8, v47
	v_lshlrev_b16 v39, 8, v39
	v_lshlrev_b16 v41, 8, v41
	v_lshrrev_b32_e32 v48, 24, v46
	v_lshrrev_b16 v49, 8, v46
	v_lshlrev_b32_e32 v36, 4, v36
	v_or_b32_sdwa v39, v40, v39 dst_sel:DWORD dst_unused:UNUSED_PAD src0_sel:BYTE_0 src1_sel:DWORD
	v_or_b32_sdwa v40, v43, v41 dst_sel:WORD_1 dst_unused:UNUSED_PAD src0_sel:BYTE_0 src1_sel:DWORD
	v_lshrrev_b32_e32 v41, 16, v46
	v_sub_nc_u16 v43, v45, v49
	v_sub_nc_u16 v44, v44, v48
	v_subrev_nc_u32_e32 v38, 32, v38
	v_or_b32_sdwa v39, v39, v40 dst_sel:DWORD dst_unused:UNUSED_PAD src0_sel:WORD_0 src1_sel:DWORD
	v_sub_nc_u16 v40, v47, v46
	v_sub_nc_u16 v41, v50, v41
	v_lshlrev_b16 v43, 8, v43
	v_lshlrev_b16 v44, 8, v44
	v_dot4c_i32_i8 v42, v39, v32
	v_bfe_u32 v32, v37, v12, 4
	v_and_b32_e32 v34, 0xff, v34
	v_or_b32_sdwa v37, v40, v43 dst_sel:DWORD dst_unused:UNUSED_PAD src0_sel:BYTE_0 src1_sel:DWORD
	v_or_b32_sdwa v39, v41, v44 dst_sel:WORD_1 dst_unused:UNUSED_PAD src0_sel:BYTE_0 src1_sel:DWORD
	v_lshrrev_b32_e32 v40, 4, v24
	v_and_or_b32 v32, v36, 48, v32
	v_mov_b32_e32 v36, 0
	v_mul_lo_u32 v38, v38, v42
	v_or_b32_sdwa v37, v37, v39 dst_sel:DWORD dst_unused:UNUSED_PAD src0_sel:WORD_0 src1_sel:DWORD
	v_and_b32_e32 v41, 0x3030303, v40
	v_and_b32_e32 v39, 0x4040404, v35
	v_bfe_u32 v40, v40, 24, 2
	v_bfe_u32 v34, v34, v12, 4
	v_dot4c_i32_i8 v36, v37, v31
	v_lshrrev_b32_sdwa v31, v14, v33 dst_sel:DWORD dst_unused:UNUSED_PAD src0_sel:DWORD src1_sel:BYTE_0
	v_lshrrev_b16 v33, 8, v41
	v_lshrrev_b16 v37, 8, v39
	v_lshrrev_b32_e32 v42, 24, v39
	v_lshrrev_b32_e32 v43, 16, v39
	v_lshlrev_b32_e32 v31, 4, v31
	v_sub_nc_u16 v39, v41, v39
	v_sub_nc_u16 v33, v33, v37
	v_lshrrev_b32_e32 v37, 16, v41
	v_sub_nc_u16 v40, v40, v42
	v_lshrrev_b32_e32 v41, 6, v24
	v_lshrrev_b32_e32 v35, 1, v35
	v_lshlrev_b16 v33, 8, v33
	v_sub_nc_u16 v37, v37, v43
	v_lshlrev_b16 v40, 8, v40
	v_and_or_b32 v31, v31, 48, v34
	v_and_b32_e32 v34, 0x3030303, v41
	v_and_b32_e32 v35, 0x4040404, v35
	v_or_b32_sdwa v33, v39, v33 dst_sel:DWORD dst_unused:UNUSED_PAD src0_sel:BYTE_0 src1_sel:DWORD
	v_or_b32_sdwa v37, v37, v40 dst_sel:WORD_1 dst_unused:UNUSED_PAD src0_sel:BYTE_0 src1_sel:DWORD
	v_lshrrev_b32_e32 v24, 30, v24
	v_lshrrev_b16 v39, 8, v34
	v_lshrrev_b16 v40, 8, v35
	v_lshrrev_b32_e32 v41, 24, v35
	v_or_b32_sdwa v33, v33, v37 dst_sel:DWORD dst_unused:UNUSED_PAD src0_sel:WORD_0 src1_sel:DWORD
	v_lshrrev_b32_e32 v37, 16, v34
	v_and_b32_e32 v30, 0xff, v30
	v_sub_nc_u16 v39, v39, v40
	v_sub_nc_u16 v24, v24, v41
	v_lshrrev_b32_e32 v40, 16, v35
	v_lshrrev_b32_sdwa v29, v17, v29 dst_sel:DWORD dst_unused:UNUSED_PAD src0_sel:DWORD src1_sel:BYTE_0
	v_sub_nc_u16 v34, v34, v35
	v_lshlrev_b16 v35, 8, v39
	v_lshlrev_b16 v24, 8, v24
	v_sub_nc_u16 v37, v37, v40
	v_subrev_nc_u32_e32 v32, 32, v32
	v_mov_b32_e32 v39, 0
	v_bfe_u32 v30, v30, v12, 4
	v_lshlrev_b32_e32 v29, 4, v29
	v_or_b32_sdwa v34, v34, v35 dst_sel:DWORD dst_unused:UNUSED_PAD src0_sel:BYTE_0 src1_sel:DWORD
	v_or_b32_sdwa v24, v37, v24 dst_sel:WORD_1 dst_unused:UNUSED_PAD src0_sel:BYTE_0 src1_sel:DWORD
	v_mul_lo_u32 v32, v32, v36
	v_subrev_nc_u32_e32 v31, 32, v31
	v_dot4c_i32_i8 v39, v33, v23
	v_and_or_b32 v23, v29, 48, v30
	v_or_b32_sdwa v24, v34, v24 dst_sel:DWORD dst_unused:UNUSED_PAD src0_sel:WORD_0 src1_sel:DWORD
	v_mov_b32_e32 v29, 0
	v_cvt_f32_i32_e32 v38, v38
	v_mul_lo_u32 v30, v31, v39
	v_subrev_nc_u32_e32 v23, 32, v23
	v_add_nc_u32_e32 v9, 2, v9
	v_dot4c_i32_i8 v29, v24, v22
	v_fma_f32 v28, v28, v38, 0
	v_cvt_f32_i32_e32 v22, v32
	v_add_co_u32 v2, s2, 0x240, v2
	v_mul_lo_u32 v23, v23, v29
	v_cmp_le_u32_e32 vcc_lo, s3, v9
	v_fmac_f32_e32 v28, v27, v22
	v_cvt_f32_i32_e32 v22, v30
	v_add_co_ci_u32_e64 v3, null, 0, v3, s2
	s_or_b32 s14, vcc_lo, s14
	v_fmac_f32_e32 v28, v26, v22
	v_cvt_f32_i32_e32 v22, v23
	v_fmac_f32_e32 v28, v25, v22
	v_fma_mix_f32 v7, v28, v21, v7 op_sel_hi:[0,1,0]
	s_andn2_b32 exec_lo, exec_lo, s14
	s_cbranch_execz .LBB109_16
.LBB109_14:                             ; =>This Inner Loop Header: Depth=1
	v_add_nc_u32_e32 v39, s11, v9
	v_mad_i64_i32 v[25:26], null, 0x6e, v39, s[12:13]
	v_add_co_u32 v22, vcc_lo, v25, v19
	v_add_co_ci_u32_e64 v23, null, 0, v26, vcc_lo
	v_add_co_u32 v27, vcc_lo, v25, v20
	v_add_co_ci_u32_e64 v28, null, 0, v26, vcc_lo
	;; [unrolled: 2-line block ×3, first 2 shown]
	s_clause 0x2
	global_load_ushort v21, v[25:26], off offset:108
	global_load_dword v24, v[22:23], off offset:32
	global_load_dword v35, v[27:28], off
	s_clause 0x7
	global_load_dword v32, v[29:30], off offset:4
	global_load_dword v31, v[29:30], off offset:40
	;; [unrolled: 1-line block ×4, first 2 shown]
	global_load_dword v42, v[2:3], off
	global_load_dword v43, v[2:3], off offset:36
	global_load_dword v44, v[2:3], off offset:72
	;; [unrolled: 1-line block ×3, first 2 shown]
	v_add_co_u32 v27, vcc_lo, v25, v10
	v_add_co_ci_u32_e64 v28, null, 0, v26, vcc_lo
	v_add_co_u32 v29, vcc_lo, v25, v13
	v_add_co_ci_u32_e64 v30, null, 0, v26, vcc_lo
	;; [unrolled: 2-line block ×4, first 2 shown]
	s_clause 0x6
	global_load_ubyte v38, v[27:28], off offset:96
	global_load_ubyte v33, v[27:28], off offset:104
	global_load_ubyte v36, v[27:28], off offset:106
	global_load_ubyte v34, v[29:30], off offset:96
	global_load_ubyte v30, v[40:41], off offset:96
	global_load_ubyte v29, v[25:26], off offset:104
	global_load_ubyte v37, v[27:28], off offset:98
	s_andn2_b32 vcc_lo, exec_lo, s9
	s_waitcnt vmcnt(10)
	v_cvt_f32_f16_e32 v28, v42
	s_waitcnt vmcnt(9)
	v_cvt_f32_f16_e32 v27, v43
	s_waitcnt vmcnt(8)
	v_cvt_f32_f16_e32 v26, v44
	s_waitcnt vmcnt(7)
	v_cvt_f32_f16_e32 v25, v45
	s_cbranch_vccnz .LBB109_13
; %bb.15:                               ;   in Loop: Header=BB109_14 Depth=1
	v_mad_i64_i32 v[39:40], null, 0x6e, v39, s[28:29]
	v_add_co_u32 v41, vcc_lo, v39, v16
	v_add_co_ci_u32_e64 v42, null, 0, v40, vcc_lo
	v_add_co_u32 v43, vcc_lo, v39, v15
	v_add_co_ci_u32_e64 v44, null, 0, v40, vcc_lo
	;; [unrolled: 2-line block ×6, first 2 shown]
	s_clause 0x6
	global_load_ushort v39, v[39:40], off offset:108
	global_load_dword v40, v[51:52], off offset:32
	global_load_dword v49, v[49:50], off
	global_load_ubyte v50, v[45:46], off offset:96
	global_load_ubyte v51, v[45:46], off offset:104
	;; [unrolled: 1-line block ×4, first 2 shown]
	s_waitcnt vmcnt(5)
	v_bfe_u32 v54, v40, 24, 2
	s_waitcnt vmcnt(4)
	v_ashrrev_i32_e32 v49, v11, v49
	s_waitcnt vmcnt(3)
	v_bfe_u32 v50, v50, v12, 4
	s_waitcnt vmcnt(2)
	v_lshrrev_b32_e32 v52, v12, v51
	v_lshrrev_b32_e32 v42, 6, v40
	s_waitcnt vmcnt(0)
	v_lshrrev_b32_e32 v41, v17, v41
	v_not_b32_e32 v49, v49
	v_bfe_u32 v43, v43, v12, 4
	v_lshlrev_b32_e32 v52, 4, v52
	v_and_b32_e32 v42, 0x3030303, v42
	v_lshlrev_b32_e32 v41, 4, v41
	v_lshlrev_b32_e32 v56, 2, v49
	v_and_or_b32 v50, v52, 48, v50
	v_and_b32_e32 v52, 0x3030303, v40
	v_lshrrev_b16 v44, 8, v42
	v_and_b32_e32 v56, 0x4040404, v56
	v_and_or_b32 v41, v41, 48, v43
	v_subrev_nc_u32_e32 v50, 32, v50
	v_lshrrev_b16 v55, 8, v52
	v_lshrrev_b32_e32 v53, 16, v52
	v_lshrrev_b32_e32 v58, 24, v56
	v_lshrrev_b16 v59, 8, v56
	v_lshrrev_b32_e32 v57, 16, v56
	v_sub_nc_u16 v52, v52, v56
	v_lshrrev_b32_e32 v43, 16, v42
	v_sub_nc_u16 v54, v54, v58
	v_sub_nc_u16 v55, v55, v59
	;; [unrolled: 1-line block ×3, first 2 shown]
	v_subrev_nc_u32_e32 v41, 32, v41
	v_lshlrev_b16 v54, 8, v54
	v_lshlrev_b16 v55, 8, v55
	v_or_b32_sdwa v53, v53, v54 dst_sel:WORD_1 dst_unused:UNUSED_PAD src0_sel:BYTE_0 src1_sel:DWORD
	v_or_b32_sdwa v52, v52, v55 dst_sel:DWORD dst_unused:UNUSED_PAD src0_sel:BYTE_0 src1_sel:DWORD
	v_lshlrev_b32_e32 v55, 1, v49
	v_or_b32_sdwa v52, v52, v53 dst_sel:DWORD dst_unused:UNUSED_PAD src0_sel:WORD_0 src1_sel:DWORD
	v_mov_b32_e32 v53, 0
	v_and_b32_e32 v55, 0x4040404, v55
	v_dot4c_i32_i8 v53, v52, v32
	s_clause 0x1
	global_load_ubyte v52, v[45:46], off offset:98
	global_load_ubyte v45, v[45:46], off offset:106
	v_lshrrev_b32_e32 v46, 2, v40
	v_lshrrev_b32_e32 v57, 24, v55
	v_lshrrev_b16 v58, 8, v55
	v_mul_lo_u32 v50, v50, v53
	v_lshrrev_b32_e32 v56, 16, v55
	v_cvt_f32_i32_e32 v50, v50
	v_fma_f32 v50, v28, v50, 0
	s_waitcnt vmcnt(1)
	v_bfe_u32 v52, v52, v12, 4
	s_waitcnt vmcnt(0)
	v_lshrrev_b32_e32 v45, v12, v45
	v_lshlrev_b32_e32 v45, 4, v45
	v_and_or_b32 v45, v45, 48, v52
	v_and_b32_e32 v52, 0x3030303, v46
	v_bfe_u32 v46, v46, 24, 2
	v_subrev_nc_u32_e32 v45, 32, v45
	v_lshrrev_b16 v54, 8, v52
	v_lshrrev_b32_e32 v53, 16, v52
	v_sub_nc_u16 v46, v46, v57
	v_sub_nc_u16 v52, v52, v55
	;; [unrolled: 1-line block ×4, first 2 shown]
	v_lshlrev_b16 v46, 8, v46
	v_lshlrev_b16 v54, 8, v54
	v_or_b32_sdwa v46, v53, v46 dst_sel:WORD_1 dst_unused:UNUSED_PAD src0_sel:BYTE_0 src1_sel:DWORD
	v_or_b32_sdwa v52, v52, v54 dst_sel:DWORD dst_unused:UNUSED_PAD src0_sel:BYTE_0 src1_sel:DWORD
	v_or_b32_sdwa v46, v52, v46 dst_sel:DWORD dst_unused:UNUSED_PAD src0_sel:WORD_0 src1_sel:DWORD
	v_mov_b32_e32 v52, 0
	v_dot4c_i32_i8 v52, v46, v31
	v_lshrrev_b32_e32 v46, v14, v51
	v_mul_lo_u32 v45, v45, v52
	v_lshlrev_b32_e32 v46, 4, v46
	v_and_b32_e32 v52, 0x4040404, v49
	v_lshrrev_b32_e32 v54, 24, v52
	v_cvt_f32_i32_e32 v45, v45
	v_lshrrev_b16 v55, 8, v52
	v_lshrrev_b32_e32 v53, 16, v52
	v_fmac_f32_e32 v50, v27, v45
	global_load_ubyte v45, v[47:48], off offset:96
	s_waitcnt vmcnt(0)
	v_bfe_u32 v45, v45, v12, 4
	v_and_or_b32 v45, v46, 48, v45
	v_lshrrev_b32_e32 v46, 4, v40
	v_lshrrev_b32_e32 v40, 30, v40
	v_subrev_nc_u32_e32 v45, 32, v45
	v_and_b32_e32 v47, 0x3030303, v46
	v_bfe_u32 v46, v46, 24, 2
	v_lshrrev_b16 v51, 8, v47
	v_lshrrev_b32_e32 v48, 16, v47
	v_sub_nc_u16 v46, v46, v54
	v_sub_nc_u16 v47, v47, v52
	;; [unrolled: 1-line block ×4, first 2 shown]
	v_lshlrev_b16 v46, 8, v46
	v_lshlrev_b16 v51, 8, v51
	v_or_b32_sdwa v46, v48, v46 dst_sel:WORD_1 dst_unused:UNUSED_PAD src0_sel:BYTE_0 src1_sel:DWORD
	v_or_b32_sdwa v47, v47, v51 dst_sel:DWORD dst_unused:UNUSED_PAD src0_sel:BYTE_0 src1_sel:DWORD
	v_or_b32_sdwa v46, v47, v46 dst_sel:DWORD dst_unused:UNUSED_PAD src0_sel:WORD_0 src1_sel:DWORD
	v_mov_b32_e32 v47, 0
	v_dot4c_i32_i8 v47, v46, v23
	v_mul_lo_u32 v45, v45, v47
	v_cvt_f32_i32_e32 v45, v45
	v_fmac_f32_e32 v50, v26, v45
	v_lshrrev_b32_e32 v45, 1, v49
	v_and_b32_e32 v45, 0x4040404, v45
	v_lshrrev_b32_e32 v47, 24, v45
	v_lshrrev_b16 v48, 8, v45
	v_lshrrev_b32_e32 v46, 16, v45
	v_sub_nc_u16 v42, v42, v45
	v_sub_nc_u16 v40, v40, v47
	;; [unrolled: 1-line block ×4, first 2 shown]
	v_lshlrev_b16 v40, 8, v40
	v_lshlrev_b16 v44, 8, v44
	v_or_b32_sdwa v40, v43, v40 dst_sel:WORD_1 dst_unused:UNUSED_PAD src0_sel:BYTE_0 src1_sel:DWORD
	v_or_b32_sdwa v42, v42, v44 dst_sel:DWORD dst_unused:UNUSED_PAD src0_sel:BYTE_0 src1_sel:DWORD
	v_or_b32_sdwa v40, v42, v40 dst_sel:DWORD dst_unused:UNUSED_PAD src0_sel:WORD_0 src1_sel:DWORD
	v_mov_b32_e32 v42, 0
	v_dot4c_i32_i8 v42, v40, v22
	v_mul_lo_u32 v40, v41, v42
	v_cvt_f32_i32_e32 v40, v40
	v_fmac_f32_e32 v50, v25, v40
	v_fma_mix_f32 v8, v50, v39, v8 op_sel_hi:[0,1,0]
	s_branch .LBB109_13
.LBB109_16:
	s_or_b32 exec_lo, exec_lo, s14
.LBB109_17:
	s_or_b32 exec_lo, exec_lo, s7
	s_load_dword s2, s[4:5], 0x30
	s_waitcnt vmcnt(0) lgkmcnt(0)
	; wave barrier
	buffer_gl0_inv
	s_mov_b32 s3, exec_lo
	v_cmpx_eq_u32_e32 0, v1
	s_cbranch_execz .LBB109_44
; %bb.18:
	v_mbcnt_lo_u32_b32 v2, -1, 0
	v_xor_b32_e32 v1, 16, v2
	v_xor_b32_e32 v9, 8, v2
	v_cmp_gt_i32_e32 vcc_lo, 32, v1
	v_cndmask_b32_e32 v1, v2, v1, vcc_lo
	v_cmp_gt_i32_e32 vcc_lo, 32, v9
	v_lshlrev_b32_e32 v1, 2, v1
	v_cndmask_b32_e32 v9, v2, v9, vcc_lo
	ds_bpermute_b32 v3, v1, v7
	v_lshlrev_b32_e32 v9, 2, v9
	s_waitcnt lgkmcnt(0)
	v_add_f32_e32 v3, v7, v3
	v_xor_b32_e32 v7, 4, v2
	ds_bpermute_b32 v10, v9, v3
	v_cmp_gt_i32_e32 vcc_lo, 32, v7
	v_cndmask_b32_e32 v7, v2, v7, vcc_lo
	v_lshlrev_b32_e32 v7, 2, v7
	s_waitcnt lgkmcnt(0)
	v_add_f32_e32 v3, v3, v10
	v_xor_b32_e32 v10, 2, v2
	ds_bpermute_b32 v11, v7, v3
	v_cmp_gt_i32_e32 vcc_lo, 32, v10
	v_cndmask_b32_e32 v10, v2, v10, vcc_lo
	;; [unrolled: 7-line block ×3, first 2 shown]
	v_cmp_ne_u32_e32 vcc_lo, 1, v6
	v_lshlrev_b32_e32 v11, 2, v2
	s_waitcnt lgkmcnt(0)
	v_add_f32_e32 v2, v3, v12
	ds_bpermute_b32 v3, v11, v2
	s_cbranch_vccnz .LBB109_20
; %bb.19:
	ds_bpermute_b32 v1, v1, v8
	s_waitcnt lgkmcnt(0)
	v_add_f32_e32 v1, v8, v1
	ds_bpermute_b32 v8, v9, v1
	s_waitcnt lgkmcnt(0)
	v_add_f32_e32 v1, v1, v8
	;; [unrolled: 3-line block ×5, first 2 shown]
.LBB109_20:
	v_cmp_eq_u32_e32 vcc_lo, 0, v0
	s_and_b32 exec_lo, exec_lo, vcc_lo
	s_cbranch_execz .LBB109_44
; %bb.21:
	s_waitcnt lgkmcnt(0)
	v_add_f32_e32 v1, v2, v3
	v_cmp_ne_u32_e32 vcc_lo, 1, v6
	v_add_f32_e32 v2, v5, v1
	v_cndmask_b32_e64 v1, v1, v2, s0
	s_cbranch_vccnz .LBB109_43
; %bb.22:
	v_add_f32_e32 v2, v4, v8
	s_cmp_lt_i32 s2, 2
	s_mov_b32 s0, 0
	v_cndmask_b32_e64 v2, v8, v2, s1
	s_cbranch_scc1 .LBB109_26
; %bb.23:
	s_cmp_gt_i32 s2, 2
	s_cbranch_scc0 .LBB109_27
; %bb.24:
	s_cmp_eq_u32 s2, 3
	s_cbranch_scc0 .LBB109_28
; %bb.25:
	v_max_f32_e32 v3, v2, v2
	s_mov_b32 s1, 0
	v_min_f32_e32 v3, 0x40e00000, v3
	v_mul_f32_e32 v4, 0xbfd9db23, v3
	v_mul_f32_e32 v5, 0x3fb8aa3b, v4
	v_cmp_ngt_f32_e32 vcc_lo, 0xc2ce8ed0, v4
	v_fma_f32 v6, 0x3fb8aa3b, v4, -v5
	v_rndne_f32_e32 v7, v5
	v_fmamk_f32 v6, v4, 0x32a5705f, v6
	v_sub_f32_e32 v5, v5, v7
	v_add_f32_e32 v5, v5, v6
	v_cvt_i32_f32_e32 v6, v7
	v_exp_f32_e32 v5, v5
	v_ldexp_f32 v5, v5, v6
	v_cndmask_b32_e32 v5, 0, v5, vcc_lo
	v_cmp_nlt_f32_e32 vcc_lo, 0x42b17218, v4
	v_cndmask_b32_e32 v4, 0x7f800000, v5, vcc_lo
	v_add_f32_e32 v4, 1.0, v4
	v_div_scale_f32 v5, null, v4, v4, v3
	v_div_scale_f32 v8, vcc_lo, v3, v4, v3
	v_rcp_f32_e32 v6, v5
	v_fma_f32 v7, -v5, v6, 1.0
	v_fmac_f32_e32 v6, v7, v6
	v_mul_f32_e32 v7, v8, v6
	v_fma_f32 v9, -v5, v7, v8
	v_fmac_f32_e32 v7, v9, v6
	v_max_f32_e32 v9, v1, v1
	v_fma_f32 v5, -v5, v7, v8
	v_min_f32_e32 v8, 0x40e00000, v9
	v_div_fmas_f32 v5, v5, v6, v7
	v_max_f32_e32 v6, 0xc0e00000, v8
	v_div_fixup_f32 v3, v5, v4, v3
	v_add_f32_e32 v4, 1.0, v6
	v_mul_f32_e32 v3, v4, v3
	s_branch .LBB109_29
.LBB109_26:
	s_mov_b32 s1, 0
                                        ; implicit-def: $vgpr3
	s_cbranch_execnz .LBB109_33
	s_branch .LBB109_34
.LBB109_27:
	s_mov_b32 s3, -1
	s_mov_b32 s1, 0
                                        ; implicit-def: $vgpr3
	s_branch .LBB109_30
.LBB109_28:
	s_mov_b32 s1, -1
                                        ; implicit-def: $vgpr3
.LBB109_29:
	s_mov_b32 s3, 0
.LBB109_30:
	s_and_b32 vcc_lo, exec_lo, s3
	s_cbranch_vccz .LBB109_32
; %bb.31:
	v_mul_f32_e32 v3, 0xbfb8aa3b, v2
	v_cmp_nlt_f32_e32 vcc_lo, 0x42ce8ed0, v2
	v_rndne_f32_e32 v4, v3
	v_fma_f32 v5, 0xbfb8aa3b, v2, -v3
	v_sub_f32_e32 v3, v3, v4
	v_fmamk_f32 v5, v2, 0xb2a5705f, v5
	v_cvt_i32_f32_e32 v4, v4
	v_add_f32_e32 v3, v3, v5
	v_exp_f32_e32 v3, v3
	v_ldexp_f32 v3, v3, v4
	v_cndmask_b32_e32 v3, 0, v3, vcc_lo
	v_cmp_ngt_f32_e32 vcc_lo, 0xc2b17218, v2
	v_cndmask_b32_e32 v3, 0x7f800000, v3, vcc_lo
	v_add_f32_e32 v3, 1.0, v3
	v_div_scale_f32 v4, null, v3, v3, v2
	v_rcp_f32_e32 v5, v4
	v_fma_f32 v6, -v4, v5, 1.0
	v_fmac_f32_e32 v5, v6, v5
	v_div_scale_f32 v6, vcc_lo, v2, v3, v2
	v_mul_f32_e32 v7, v6, v5
	v_fma_f32 v8, -v4, v7, v6
	v_fmac_f32_e32 v7, v8, v5
	v_fma_f32 v4, -v4, v7, v6
	v_div_fmas_f32 v4, v4, v5, v7
	v_div_fixup_f32 v3, v4, v3, v2
	v_mul_f32_e32 v3, v1, v3
.LBB109_32:
	s_branch .LBB109_34
.LBB109_33:
	s_cmp_lg_u32 s2, 1
	s_mov_b32 s0, -1
	s_cselect_b32 s1, -1, 0
.LBB109_34:
	s_andn2_b32 vcc_lo, exec_lo, s1
	s_cbranch_vccz .LBB109_36
; %bb.35:
	s_andn2_b32 vcc_lo, exec_lo, s0
	s_cbranch_vccz .LBB109_37
	s_branch .LBB109_42
.LBB109_36:
	v_mul_f32_e32 v3, v2, v1
	s_cbranch_execnz .LBB109_42
.LBB109_37:
	v_mul_f32_e32 v3, 0x3d372713, v2
	v_mul_f32_e32 v4, 0x3f4c422a, v2
	v_fma_f32 v3, v2, v3, 1.0
	v_mul_f32_e32 v3, v4, v3
                                        ; implicit-def: $vgpr4
	v_cmp_ngt_f32_e64 s0, 0x3f200000, |v3|
	s_and_saveexec_b32 s1, s0
	s_xor_b32 s0, exec_lo, s1
	s_cbranch_execz .LBB109_39
; %bb.38:
	v_add_f32_e64 v4, |v3|, |v3|
	v_mul_f32_e32 v5, 0x3fb8aa3b, v4
	v_cmp_ngt_f32_e32 vcc_lo, 0xc2ce8ed0, v4
	v_rndne_f32_e32 v6, v5
	v_fma_f32 v7, 0x3fb8aa3b, v4, -v5
	v_sub_f32_e32 v5, v5, v6
	v_fmamk_f32 v7, v4, 0x32a5705f, v7
	v_cvt_i32_f32_e32 v6, v6
	v_add_f32_e32 v5, v5, v7
	v_exp_f32_e32 v5, v5
	v_ldexp_f32 v5, v5, v6
	v_cndmask_b32_e32 v5, 0, v5, vcc_lo
	v_cmp_nlt_f32_e32 vcc_lo, 0x42b17218, v4
	v_cndmask_b32_e32 v4, 0x7f800000, v5, vcc_lo
	v_add_f32_e32 v4, 1.0, v4
	v_rcp_f32_e32 v4, v4
	v_fma_f32 v4, v4, -2.0, 1.0
.LBB109_39:
	s_andn2_saveexec_b32 s0, s0
	s_cbranch_execz .LBB109_41
; %bb.40:
	v_mul_f32_e32 v4, v3, v3
	s_mov_b32 s1, 0xbbbac73d
	v_fmaak_f32 v5, s1, v4, 0x3ca908c9
	v_fmaak_f32 v5, v4, v5, 0xbd5c1c4e
	;; [unrolled: 1-line block ×4, first 2 shown]
	v_mul_f32_e64 v5, |v3|, v5
	v_fma_f32 v4, v4, v5, |v3|
.LBB109_41:
	s_or_b32 exec_lo, exec_lo, s0
	v_bfi_b32 v3, 0x7fffffff, v4, v3
	v_mul_f32_e32 v2, 0.5, v2
	v_add_f32_e32 v3, 1.0, v3
	v_mul_f32_e32 v2, v2, v3
	v_mul_f32_e32 v3, v1, v2
.LBB109_42:
	v_mov_b32_e32 v1, v3
.LBB109_43:
	s_load_dwordx2 s[0:1], s[4:5], 0x38
	s_mul_i32 s2, s22, s10
	s_mul_i32 s3, s26, s8
	s_add_i32 s2, s2, s6
	v_lshlrev_b32_e32 v0, 2, v0
	s_add_i32 s2, s2, s3
	s_mov_b32 s3, 0
	s_lshl_b64 s[2:3], s[2:3], 2
	s_waitcnt lgkmcnt(0)
	s_add_u32 s0, s0, s2
	s_addc_u32 s1, s1, s3
	global_store_dword v0, v1, s[0:1]
.LBB109_44:
	s_endpgm
	.section	.rodata,"a",@progbits
	.p2align	6, 0x0
	.amdhsa_kernel _ZL13mul_mat_vec_qIL9ggml_type11ELi1ELb1ELb1EEvPKvS2_PKi31ggml_cuda_mm_fusion_args_devicePfj15HIP_vector_typeIjLj3EEjjjS8_jjjS8_jjjj
		.amdhsa_group_segment_fixed_size 0
		.amdhsa_private_segment_fixed_size 0
		.amdhsa_kernarg_size 144
		.amdhsa_user_sgpr_count 6
		.amdhsa_user_sgpr_private_segment_buffer 1
		.amdhsa_user_sgpr_dispatch_ptr 0
		.amdhsa_user_sgpr_queue_ptr 0
		.amdhsa_user_sgpr_kernarg_segment_ptr 1
		.amdhsa_user_sgpr_dispatch_id 0
		.amdhsa_user_sgpr_flat_scratch_init 0
		.amdhsa_user_sgpr_private_segment_size 0
		.amdhsa_wavefront_size32 1
		.amdhsa_uses_dynamic_stack 0
		.amdhsa_system_sgpr_private_segment_wavefront_offset 0
		.amdhsa_system_sgpr_workgroup_id_x 1
		.amdhsa_system_sgpr_workgroup_id_y 1
		.amdhsa_system_sgpr_workgroup_id_z 1
		.amdhsa_system_sgpr_workgroup_info 0
		.amdhsa_system_vgpr_workitem_id 1
		.amdhsa_next_free_vgpr 60
		.amdhsa_next_free_sgpr 40
		.amdhsa_reserve_vcc 1
		.amdhsa_reserve_flat_scratch 0
		.amdhsa_float_round_mode_32 0
		.amdhsa_float_round_mode_16_64 0
		.amdhsa_float_denorm_mode_32 3
		.amdhsa_float_denorm_mode_16_64 3
		.amdhsa_dx10_clamp 1
		.amdhsa_ieee_mode 1
		.amdhsa_fp16_overflow 0
		.amdhsa_workgroup_processor_mode 1
		.amdhsa_memory_ordered 1
		.amdhsa_forward_progress 1
		.amdhsa_shared_vgpr_count 0
		.amdhsa_exception_fp_ieee_invalid_op 0
		.amdhsa_exception_fp_denorm_src 0
		.amdhsa_exception_fp_ieee_div_zero 0
		.amdhsa_exception_fp_ieee_overflow 0
		.amdhsa_exception_fp_ieee_underflow 0
		.amdhsa_exception_fp_ieee_inexact 0
		.amdhsa_exception_int_div_zero 0
	.end_amdhsa_kernel
	.section	.text._ZL13mul_mat_vec_qIL9ggml_type11ELi1ELb1ELb1EEvPKvS2_PKi31ggml_cuda_mm_fusion_args_devicePfj15HIP_vector_typeIjLj3EEjjjS8_jjjS8_jjjj,"axG",@progbits,_ZL13mul_mat_vec_qIL9ggml_type11ELi1ELb1ELb1EEvPKvS2_PKi31ggml_cuda_mm_fusion_args_devicePfj15HIP_vector_typeIjLj3EEjjjS8_jjjS8_jjjj,comdat
.Lfunc_end109:
	.size	_ZL13mul_mat_vec_qIL9ggml_type11ELi1ELb1ELb1EEvPKvS2_PKi31ggml_cuda_mm_fusion_args_devicePfj15HIP_vector_typeIjLj3EEjjjS8_jjjS8_jjjj, .Lfunc_end109-_ZL13mul_mat_vec_qIL9ggml_type11ELi1ELb1ELb1EEvPKvS2_PKi31ggml_cuda_mm_fusion_args_devicePfj15HIP_vector_typeIjLj3EEjjjS8_jjjS8_jjjj
                                        ; -- End function
	.set _ZL13mul_mat_vec_qIL9ggml_type11ELi1ELb1ELb1EEvPKvS2_PKi31ggml_cuda_mm_fusion_args_devicePfj15HIP_vector_typeIjLj3EEjjjS8_jjjS8_jjjj.num_vgpr, 60
	.set _ZL13mul_mat_vec_qIL9ggml_type11ELi1ELb1ELb1EEvPKvS2_PKi31ggml_cuda_mm_fusion_args_devicePfj15HIP_vector_typeIjLj3EEjjjS8_jjjS8_jjjj.num_agpr, 0
	.set _ZL13mul_mat_vec_qIL9ggml_type11ELi1ELb1ELb1EEvPKvS2_PKi31ggml_cuda_mm_fusion_args_devicePfj15HIP_vector_typeIjLj3EEjjjS8_jjjS8_jjjj.numbered_sgpr, 40
	.set _ZL13mul_mat_vec_qIL9ggml_type11ELi1ELb1ELb1EEvPKvS2_PKi31ggml_cuda_mm_fusion_args_devicePfj15HIP_vector_typeIjLj3EEjjjS8_jjjS8_jjjj.num_named_barrier, 0
	.set _ZL13mul_mat_vec_qIL9ggml_type11ELi1ELb1ELb1EEvPKvS2_PKi31ggml_cuda_mm_fusion_args_devicePfj15HIP_vector_typeIjLj3EEjjjS8_jjjS8_jjjj.private_seg_size, 0
	.set _ZL13mul_mat_vec_qIL9ggml_type11ELi1ELb1ELb1EEvPKvS2_PKi31ggml_cuda_mm_fusion_args_devicePfj15HIP_vector_typeIjLj3EEjjjS8_jjjS8_jjjj.uses_vcc, 1
	.set _ZL13mul_mat_vec_qIL9ggml_type11ELi1ELb1ELb1EEvPKvS2_PKi31ggml_cuda_mm_fusion_args_devicePfj15HIP_vector_typeIjLj3EEjjjS8_jjjS8_jjjj.uses_flat_scratch, 0
	.set _ZL13mul_mat_vec_qIL9ggml_type11ELi1ELb1ELb1EEvPKvS2_PKi31ggml_cuda_mm_fusion_args_devicePfj15HIP_vector_typeIjLj3EEjjjS8_jjjS8_jjjj.has_dyn_sized_stack, 0
	.set _ZL13mul_mat_vec_qIL9ggml_type11ELi1ELb1ELb1EEvPKvS2_PKi31ggml_cuda_mm_fusion_args_devicePfj15HIP_vector_typeIjLj3EEjjjS8_jjjS8_jjjj.has_recursion, 0
	.set _ZL13mul_mat_vec_qIL9ggml_type11ELi1ELb1ELb1EEvPKvS2_PKi31ggml_cuda_mm_fusion_args_devicePfj15HIP_vector_typeIjLj3EEjjjS8_jjjS8_jjjj.has_indirect_call, 0
	.section	.AMDGPU.csdata,"",@progbits
; Kernel info:
; codeLenInByte = 4012
; TotalNumSgprs: 42
; NumVgprs: 60
; ScratchSize: 0
; MemoryBound: 0
; FloatMode: 240
; IeeeMode: 1
; LDSByteSize: 0 bytes/workgroup (compile time only)
; SGPRBlocks: 0
; VGPRBlocks: 7
; NumSGPRsForWavesPerEU: 42
; NumVGPRsForWavesPerEU: 60
; Occupancy: 16
; WaveLimiterHint : 0
; COMPUTE_PGM_RSRC2:SCRATCH_EN: 0
; COMPUTE_PGM_RSRC2:USER_SGPR: 6
; COMPUTE_PGM_RSRC2:TRAP_HANDLER: 0
; COMPUTE_PGM_RSRC2:TGID_X_EN: 1
; COMPUTE_PGM_RSRC2:TGID_Y_EN: 1
; COMPUTE_PGM_RSRC2:TGID_Z_EN: 1
; COMPUTE_PGM_RSRC2:TIDIG_COMP_CNT: 1
	.section	.text._ZL13mul_mat_vec_qIL9ggml_type11ELi1ELb0ELb1EEvPKvS2_PKi31ggml_cuda_mm_fusion_args_devicePfj15HIP_vector_typeIjLj3EEjjjS8_jjjS8_jjjj,"axG",@progbits,_ZL13mul_mat_vec_qIL9ggml_type11ELi1ELb0ELb1EEvPKvS2_PKi31ggml_cuda_mm_fusion_args_devicePfj15HIP_vector_typeIjLj3EEjjjS8_jjjS8_jjjj,comdat
	.globl	_ZL13mul_mat_vec_qIL9ggml_type11ELi1ELb0ELb1EEvPKvS2_PKi31ggml_cuda_mm_fusion_args_devicePfj15HIP_vector_typeIjLj3EEjjjS8_jjjS8_jjjj ; -- Begin function _ZL13mul_mat_vec_qIL9ggml_type11ELi1ELb0ELb1EEvPKvS2_PKi31ggml_cuda_mm_fusion_args_devicePfj15HIP_vector_typeIjLj3EEjjjS8_jjjS8_jjjj
	.p2align	8
	.type	_ZL13mul_mat_vec_qIL9ggml_type11ELi1ELb0ELb1EEvPKvS2_PKi31ggml_cuda_mm_fusion_args_devicePfj15HIP_vector_typeIjLj3EEjjjS8_jjjS8_jjjj,@function
_ZL13mul_mat_vec_qIL9ggml_type11ELi1ELb0ELb1EEvPKvS2_PKi31ggml_cuda_mm_fusion_args_devicePfj15HIP_vector_typeIjLj3EEjjjS8_jjjS8_jjjj: ; @_ZL13mul_mat_vec_qIL9ggml_type11ELi1ELb0ELb1EEvPKvS2_PKi31ggml_cuda_mm_fusion_args_devicePfj15HIP_vector_typeIjLj3EEjjjS8_jjjS8_jjjj
; %bb.0:
	s_clause 0x1
	s_load_dwordx2 s[0:1], s[4:5], 0x10
	s_load_dwordx4 s[16:19], s[4:5], 0x40
	s_mov_b32 s10, s7
	s_waitcnt lgkmcnt(0)
	s_cmp_lg_u64 s[0:1], 0
	s_cselect_b32 s7, -1, 0
	s_cmp_eq_u64 s[0:1], 0
	s_cbranch_scc1 .LBB110_5
; %bb.1:
	s_mov_b32 s11, 0
	s_lshl_b64 s[2:3], s[10:11], 2
	s_add_u32 s0, s0, s2
	s_addc_u32 s1, s1, s3
	s_load_dword s20, s[0:1], 0x0
	s_clause 0x1
	s_load_dwordx4 s[0:3], s[4:5], 0x68
	s_load_dword s21, s[4:5], 0x50
	s_cbranch_execnz .LBB110_3
.LBB110_2:
	s_load_dwordx2 s[12:13], s[4:5], 0x5c
	s_waitcnt lgkmcnt(0)
	s_mul_hi_u32 s9, s12, s10
	s_add_i32 s9, s10, s9
	s_lshr_b32 s20, s9, s13
.LBB110_3:
	s_load_dword s22, s[4:5], 0x78
	s_andn2_b32 vcc_lo, exec_lo, s7
	s_cbranch_vccnz .LBB110_6
; %bb.4:
	s_mul_hi_u32 s7, s17, s10
	s_add_i32 s7, s10, s7
	s_lshr_b32 s7, s7, s18
	s_mul_i32 s7, s7, s19
	s_sub_i32 s11, s10, s7
	s_branch .LBB110_7
.LBB110_5:
                                        ; implicit-def: $sgpr20
	s_clause 0x1
	s_load_dwordx4 s[0:3], s[4:5], 0x68
	s_load_dword s21, s[4:5], 0x50
	s_branch .LBB110_2
.LBB110_6:
	s_mov_b32 s11, s10
.LBB110_7:
	s_load_dwordx4 s[12:15], s[4:5], 0x80
	v_lshl_or_b32 v2, v1, 5, v0
	v_mov_b32_e32 v4, 0
	s_lshr_b32 s9, s16, 8
	s_mov_b32 s7, exec_lo
	v_lshrrev_b32_e32 v5, 4, v2
	v_cmpx_gt_u32_e64 s9, v5
	s_cbranch_execz .LBB110_11
; %bb.8:
	s_load_dwordx4 s[16:19], s[4:5], 0x0
	v_and_b32_e32 v3, 8, v0
	v_bfe_u32 v6, v0, 2, 1
	v_lshlrev_b32_e32 v8, 1, v0
	v_bfe_u32 v13, v0, 3, 1
	s_waitcnt lgkmcnt(0)
	s_mul_hi_u32 s3, s3, s8
	v_lshrrev_b32_e32 v18, 4, v2
	s_add_i32 s3, s8, s3
	v_or_b32_e32 v9, v6, v3
	v_and_b32_e32 v15, 30, v8
	v_lshrrev_b32_e32 v8, 1, v3
	v_mul_hi_u32_u24_e32 v3, 0x90, v13
	v_mul_u32_u24_e32 v2, 0x90, v13
	s_lshr_b32 s3, s3, s22
	s_mul_i32 s21, s21, s6
	s_mul_i32 s3, s3, s12
	;; [unrolled: 1-line block ×4, first 2 shown]
	s_add_i32 s3, s3, s21
	v_and_b32_e32 v14, 7, v0
	v_or_b32_e32 v12, 6, v9
	v_mad_u64_u32 v[2:3], null, 0x120, v18, v[2:3]
	s_mul_i32 s11, s11, s1
	s_add_i32 s1, s0, s3
	s_mul_i32 s3, s12, 36
	s_mul_hi_u32 s12, s12, 36
	s_mul_hi_u32 s0, s11, 36
	s_mul_i32 s11, s11, 36
	s_add_u32 s3, s18, s3
	v_lshrrev_b32_e32 v4, 1, v0
	v_or_b32_e32 v10, 4, v9
	v_lshlrev_b32_e32 v16, 1, v14
	v_lshrrev_b32_e32 v17, 1, v12
	s_addc_u32 s12, s19, s12
	s_add_u32 s3, s3, s11
	s_addc_u32 s0, s12, s0
	v_add_co_u32 v2, vcc_lo, s3, v2
	v_and_b32_e32 v7, 4, v4
	v_mov_b32_e32 v4, 0
	v_and_b32_e32 v9, 5, v10
	v_lshrrev_b32_e32 v10, 1, v10
	v_and_b32_e32 v11, 7, v12
	v_and_b32_e32 v12, 3, v12
	;; [unrolled: 1-line block ×3, first 2 shown]
	v_lshlrev_b32_e32 v14, 2, v14
	v_add_co_ci_u32_e64 v3, null, s0, v3, vcc_lo
	v_lshlrev_b32_e32 v15, 1, v15
	v_lshlrev_b32_e32 v16, 1, v16
	s_mov_b32 s3, 0
.LBB110_9:                              ; =>This Inner Loop Header: Depth=1
	v_add_nc_u32_e32 v19, s1, v5
	v_add_co_u32 v17, vcc_lo, v2, v14
	v_add_co_ci_u32_e64 v18, null, 0, v3, vcc_lo
	v_mad_i64_i32 v[19:20], null, 0x6e, v19, s[16:17]
	v_mov_b32_e32 v35, 0
	v_mov_b32_e32 v36, 0
	;; [unrolled: 1-line block ×4, first 2 shown]
	v_add_nc_u32_e32 v5, 2, v5
	v_add_co_u32 v21, vcc_lo, v19, v15
	v_add_co_ci_u32_e64 v22, null, 0, v20, vcc_lo
	v_add_co_u32 v23, vcc_lo, v19, v16
	v_add_co_ci_u32_e64 v24, null, 0, v20, vcc_lo
	;; [unrolled: 2-line block ×6, first 2 shown]
	s_clause 0x9
	global_load_ushort v19, v[19:20], off offset:108
	global_load_dword v20, v[21:22], off offset:32
	global_load_dword v21, v[23:24], off
	global_load_ubyte v22, v[25:26], off offset:96
	global_load_ubyte v23, v[25:26], off offset:104
	;; [unrolled: 1-line block ×7, first 2 shown]
	s_clause 0x7
	global_load_dword v26, v[17:18], off offset:4
	global_load_dword v30, v[17:18], off offset:40
	;; [unrolled: 1-line block ×4, first 2 shown]
	global_load_dword v18, v[2:3], off
	global_load_dword v32, v[2:3], off offset:36
	global_load_dword v33, v[2:3], off offset:72
	;; [unrolled: 1-line block ×3, first 2 shown]
	v_add_co_u32 v2, vcc_lo, 0x240, v2
	v_cmp_le_u32_e64 s0, s9, v5
	v_add_co_ci_u32_e64 v3, null, 0, v3, vcc_lo
	s_or_b32 s3, s0, s3
	s_waitcnt vmcnt(16)
	v_lshrrev_b32_e32 v43, 4, v20
	s_waitcnt vmcnt(15)
	v_ashrrev_i32_e32 v21, v7, v21
	s_waitcnt vmcnt(14)
	v_bfe_u32 v22, v22, v8, 4
	s_waitcnt vmcnt(13)
	v_lshrrev_b32_e32 v39, v8, v23
	v_lshrrev_b32_e32 v23, v10, v23
	v_and_b32_e32 v40, 0x3030303, v20
	v_not_b32_e32 v21, v21
	s_waitcnt vmcnt(12)
	v_lshrrev_b32_e32 v24, v8, v24
	v_lshlrev_b32_e32 v39, 4, v39
	v_lshrrev_b32_e32 v42, 2, v20
	s_waitcnt vmcnt(11)
	v_bfe_u32 v27, v27, v8, 4
	s_waitcnt vmcnt(9)
	v_lshrrev_b32_e32 v29, v13, v29
	v_lshrrev_b32_e32 v44, 6, v20
	v_and_or_b32 v22, v39, 48, v22
	v_lshlrev_b32_e32 v39, 2, v21
	v_lshlrev_b32_e32 v23, 4, v23
	v_and_b32_e32 v48, 0x3030303, v43
	v_lshlrev_b32_e32 v50, 1, v21
	v_and_b32_e32 v52, 0x4040404, v21
	v_lshrrev_b32_e32 v21, 1, v21
	v_and_b32_e32 v39, 0x4040404, v39
	v_bfe_u32 v41, v20, 24, 2
	s_waitcnt vmcnt(8)
	v_bfe_u32 v25, v25, v8, 4
	v_bfe_u32 v28, v28, v8, 4
	v_lshrrev_b16 v46, 8, v40
	v_lshlrev_b32_e32 v24, 4, v24
	v_and_b32_e32 v47, 0x3030303, v42
	v_bfe_u32 v43, v43, 24, 2
	v_lshlrev_b32_e32 v29, 4, v29
	v_and_b32_e32 v44, 0x3030303, v44
	v_and_or_b32 v23, v23, 48, v27
	v_lshrrev_b32_e32 v27, 16, v48
	v_lshrrev_b16 v51, 8, v48
	v_and_b32_e32 v50, 0x4040404, v50
	v_lshrrev_b32_e32 v54, 16, v52
	v_lshrrev_b32_e32 v55, 24, v52
	v_lshrrev_b16 v56, 8, v52
	v_and_b32_e32 v21, 0x4040404, v21
	v_lshrrev_b32_e32 v57, 24, v39
	v_lshrrev_b16 v58, 8, v39
	v_lshrrev_b32_e32 v45, 16, v40
	v_bfe_u32 v42, v42, 24, 2
	v_and_or_b32 v24, v24, 48, v25
	v_lshrrev_b32_e32 v25, 16, v47
	v_lshrrev_b16 v49, 8, v47
	v_and_or_b32 v28, v29, 48, v28
	v_lshrrev_b32_e32 v29, 16, v44
	v_lshrrev_b16 v53, 8, v44
	v_sub_nc_u16 v48, v48, v52
	v_lshrrev_b32_e32 v52, 16, v39
	v_sub_nc_u16 v39, v40, v39
	v_lshrrev_b32_e32 v40, 16, v50
	v_lshrrev_b32_e32 v59, 24, v50
	v_lshrrev_b16 v60, 8, v50
	v_sub_nc_u16 v47, v47, v50
	v_sub_nc_u16 v50, v51, v56
	;; [unrolled: 1-line block ×4, first 2 shown]
	v_lshrrev_b32_e32 v51, 16, v21
	v_lshrrev_b32_e32 v54, 24, v21
	v_lshrrev_b16 v55, 8, v21
	v_sub_nc_u16 v21, v44, v21
	v_sub_nc_u16 v44, v46, v58
	;; [unrolled: 1-line block ×6, first 2 shown]
	v_lshlrev_b16 v44, 8, v44
	v_lshlrev_b16 v41, 8, v41
	v_lshrrev_b32_e32 v20, 30, v20
	v_sub_nc_u16 v25, v25, v40
	v_lshlrev_b16 v46, 8, v46
	v_lshlrev_b16 v42, 8, v42
	v_or_b32_sdwa v39, v39, v44 dst_sel:DWORD dst_unused:UNUSED_PAD src0_sel:BYTE_0 src1_sel:DWORD
	v_or_b32_sdwa v41, v45, v41 dst_sel:WORD_1 dst_unused:UNUSED_PAD src0_sel:BYTE_0 src1_sel:DWORD
	v_lshlrev_b16 v40, 8, v50
	v_lshlrev_b16 v43, 8, v43
	v_sub_nc_u16 v49, v53, v55
	v_sub_nc_u16 v20, v20, v54
	v_or_b32_sdwa v44, v47, v46 dst_sel:DWORD dst_unused:UNUSED_PAD src0_sel:BYTE_0 src1_sel:DWORD
	v_or_b32_sdwa v25, v25, v42 dst_sel:WORD_1 dst_unused:UNUSED_PAD src0_sel:BYTE_0 src1_sel:DWORD
	v_or_b32_sdwa v39, v39, v41 dst_sel:DWORD dst_unused:UNUSED_PAD src0_sel:WORD_0 src1_sel:DWORD
	v_subrev_nc_u32_e32 v22, 32, v22
	v_sub_nc_u16 v29, v29, v51
	v_or_b32_sdwa v40, v48, v40 dst_sel:DWORD dst_unused:UNUSED_PAD src0_sel:BYTE_0 src1_sel:DWORD
	v_or_b32_sdwa v27, v27, v43 dst_sel:WORD_1 dst_unused:UNUSED_PAD src0_sel:BYTE_0 src1_sel:DWORD
	v_lshlrev_b16 v43, 8, v49
	v_lshlrev_b16 v20, 8, v20
	v_or_b32_sdwa v25, v44, v25 dst_sel:DWORD dst_unused:UNUSED_PAD src0_sel:WORD_0 src1_sel:DWORD
	s_waitcnt vmcnt(7)
	v_dot4c_i32_i8 v35, v39, v26
	v_subrev_nc_u32_e32 v24, 32, v24
	v_or_b32_sdwa v27, v40, v27 dst_sel:DWORD dst_unused:UNUSED_PAD src0_sel:WORD_0 src1_sel:DWORD
	v_or_b32_sdwa v21, v21, v43 dst_sel:DWORD dst_unused:UNUSED_PAD src0_sel:BYTE_0 src1_sel:DWORD
	v_or_b32_sdwa v20, v29, v20 dst_sel:WORD_1 dst_unused:UNUSED_PAD src0_sel:BYTE_0 src1_sel:DWORD
	s_waitcnt vmcnt(6)
	v_dot4c_i32_i8 v36, v25, v30
	v_mul_lo_u32 v22, v22, v35
	v_subrev_nc_u32_e32 v23, 32, v23
	s_waitcnt vmcnt(5)
	v_dot4c_i32_i8 v37, v27, v31
	v_or_b32_sdwa v20, v21, v20 dst_sel:DWORD dst_unused:UNUSED_PAD src0_sel:WORD_0 src1_sel:DWORD
	v_mul_lo_u32 v21, v24, v36
	v_subrev_nc_u32_e32 v28, 32, v28
	v_mul_lo_u32 v23, v23, v37
	v_cvt_f32_i32_e32 v22, v22
	s_waitcnt vmcnt(4)
	v_dot4c_i32_i8 v38, v20, v17
	v_cvt_f32_i32_e32 v17, v21
	s_waitcnt vmcnt(3)
	v_fma_mix_f32 v18, v18, v22, 0 op_sel_hi:[1,0,0]
	v_mul_lo_u32 v20, v28, v38
	v_cvt_f32_i32_e32 v21, v23
	s_waitcnt vmcnt(2)
	v_fma_mix_f32 v17, v32, v17, v18 op_sel_hi:[1,0,0]
	v_cvt_f32_i32_e32 v18, v20
	s_waitcnt vmcnt(1)
	v_fma_mix_f32 v17, v33, v21, v17 op_sel_hi:[1,0,0]
	s_waitcnt vmcnt(0)
	v_fma_mix_f32 v17, v34, v18, v17 op_sel_hi:[1,0,0]
	v_fma_mix_f32 v4, v17, v19, v4 op_sel_hi:[0,1,0]
	s_andn2_b32 exec_lo, exec_lo, s3
	s_cbranch_execnz .LBB110_9
; %bb.10:
	s_or_b32 exec_lo, exec_lo, s3
.LBB110_11:
	s_or_b32 exec_lo, exec_lo, s7
	s_waitcnt lgkmcnt(0)
	; wave barrier
	buffer_gl0_inv
	s_mov_b32 s0, exec_lo
	v_cmpx_eq_u32_e32 0, v1
	s_cbranch_execz .LBB110_14
; %bb.12:
	v_mbcnt_lo_u32_b32 v1, -1, 0
	v_xor_b32_e32 v2, 16, v1
	v_xor_b32_e32 v3, 8, v1
	v_cmp_gt_i32_e32 vcc_lo, 32, v2
	v_cndmask_b32_e32 v2, v1, v2, vcc_lo
	v_cmp_gt_i32_e32 vcc_lo, 32, v3
	v_lshlrev_b32_e32 v2, 2, v2
	v_cndmask_b32_e32 v3, v1, v3, vcc_lo
	ds_bpermute_b32 v2, v2, v4
	v_lshlrev_b32_e32 v3, 2, v3
	s_waitcnt lgkmcnt(0)
	v_add_f32_e32 v2, v4, v2
	v_xor_b32_e32 v4, 4, v1
	ds_bpermute_b32 v3, v3, v2
	v_cmp_gt_i32_e32 vcc_lo, 32, v4
	v_cndmask_b32_e32 v4, v1, v4, vcc_lo
	v_lshlrev_b32_e32 v4, 2, v4
	s_waitcnt lgkmcnt(0)
	v_add_f32_e32 v2, v2, v3
	ds_bpermute_b32 v3, v4, v2
	v_xor_b32_e32 v4, 2, v1
	v_cmp_gt_i32_e32 vcc_lo, 32, v4
	v_cndmask_b32_e32 v4, v1, v4, vcc_lo
	v_lshlrev_b32_e32 v4, 2, v4
	s_waitcnt lgkmcnt(0)
	v_add_f32_e32 v2, v2, v3
	ds_bpermute_b32 v3, v4, v2
	v_xor_b32_e32 v4, 1, v1
	v_cmp_gt_i32_e32 vcc_lo, 32, v4
	v_cndmask_b32_e32 v1, v1, v4, vcc_lo
	v_cmp_eq_u32_e32 vcc_lo, 0, v0
	v_lshlrev_b32_e32 v4, 2, v1
	s_waitcnt lgkmcnt(0)
	v_add_f32_e32 v1, v2, v3
	ds_bpermute_b32 v2, v4, v1
	s_and_b32 exec_lo, exec_lo, vcc_lo
	s_cbranch_execz .LBB110_14
; %bb.13:
	s_load_dwordx2 s[0:1], s[4:5], 0x38
	s_mul_i32 s2, s2, s10
	s_mul_i32 s3, s14, s8
	s_add_i32 s2, s2, s6
	s_waitcnt lgkmcnt(0)
	v_add_f32_e32 v0, v1, v2
	s_add_i32 s2, s2, s3
	s_mov_b32 s3, 0
	v_mov_b32_e32 v1, 0
	s_lshl_b64 s[2:3], s[2:3], 2
	s_add_u32 s0, s0, s2
	s_addc_u32 s1, s1, s3
	global_store_dword v1, v0, s[0:1]
.LBB110_14:
	s_endpgm
	.section	.rodata,"a",@progbits
	.p2align	6, 0x0
	.amdhsa_kernel _ZL13mul_mat_vec_qIL9ggml_type11ELi1ELb0ELb1EEvPKvS2_PKi31ggml_cuda_mm_fusion_args_devicePfj15HIP_vector_typeIjLj3EEjjjS8_jjjS8_jjjj
		.amdhsa_group_segment_fixed_size 0
		.amdhsa_private_segment_fixed_size 0
		.amdhsa_kernarg_size 144
		.amdhsa_user_sgpr_count 6
		.amdhsa_user_sgpr_private_segment_buffer 1
		.amdhsa_user_sgpr_dispatch_ptr 0
		.amdhsa_user_sgpr_queue_ptr 0
		.amdhsa_user_sgpr_kernarg_segment_ptr 1
		.amdhsa_user_sgpr_dispatch_id 0
		.amdhsa_user_sgpr_flat_scratch_init 0
		.amdhsa_user_sgpr_private_segment_size 0
		.amdhsa_wavefront_size32 1
		.amdhsa_uses_dynamic_stack 0
		.amdhsa_system_sgpr_private_segment_wavefront_offset 0
		.amdhsa_system_sgpr_workgroup_id_x 1
		.amdhsa_system_sgpr_workgroup_id_y 1
		.amdhsa_system_sgpr_workgroup_id_z 1
		.amdhsa_system_sgpr_workgroup_info 0
		.amdhsa_system_vgpr_workitem_id 1
		.amdhsa_next_free_vgpr 61
		.amdhsa_next_free_sgpr 23
		.amdhsa_reserve_vcc 1
		.amdhsa_reserve_flat_scratch 0
		.amdhsa_float_round_mode_32 0
		.amdhsa_float_round_mode_16_64 0
		.amdhsa_float_denorm_mode_32 3
		.amdhsa_float_denorm_mode_16_64 3
		.amdhsa_dx10_clamp 1
		.amdhsa_ieee_mode 1
		.amdhsa_fp16_overflow 0
		.amdhsa_workgroup_processor_mode 1
		.amdhsa_memory_ordered 1
		.amdhsa_forward_progress 1
		.amdhsa_shared_vgpr_count 0
		.amdhsa_exception_fp_ieee_invalid_op 0
		.amdhsa_exception_fp_denorm_src 0
		.amdhsa_exception_fp_ieee_div_zero 0
		.amdhsa_exception_fp_ieee_overflow 0
		.amdhsa_exception_fp_ieee_underflow 0
		.amdhsa_exception_fp_ieee_inexact 0
		.amdhsa_exception_int_div_zero 0
	.end_amdhsa_kernel
	.section	.text._ZL13mul_mat_vec_qIL9ggml_type11ELi1ELb0ELb1EEvPKvS2_PKi31ggml_cuda_mm_fusion_args_devicePfj15HIP_vector_typeIjLj3EEjjjS8_jjjS8_jjjj,"axG",@progbits,_ZL13mul_mat_vec_qIL9ggml_type11ELi1ELb0ELb1EEvPKvS2_PKi31ggml_cuda_mm_fusion_args_devicePfj15HIP_vector_typeIjLj3EEjjjS8_jjjS8_jjjj,comdat
.Lfunc_end110:
	.size	_ZL13mul_mat_vec_qIL9ggml_type11ELi1ELb0ELb1EEvPKvS2_PKi31ggml_cuda_mm_fusion_args_devicePfj15HIP_vector_typeIjLj3EEjjjS8_jjjS8_jjjj, .Lfunc_end110-_ZL13mul_mat_vec_qIL9ggml_type11ELi1ELb0ELb1EEvPKvS2_PKi31ggml_cuda_mm_fusion_args_devicePfj15HIP_vector_typeIjLj3EEjjjS8_jjjS8_jjjj
                                        ; -- End function
	.set _ZL13mul_mat_vec_qIL9ggml_type11ELi1ELb0ELb1EEvPKvS2_PKi31ggml_cuda_mm_fusion_args_devicePfj15HIP_vector_typeIjLj3EEjjjS8_jjjS8_jjjj.num_vgpr, 61
	.set _ZL13mul_mat_vec_qIL9ggml_type11ELi1ELb0ELb1EEvPKvS2_PKi31ggml_cuda_mm_fusion_args_devicePfj15HIP_vector_typeIjLj3EEjjjS8_jjjS8_jjjj.num_agpr, 0
	.set _ZL13mul_mat_vec_qIL9ggml_type11ELi1ELb0ELb1EEvPKvS2_PKi31ggml_cuda_mm_fusion_args_devicePfj15HIP_vector_typeIjLj3EEjjjS8_jjjS8_jjjj.numbered_sgpr, 23
	.set _ZL13mul_mat_vec_qIL9ggml_type11ELi1ELb0ELb1EEvPKvS2_PKi31ggml_cuda_mm_fusion_args_devicePfj15HIP_vector_typeIjLj3EEjjjS8_jjjS8_jjjj.num_named_barrier, 0
	.set _ZL13mul_mat_vec_qIL9ggml_type11ELi1ELb0ELb1EEvPKvS2_PKi31ggml_cuda_mm_fusion_args_devicePfj15HIP_vector_typeIjLj3EEjjjS8_jjjS8_jjjj.private_seg_size, 0
	.set _ZL13mul_mat_vec_qIL9ggml_type11ELi1ELb0ELb1EEvPKvS2_PKi31ggml_cuda_mm_fusion_args_devicePfj15HIP_vector_typeIjLj3EEjjjS8_jjjS8_jjjj.uses_vcc, 1
	.set _ZL13mul_mat_vec_qIL9ggml_type11ELi1ELb0ELb1EEvPKvS2_PKi31ggml_cuda_mm_fusion_args_devicePfj15HIP_vector_typeIjLj3EEjjjS8_jjjS8_jjjj.uses_flat_scratch, 0
	.set _ZL13mul_mat_vec_qIL9ggml_type11ELi1ELb0ELb1EEvPKvS2_PKi31ggml_cuda_mm_fusion_args_devicePfj15HIP_vector_typeIjLj3EEjjjS8_jjjS8_jjjj.has_dyn_sized_stack, 0
	.set _ZL13mul_mat_vec_qIL9ggml_type11ELi1ELb0ELb1EEvPKvS2_PKi31ggml_cuda_mm_fusion_args_devicePfj15HIP_vector_typeIjLj3EEjjjS8_jjjS8_jjjj.has_recursion, 0
	.set _ZL13mul_mat_vec_qIL9ggml_type11ELi1ELb0ELb1EEvPKvS2_PKi31ggml_cuda_mm_fusion_args_devicePfj15HIP_vector_typeIjLj3EEjjjS8_jjjS8_jjjj.has_indirect_call, 0
	.section	.AMDGPU.csdata,"",@progbits
; Kernel info:
; codeLenInByte = 1876
; TotalNumSgprs: 25
; NumVgprs: 61
; ScratchSize: 0
; MemoryBound: 0
; FloatMode: 240
; IeeeMode: 1
; LDSByteSize: 0 bytes/workgroup (compile time only)
; SGPRBlocks: 0
; VGPRBlocks: 7
; NumSGPRsForWavesPerEU: 25
; NumVGPRsForWavesPerEU: 61
; Occupancy: 16
; WaveLimiterHint : 0
; COMPUTE_PGM_RSRC2:SCRATCH_EN: 0
; COMPUTE_PGM_RSRC2:USER_SGPR: 6
; COMPUTE_PGM_RSRC2:TRAP_HANDLER: 0
; COMPUTE_PGM_RSRC2:TGID_X_EN: 1
; COMPUTE_PGM_RSRC2:TGID_Y_EN: 1
; COMPUTE_PGM_RSRC2:TGID_Z_EN: 1
; COMPUTE_PGM_RSRC2:TIDIG_COMP_CNT: 1
	.section	.text._ZL13mul_mat_vec_qIL9ggml_type11ELi1ELb1ELb0EEvPKvS2_PKi31ggml_cuda_mm_fusion_args_devicePfj15HIP_vector_typeIjLj3EEjjjS8_jjjS8_jjjj,"axG",@progbits,_ZL13mul_mat_vec_qIL9ggml_type11ELi1ELb1ELb0EEvPKvS2_PKi31ggml_cuda_mm_fusion_args_devicePfj15HIP_vector_typeIjLj3EEjjjS8_jjjS8_jjjj,comdat
	.globl	_ZL13mul_mat_vec_qIL9ggml_type11ELi1ELb1ELb0EEvPKvS2_PKi31ggml_cuda_mm_fusion_args_devicePfj15HIP_vector_typeIjLj3EEjjjS8_jjjS8_jjjj ; -- Begin function _ZL13mul_mat_vec_qIL9ggml_type11ELi1ELb1ELb0EEvPKvS2_PKi31ggml_cuda_mm_fusion_args_devicePfj15HIP_vector_typeIjLj3EEjjjS8_jjjS8_jjjj
	.p2align	8
	.type	_ZL13mul_mat_vec_qIL9ggml_type11ELi1ELb1ELb0EEvPKvS2_PKi31ggml_cuda_mm_fusion_args_devicePfj15HIP_vector_typeIjLj3EEjjjS8_jjjS8_jjjj,@function
_ZL13mul_mat_vec_qIL9ggml_type11ELi1ELb1ELb0EEvPKvS2_PKi31ggml_cuda_mm_fusion_args_devicePfj15HIP_vector_typeIjLj3EEjjjS8_jjjS8_jjjj: ; @_ZL13mul_mat_vec_qIL9ggml_type11ELi1ELb1ELb0EEvPKvS2_PKi31ggml_cuda_mm_fusion_args_devicePfj15HIP_vector_typeIjLj3EEjjjS8_jjjS8_jjjj
; %bb.0:
	s_clause 0x3
	s_load_dwordx8 s[12:19], s[4:5], 0x0
	s_load_dwordx4 s[28:31], s[4:5], 0x20
	s_load_dwordx4 s[36:39], s[4:5], 0x40
	;; [unrolled: 1-line block ×3, first 2 shown]
	s_mov_b32 s10, s7
	s_waitcnt lgkmcnt(0)
	s_cmp_lg_u64 s[16:17], 0
	s_cselect_b32 s0, -1, 0
	s_cmp_eq_u64 s[16:17], 0
	s_cbranch_scc1 .LBB111_5
; %bb.1:
	s_mov_b32 s11, 0
	s_lshl_b64 s[2:3], s[10:11], 2
	s_add_u32 s2, s16, s2
	s_addc_u32 s3, s17, s3
	s_load_dword s33, s[2:3], 0x0
	s_clause 0x1
	s_load_dword s35, s[4:5], 0x50
	s_load_dword s34, s[4:5], 0x78
	s_cbranch_execnz .LBB111_3
.LBB111_2:
	s_load_dwordx2 s[2:3], s[4:5], 0x5c
	s_waitcnt lgkmcnt(0)
	s_mul_hi_u32 s1, s2, s10
	s_add_i32 s1, s10, s1
	s_lshr_b32 s33, s1, s3
.LBB111_3:
	s_andn2_b32 vcc_lo, exec_lo, s0
	s_cbranch_vccnz .LBB111_6
; %bb.4:
	s_mul_hi_u32 s0, s37, s10
	s_waitcnt lgkmcnt(0)
	s_mov_b32 s1, s33
	s_add_i32 s0, s10, s0
	s_lshr_b32 s0, s0, s38
	s_mul_i32 s0, s0, s39
	s_sub_i32 s11, s10, s0
	s_branch .LBB111_7
.LBB111_5:
                                        ; implicit-def: $sgpr33
	s_clause 0x1
	s_load_dword s35, s[4:5], 0x50
	s_load_dword s34, s[4:5], 0x78
	s_branch .LBB111_2
.LBB111_6:
	s_mov_b32 s1, s10
	s_mov_b32 s11, s10
.LBB111_7:
	s_load_dwordx4 s[24:27], s[4:5], 0x80
	v_or_b32_e32 v2, v0, v1
	s_cmp_lg_u64 s[18:19], 0
	v_mov_b32_e32 v4, 0
	v_mov_b32_e32 v5, 0
	s_cselect_b32 s0, -1, 0
	v_cmp_eq_u32_e32 vcc_lo, 0, v2
	s_mov_b32 s17, 0
	s_mul_i32 s2, s1, s22
	s_and_b32 s3, s0, vcc_lo
	s_and_saveexec_b32 s1, s3
	s_cbranch_execz .LBB111_9
; %bb.8:
	s_waitcnt lgkmcnt(0)
	s_mul_i32 s16, s26, s8
	s_mov_b32 s3, s17
	s_lshl_b64 s[38:39], s[16:17], 2
	v_lshlrev_b32_e32 v2, 2, v0
	s_add_u32 s7, s18, s38
	s_addc_u32 s9, s19, s39
	s_lshl_b64 s[16:17], s[2:3], 2
	s_add_u32 s3, s7, s16
	s_addc_u32 s9, s9, s17
	s_ashr_i32 s7, s6, 31
	s_lshl_b64 s[16:17], s[6:7], 2
	s_add_u32 s16, s3, s16
	s_addc_u32 s17, s9, s17
	global_load_dword v5, v2, s[16:17]
.LBB111_9:
	s_or_b32 exec_lo, exec_lo, s1
	s_cmp_lg_u64 s[28:29], 0
	s_cselect_b32 s9, -1, 0
	s_cmp_lg_u64 s[30:31], 0
	s_cselect_b32 s1, -1, 0
	s_and_b32 s3, s1, s9
	s_and_b32 s3, s3, vcc_lo
	s_and_saveexec_b32 s16, s3
	s_cbranch_execz .LBB111_11
; %bb.10:
	s_waitcnt lgkmcnt(0)
	s_mul_i32 s18, s26, s8
	s_mov_b32 s19, 0
	v_lshlrev_b32_e32 v2, 2, v0
	s_lshl_b64 s[38:39], s[18:19], 2
	s_mov_b32 s3, s19
	s_add_u32 s7, s30, s38
	s_addc_u32 s17, s31, s39
	s_lshl_b64 s[2:3], s[2:3], 2
	s_add_u32 s18, s7, s2
	s_addc_u32 s17, s17, s3
	s_ashr_i32 s7, s6, 31
	s_lshl_b64 s[2:3], s[6:7], 2
	s_add_u32 s2, s18, s2
	s_addc_u32 s3, s17, s3
	global_load_dword v4, v2, s[2:3]
.LBB111_11:
	s_or_b32 exec_lo, exec_lo, s16
	v_lshl_or_b32 v2, v1, 5, v0
	v_mov_b32_e32 v7, 0
	v_cndmask_b32_e64 v6, 0, 1, s9
	v_mov_b32_e32 v8, 0
	s_lshr_b32 s3, s36, 8
	v_lshrrev_b32_e32 v9, 4, v2
	s_mov_b32 s7, exec_lo
	v_cmpx_gt_u32_e64 s3, v9
	s_cbranch_execz .LBB111_17
; %bb.12:
	v_and_b32_e32 v3, 8, v0
	v_bfe_u32 v10, v0, 2, 1
	v_bfe_u32 v17, v0, 3, 1
	s_mul_hi_u32 s2, s23, s8
	v_lshrrev_b32_e32 v21, 4, v2
	s_add_i32 s2, s8, s2
	v_or_b32_e32 v12, v10, v3
	v_mul_u32_u24_e32 v2, 0x90, v17
	s_waitcnt lgkmcnt(0)
	s_lshr_b32 s2, s2, s34
	s_mul_i32 s35, s35, s6
	s_mul_i32 s2, s2, s24
	v_or_b32_e32 v14, 4, v12
	v_or_b32_e32 v16, 6, v12
	v_lshrrev_b32_e32 v12, 1, v3
	v_mul_hi_u32_u24_e32 v3, 0x90, v17
	s_mul_i32 s16, s33, s20
	s_mul_i32 s17, s25, s8
	s_add_i32 s2, s2, s35
	v_lshlrev_b32_e32 v8, 1, v0
	v_and_b32_e32 v18, 7, v0
	v_mad_u64_u32 v[2:3], null, 0x120, v21, v[2:3]
	s_mul_i32 s18, s11, s21
	s_add_i32 s11, s16, s2
	s_mul_i32 s16, s17, 36
	s_mul_hi_u32 s17, s17, 36
	s_mul_hi_u32 s2, s18, 36
	s_mul_i32 s18, s18, 36
	s_add_u32 s14, s14, s16
	v_lshrrev_b32_e32 v7, 1, v0
	v_and_b32_e32 v8, 30, v8
	v_lshlrev_b32_e32 v20, 1, v18
	v_lshrrev_b32_e32 v19, 1, v16
	s_addc_u32 s15, s15, s17
	s_add_u32 s14, s14, s18
	s_addc_u32 s2, s15, s2
	v_add_co_u32 v2, vcc_lo, s14, v2
	v_and_b32_e32 v11, 4, v7
	v_mov_b32_e32 v7, 0
	v_and_b32_e32 v13, 5, v14
	v_lshrrev_b32_e32 v14, 1, v14
	v_and_b32_e32 v15, 7, v16
	v_and_b32_e32 v16, 3, v16
	;; [unrolled: 1-line block ×3, first 2 shown]
	v_lshlrev_b32_e32 v18, 2, v18
	v_add_co_ci_u32_e64 v3, null, s2, v3, vcc_lo
	v_lshlrev_b32_e32 v19, 1, v8
	v_lshlrev_b32_e32 v20, 1, v20
	v_mov_b32_e32 v8, 0
	s_mov_b32 s14, 0
	s_branch .LBB111_14
.LBB111_13:                             ;   in Loop: Header=BB111_14 Depth=1
	v_ashrrev_i32_e32 v35, v11, v35
	s_waitcnt vmcnt(6)
	v_and_b32_e32 v38, 0xff, v38
	s_waitcnt vmcnt(5)
	v_lshrrev_b32_sdwa v39, v12, v33 dst_sel:DWORD dst_unused:UNUSED_PAD src0_sel:DWORD src1_sel:BYTE_0
	v_and_b32_e32 v40, 0x3030303, v24
	v_bfe_u32 v41, v24, 24, 2
	v_not_b32_e32 v35, v35
	v_bfe_u32 v38, v38, v12, 4
	v_lshlrev_b32_e32 v39, 4, v39
	v_lshrrev_b32_e32 v44, 2, v24
	v_lshrrev_b16 v46, 8, v40
	v_lshlrev_b32_e32 v43, 2, v35
	v_lshlrev_b32_e32 v49, 1, v35
	v_and_or_b32 v38, v39, 48, v38
	v_lshrrev_b32_e32 v45, 16, v40
	v_and_b32_e32 v47, 0x3030303, v44
	v_and_b32_e32 v43, 0x4040404, v43
	v_bfe_u32 v44, v44, 24, 2
	v_mov_b32_e32 v42, 0
	s_waitcnt vmcnt(0)
	v_and_b32_e32 v37, 0xff, v37
	v_lshrrev_b32_e32 v50, 16, v47
	v_lshrrev_b16 v39, 8, v43
	v_lshrrev_b32_e32 v48, 24, v43
	v_lshrrev_b32_e32 v51, 16, v43
	v_sub_nc_u16 v40, v40, v43
	v_lshrrev_b32_sdwa v36, v12, v36 dst_sel:DWORD dst_unused:UNUSED_PAD src0_sel:DWORD src1_sel:BYTE_0
	v_sub_nc_u16 v39, v46, v39
	v_sub_nc_u16 v41, v41, v48
	v_and_b32_e32 v46, 0x4040404, v49
	v_sub_nc_u16 v43, v45, v51
	v_lshrrev_b16 v45, 8, v47
	v_lshlrev_b16 v39, 8, v39
	v_lshlrev_b16 v41, 8, v41
	v_lshrrev_b32_e32 v48, 24, v46
	v_lshrrev_b16 v49, 8, v46
	v_lshlrev_b32_e32 v36, 4, v36
	v_or_b32_sdwa v39, v40, v39 dst_sel:DWORD dst_unused:UNUSED_PAD src0_sel:BYTE_0 src1_sel:DWORD
	v_or_b32_sdwa v40, v43, v41 dst_sel:WORD_1 dst_unused:UNUSED_PAD src0_sel:BYTE_0 src1_sel:DWORD
	v_lshrrev_b32_e32 v41, 16, v46
	v_sub_nc_u16 v43, v45, v49
	v_sub_nc_u16 v44, v44, v48
	v_subrev_nc_u32_e32 v38, 32, v38
	v_or_b32_sdwa v39, v39, v40 dst_sel:DWORD dst_unused:UNUSED_PAD src0_sel:WORD_0 src1_sel:DWORD
	v_sub_nc_u16 v40, v47, v46
	v_sub_nc_u16 v41, v50, v41
	v_lshlrev_b16 v43, 8, v43
	v_lshlrev_b16 v44, 8, v44
	v_dot4c_i32_i8 v42, v39, v32
	v_bfe_u32 v32, v37, v12, 4
	v_and_b32_e32 v34, 0xff, v34
	v_or_b32_sdwa v37, v40, v43 dst_sel:DWORD dst_unused:UNUSED_PAD src0_sel:BYTE_0 src1_sel:DWORD
	v_or_b32_sdwa v39, v41, v44 dst_sel:WORD_1 dst_unused:UNUSED_PAD src0_sel:BYTE_0 src1_sel:DWORD
	v_lshrrev_b32_e32 v40, 4, v24
	v_and_or_b32 v32, v36, 48, v32
	v_mov_b32_e32 v36, 0
	v_mul_lo_u32 v38, v38, v42
	v_or_b32_sdwa v37, v37, v39 dst_sel:DWORD dst_unused:UNUSED_PAD src0_sel:WORD_0 src1_sel:DWORD
	v_and_b32_e32 v41, 0x3030303, v40
	v_and_b32_e32 v39, 0x4040404, v35
	v_bfe_u32 v40, v40, 24, 2
	v_bfe_u32 v34, v34, v12, 4
	v_dot4c_i32_i8 v36, v37, v31
	v_lshrrev_b32_sdwa v31, v14, v33 dst_sel:DWORD dst_unused:UNUSED_PAD src0_sel:DWORD src1_sel:BYTE_0
	v_lshrrev_b16 v33, 8, v41
	v_lshrrev_b16 v37, 8, v39
	v_lshrrev_b32_e32 v42, 24, v39
	v_lshrrev_b32_e32 v43, 16, v39
	v_lshlrev_b32_e32 v31, 4, v31
	v_sub_nc_u16 v39, v41, v39
	v_sub_nc_u16 v33, v33, v37
	v_lshrrev_b32_e32 v37, 16, v41
	v_sub_nc_u16 v40, v40, v42
	v_lshrrev_b32_e32 v41, 6, v24
	v_lshrrev_b32_e32 v35, 1, v35
	v_lshlrev_b16 v33, 8, v33
	v_sub_nc_u16 v37, v37, v43
	v_lshlrev_b16 v40, 8, v40
	v_and_or_b32 v31, v31, 48, v34
	v_and_b32_e32 v34, 0x3030303, v41
	v_and_b32_e32 v35, 0x4040404, v35
	v_or_b32_sdwa v33, v39, v33 dst_sel:DWORD dst_unused:UNUSED_PAD src0_sel:BYTE_0 src1_sel:DWORD
	v_or_b32_sdwa v37, v37, v40 dst_sel:WORD_1 dst_unused:UNUSED_PAD src0_sel:BYTE_0 src1_sel:DWORD
	v_lshrrev_b32_e32 v24, 30, v24
	v_lshrrev_b16 v39, 8, v34
	v_lshrrev_b16 v40, 8, v35
	v_lshrrev_b32_e32 v41, 24, v35
	v_or_b32_sdwa v33, v33, v37 dst_sel:DWORD dst_unused:UNUSED_PAD src0_sel:WORD_0 src1_sel:DWORD
	v_lshrrev_b32_e32 v37, 16, v34
	v_and_b32_e32 v30, 0xff, v30
	v_sub_nc_u16 v39, v39, v40
	v_sub_nc_u16 v24, v24, v41
	v_lshrrev_b32_e32 v40, 16, v35
	v_lshrrev_b32_sdwa v29, v17, v29 dst_sel:DWORD dst_unused:UNUSED_PAD src0_sel:DWORD src1_sel:BYTE_0
	v_sub_nc_u16 v34, v34, v35
	v_lshlrev_b16 v35, 8, v39
	v_lshlrev_b16 v24, 8, v24
	v_sub_nc_u16 v37, v37, v40
	v_subrev_nc_u32_e32 v32, 32, v32
	v_mov_b32_e32 v39, 0
	v_bfe_u32 v30, v30, v12, 4
	v_lshlrev_b32_e32 v29, 4, v29
	v_or_b32_sdwa v34, v34, v35 dst_sel:DWORD dst_unused:UNUSED_PAD src0_sel:BYTE_0 src1_sel:DWORD
	v_or_b32_sdwa v24, v37, v24 dst_sel:WORD_1 dst_unused:UNUSED_PAD src0_sel:BYTE_0 src1_sel:DWORD
	v_mul_lo_u32 v32, v32, v36
	v_subrev_nc_u32_e32 v31, 32, v31
	v_dot4c_i32_i8 v39, v33, v23
	v_and_or_b32 v23, v29, 48, v30
	v_or_b32_sdwa v24, v34, v24 dst_sel:DWORD dst_unused:UNUSED_PAD src0_sel:WORD_0 src1_sel:DWORD
	v_mov_b32_e32 v29, 0
	v_cvt_f32_i32_e32 v38, v38
	v_mul_lo_u32 v30, v31, v39
	v_subrev_nc_u32_e32 v23, 32, v23
	v_add_nc_u32_e32 v9, 2, v9
	v_dot4c_i32_i8 v29, v24, v22
	v_fma_f32 v28, v28, v38, 0
	v_cvt_f32_i32_e32 v22, v32
	v_add_co_u32 v2, s2, 0x240, v2
	v_mul_lo_u32 v23, v23, v29
	v_cmp_le_u32_e32 vcc_lo, s3, v9
	v_fmac_f32_e32 v28, v27, v22
	v_cvt_f32_i32_e32 v22, v30
	v_add_co_ci_u32_e64 v3, null, 0, v3, s2
	s_or_b32 s14, vcc_lo, s14
	v_fmac_f32_e32 v28, v26, v22
	v_cvt_f32_i32_e32 v22, v23
	v_fmac_f32_e32 v28, v25, v22
	v_fma_mix_f32 v7, v28, v21, v7 op_sel_hi:[0,1,0]
	s_andn2_b32 exec_lo, exec_lo, s14
	s_cbranch_execz .LBB111_16
.LBB111_14:                             ; =>This Inner Loop Header: Depth=1
	v_add_nc_u32_e32 v39, s11, v9
	v_mad_i64_i32 v[25:26], null, 0x6e, v39, s[12:13]
	v_add_co_u32 v22, vcc_lo, v25, v19
	v_add_co_ci_u32_e64 v23, null, 0, v26, vcc_lo
	v_add_co_u32 v27, vcc_lo, v25, v20
	v_add_co_ci_u32_e64 v28, null, 0, v26, vcc_lo
	;; [unrolled: 2-line block ×3, first 2 shown]
	s_clause 0x2
	global_load_ushort v21, v[25:26], off offset:108
	global_load_dword v24, v[22:23], off offset:32
	global_load_dword v35, v[27:28], off
	s_clause 0x7
	global_load_dword v32, v[29:30], off offset:4
	global_load_dword v31, v[29:30], off offset:40
	;; [unrolled: 1-line block ×4, first 2 shown]
	global_load_dword v42, v[2:3], off
	global_load_dword v43, v[2:3], off offset:36
	global_load_dword v44, v[2:3], off offset:72
	global_load_dword v45, v[2:3], off offset:108
	v_add_co_u32 v27, vcc_lo, v25, v10
	v_add_co_ci_u32_e64 v28, null, 0, v26, vcc_lo
	v_add_co_u32 v29, vcc_lo, v25, v13
	v_add_co_ci_u32_e64 v30, null, 0, v26, vcc_lo
	;; [unrolled: 2-line block ×4, first 2 shown]
	s_clause 0x6
	global_load_ubyte v38, v[27:28], off offset:96
	global_load_ubyte v33, v[27:28], off offset:104
	;; [unrolled: 1-line block ×7, first 2 shown]
	s_andn2_b32 vcc_lo, exec_lo, s9
	s_waitcnt vmcnt(10)
	v_cvt_f32_f16_e32 v28, v42
	s_waitcnt vmcnt(9)
	v_cvt_f32_f16_e32 v27, v43
	;; [unrolled: 2-line block ×4, first 2 shown]
	s_cbranch_vccnz .LBB111_13
; %bb.15:                               ;   in Loop: Header=BB111_14 Depth=1
	v_mad_i64_i32 v[39:40], null, 0x6e, v39, s[28:29]
	v_add_co_u32 v41, vcc_lo, v39, v16
	v_add_co_ci_u32_e64 v42, null, 0, v40, vcc_lo
	v_add_co_u32 v43, vcc_lo, v39, v15
	v_add_co_ci_u32_e64 v44, null, 0, v40, vcc_lo
	;; [unrolled: 2-line block ×6, first 2 shown]
	s_clause 0x6
	global_load_ushort v39, v[39:40], off offset:108
	global_load_dword v40, v[51:52], off offset:32
	global_load_dword v49, v[49:50], off
	global_load_ubyte v50, v[45:46], off offset:96
	global_load_ubyte v51, v[45:46], off offset:104
	;; [unrolled: 1-line block ×4, first 2 shown]
	s_waitcnt vmcnt(5)
	v_bfe_u32 v54, v40, 24, 2
	s_waitcnt vmcnt(4)
	v_ashrrev_i32_e32 v49, v11, v49
	s_waitcnt vmcnt(3)
	v_bfe_u32 v50, v50, v12, 4
	s_waitcnt vmcnt(2)
	v_lshrrev_b32_e32 v52, v12, v51
	v_lshrrev_b32_e32 v42, 6, v40
	s_waitcnt vmcnt(0)
	v_lshrrev_b32_e32 v41, v17, v41
	v_not_b32_e32 v49, v49
	v_bfe_u32 v43, v43, v12, 4
	v_lshlrev_b32_e32 v52, 4, v52
	v_and_b32_e32 v42, 0x3030303, v42
	v_lshlrev_b32_e32 v41, 4, v41
	v_lshlrev_b32_e32 v56, 2, v49
	v_and_or_b32 v50, v52, 48, v50
	v_and_b32_e32 v52, 0x3030303, v40
	v_lshrrev_b16 v44, 8, v42
	v_and_b32_e32 v56, 0x4040404, v56
	v_and_or_b32 v41, v41, 48, v43
	v_subrev_nc_u32_e32 v50, 32, v50
	v_lshrrev_b16 v55, 8, v52
	v_lshrrev_b32_e32 v53, 16, v52
	v_lshrrev_b32_e32 v58, 24, v56
	v_lshrrev_b16 v59, 8, v56
	v_lshrrev_b32_e32 v57, 16, v56
	v_sub_nc_u16 v52, v52, v56
	v_lshrrev_b32_e32 v43, 16, v42
	v_sub_nc_u16 v54, v54, v58
	v_sub_nc_u16 v55, v55, v59
	;; [unrolled: 1-line block ×3, first 2 shown]
	v_subrev_nc_u32_e32 v41, 32, v41
	v_lshlrev_b16 v54, 8, v54
	v_lshlrev_b16 v55, 8, v55
	v_or_b32_sdwa v53, v53, v54 dst_sel:WORD_1 dst_unused:UNUSED_PAD src0_sel:BYTE_0 src1_sel:DWORD
	v_or_b32_sdwa v52, v52, v55 dst_sel:DWORD dst_unused:UNUSED_PAD src0_sel:BYTE_0 src1_sel:DWORD
	v_lshlrev_b32_e32 v55, 1, v49
	v_or_b32_sdwa v52, v52, v53 dst_sel:DWORD dst_unused:UNUSED_PAD src0_sel:WORD_0 src1_sel:DWORD
	v_mov_b32_e32 v53, 0
	v_and_b32_e32 v55, 0x4040404, v55
	v_dot4c_i32_i8 v53, v52, v32
	s_clause 0x1
	global_load_ubyte v52, v[45:46], off offset:98
	global_load_ubyte v45, v[45:46], off offset:106
	v_lshrrev_b32_e32 v46, 2, v40
	v_lshrrev_b32_e32 v57, 24, v55
	v_lshrrev_b16 v58, 8, v55
	v_mul_lo_u32 v50, v50, v53
	v_lshrrev_b32_e32 v56, 16, v55
	v_cvt_f32_i32_e32 v50, v50
	v_fma_f32 v50, v28, v50, 0
	s_waitcnt vmcnt(1)
	v_bfe_u32 v52, v52, v12, 4
	s_waitcnt vmcnt(0)
	v_lshrrev_b32_e32 v45, v12, v45
	v_lshlrev_b32_e32 v45, 4, v45
	v_and_or_b32 v45, v45, 48, v52
	v_and_b32_e32 v52, 0x3030303, v46
	v_bfe_u32 v46, v46, 24, 2
	v_subrev_nc_u32_e32 v45, 32, v45
	v_lshrrev_b16 v54, 8, v52
	v_lshrrev_b32_e32 v53, 16, v52
	v_sub_nc_u16 v46, v46, v57
	v_sub_nc_u16 v52, v52, v55
	v_sub_nc_u16 v54, v54, v58
	v_sub_nc_u16 v53, v53, v56
	v_lshlrev_b16 v46, 8, v46
	v_lshlrev_b16 v54, 8, v54
	v_or_b32_sdwa v46, v53, v46 dst_sel:WORD_1 dst_unused:UNUSED_PAD src0_sel:BYTE_0 src1_sel:DWORD
	v_or_b32_sdwa v52, v52, v54 dst_sel:DWORD dst_unused:UNUSED_PAD src0_sel:BYTE_0 src1_sel:DWORD
	v_or_b32_sdwa v46, v52, v46 dst_sel:DWORD dst_unused:UNUSED_PAD src0_sel:WORD_0 src1_sel:DWORD
	v_mov_b32_e32 v52, 0
	v_dot4c_i32_i8 v52, v46, v31
	v_lshrrev_b32_e32 v46, v14, v51
	v_mul_lo_u32 v45, v45, v52
	v_lshlrev_b32_e32 v46, 4, v46
	v_and_b32_e32 v52, 0x4040404, v49
	v_lshrrev_b32_e32 v54, 24, v52
	v_cvt_f32_i32_e32 v45, v45
	v_lshrrev_b16 v55, 8, v52
	v_lshrrev_b32_e32 v53, 16, v52
	v_fmac_f32_e32 v50, v27, v45
	global_load_ubyte v45, v[47:48], off offset:96
	s_waitcnt vmcnt(0)
	v_bfe_u32 v45, v45, v12, 4
	v_and_or_b32 v45, v46, 48, v45
	v_lshrrev_b32_e32 v46, 4, v40
	v_lshrrev_b32_e32 v40, 30, v40
	v_subrev_nc_u32_e32 v45, 32, v45
	v_and_b32_e32 v47, 0x3030303, v46
	v_bfe_u32 v46, v46, 24, 2
	v_lshrrev_b16 v51, 8, v47
	v_lshrrev_b32_e32 v48, 16, v47
	v_sub_nc_u16 v46, v46, v54
	v_sub_nc_u16 v47, v47, v52
	;; [unrolled: 1-line block ×4, first 2 shown]
	v_lshlrev_b16 v46, 8, v46
	v_lshlrev_b16 v51, 8, v51
	v_or_b32_sdwa v46, v48, v46 dst_sel:WORD_1 dst_unused:UNUSED_PAD src0_sel:BYTE_0 src1_sel:DWORD
	v_or_b32_sdwa v47, v47, v51 dst_sel:DWORD dst_unused:UNUSED_PAD src0_sel:BYTE_0 src1_sel:DWORD
	v_or_b32_sdwa v46, v47, v46 dst_sel:DWORD dst_unused:UNUSED_PAD src0_sel:WORD_0 src1_sel:DWORD
	v_mov_b32_e32 v47, 0
	v_dot4c_i32_i8 v47, v46, v23
	v_mul_lo_u32 v45, v45, v47
	v_cvt_f32_i32_e32 v45, v45
	v_fmac_f32_e32 v50, v26, v45
	v_lshrrev_b32_e32 v45, 1, v49
	v_and_b32_e32 v45, 0x4040404, v45
	v_lshrrev_b32_e32 v47, 24, v45
	v_lshrrev_b16 v48, 8, v45
	v_lshrrev_b32_e32 v46, 16, v45
	v_sub_nc_u16 v42, v42, v45
	v_sub_nc_u16 v40, v40, v47
	v_sub_nc_u16 v44, v44, v48
	v_sub_nc_u16 v43, v43, v46
	v_lshlrev_b16 v40, 8, v40
	v_lshlrev_b16 v44, 8, v44
	v_or_b32_sdwa v40, v43, v40 dst_sel:WORD_1 dst_unused:UNUSED_PAD src0_sel:BYTE_0 src1_sel:DWORD
	v_or_b32_sdwa v42, v42, v44 dst_sel:DWORD dst_unused:UNUSED_PAD src0_sel:BYTE_0 src1_sel:DWORD
	v_or_b32_sdwa v40, v42, v40 dst_sel:DWORD dst_unused:UNUSED_PAD src0_sel:WORD_0 src1_sel:DWORD
	v_mov_b32_e32 v42, 0
	v_dot4c_i32_i8 v42, v40, v22
	v_mul_lo_u32 v40, v41, v42
	v_cvt_f32_i32_e32 v40, v40
	v_fmac_f32_e32 v50, v25, v40
	v_fma_mix_f32 v8, v50, v39, v8 op_sel_hi:[0,1,0]
	s_branch .LBB111_13
.LBB111_16:
	s_or_b32 exec_lo, exec_lo, s14
.LBB111_17:
	s_or_b32 exec_lo, exec_lo, s7
	s_load_dword s2, s[4:5], 0x30
	s_waitcnt vmcnt(0) lgkmcnt(0)
	; wave barrier
	buffer_gl0_inv
	s_mov_b32 s3, exec_lo
	v_cmpx_eq_u32_e32 0, v1
	s_cbranch_execz .LBB111_44
; %bb.18:
	v_mbcnt_lo_u32_b32 v2, -1, 0
	v_xor_b32_e32 v1, 16, v2
	v_xor_b32_e32 v9, 8, v2
	v_cmp_gt_i32_e32 vcc_lo, 32, v1
	v_cndmask_b32_e32 v1, v2, v1, vcc_lo
	v_cmp_gt_i32_e32 vcc_lo, 32, v9
	v_lshlrev_b32_e32 v1, 2, v1
	v_cndmask_b32_e32 v9, v2, v9, vcc_lo
	ds_bpermute_b32 v3, v1, v7
	v_lshlrev_b32_e32 v9, 2, v9
	s_waitcnt lgkmcnt(0)
	v_add_f32_e32 v3, v7, v3
	v_xor_b32_e32 v7, 4, v2
	ds_bpermute_b32 v10, v9, v3
	v_cmp_gt_i32_e32 vcc_lo, 32, v7
	v_cndmask_b32_e32 v7, v2, v7, vcc_lo
	v_lshlrev_b32_e32 v7, 2, v7
	s_waitcnt lgkmcnt(0)
	v_add_f32_e32 v3, v3, v10
	v_xor_b32_e32 v10, 2, v2
	ds_bpermute_b32 v11, v7, v3
	v_cmp_gt_i32_e32 vcc_lo, 32, v10
	v_cndmask_b32_e32 v10, v2, v10, vcc_lo
	;; [unrolled: 7-line block ×3, first 2 shown]
	v_cmp_ne_u32_e32 vcc_lo, 1, v6
	v_lshlrev_b32_e32 v11, 2, v2
	s_waitcnt lgkmcnt(0)
	v_add_f32_e32 v2, v3, v12
	ds_bpermute_b32 v3, v11, v2
	s_cbranch_vccnz .LBB111_20
; %bb.19:
	ds_bpermute_b32 v1, v1, v8
	s_waitcnt lgkmcnt(0)
	v_add_f32_e32 v1, v8, v1
	ds_bpermute_b32 v8, v9, v1
	s_waitcnt lgkmcnt(0)
	v_add_f32_e32 v1, v1, v8
	;; [unrolled: 3-line block ×5, first 2 shown]
.LBB111_20:
	v_cmp_eq_u32_e32 vcc_lo, 0, v0
	s_and_b32 exec_lo, exec_lo, vcc_lo
	s_cbranch_execz .LBB111_44
; %bb.21:
	s_waitcnt lgkmcnt(0)
	v_add_f32_e32 v1, v2, v3
	v_cmp_ne_u32_e32 vcc_lo, 1, v6
	v_add_f32_e32 v2, v5, v1
	v_cndmask_b32_e64 v1, v1, v2, s0
	s_cbranch_vccnz .LBB111_43
; %bb.22:
	v_add_f32_e32 v2, v4, v8
	s_cmp_lt_i32 s2, 2
	s_mov_b32 s0, 0
	v_cndmask_b32_e64 v2, v8, v2, s1
	s_cbranch_scc1 .LBB111_26
; %bb.23:
	s_cmp_gt_i32 s2, 2
	s_cbranch_scc0 .LBB111_27
; %bb.24:
	s_cmp_eq_u32 s2, 3
	s_cbranch_scc0 .LBB111_28
; %bb.25:
	v_max_f32_e32 v3, v2, v2
	s_mov_b32 s1, 0
	v_min_f32_e32 v3, 0x40e00000, v3
	v_mul_f32_e32 v4, 0xbfd9db23, v3
	v_mul_f32_e32 v5, 0x3fb8aa3b, v4
	v_cmp_ngt_f32_e32 vcc_lo, 0xc2ce8ed0, v4
	v_fma_f32 v6, 0x3fb8aa3b, v4, -v5
	v_rndne_f32_e32 v7, v5
	v_fmamk_f32 v6, v4, 0x32a5705f, v6
	v_sub_f32_e32 v5, v5, v7
	v_add_f32_e32 v5, v5, v6
	v_cvt_i32_f32_e32 v6, v7
	v_exp_f32_e32 v5, v5
	v_ldexp_f32 v5, v5, v6
	v_cndmask_b32_e32 v5, 0, v5, vcc_lo
	v_cmp_nlt_f32_e32 vcc_lo, 0x42b17218, v4
	v_cndmask_b32_e32 v4, 0x7f800000, v5, vcc_lo
	v_add_f32_e32 v4, 1.0, v4
	v_div_scale_f32 v5, null, v4, v4, v3
	v_div_scale_f32 v8, vcc_lo, v3, v4, v3
	v_rcp_f32_e32 v6, v5
	v_fma_f32 v7, -v5, v6, 1.0
	v_fmac_f32_e32 v6, v7, v6
	v_mul_f32_e32 v7, v8, v6
	v_fma_f32 v9, -v5, v7, v8
	v_fmac_f32_e32 v7, v9, v6
	v_max_f32_e32 v9, v1, v1
	v_fma_f32 v5, -v5, v7, v8
	v_min_f32_e32 v8, 0x40e00000, v9
	v_div_fmas_f32 v5, v5, v6, v7
	v_max_f32_e32 v6, 0xc0e00000, v8
	v_div_fixup_f32 v3, v5, v4, v3
	v_add_f32_e32 v4, 1.0, v6
	v_mul_f32_e32 v3, v4, v3
	s_branch .LBB111_29
.LBB111_26:
	s_mov_b32 s1, 0
                                        ; implicit-def: $vgpr3
	s_cbranch_execnz .LBB111_33
	s_branch .LBB111_34
.LBB111_27:
	s_mov_b32 s3, -1
	s_mov_b32 s1, 0
                                        ; implicit-def: $vgpr3
	s_branch .LBB111_30
.LBB111_28:
	s_mov_b32 s1, -1
                                        ; implicit-def: $vgpr3
.LBB111_29:
	s_mov_b32 s3, 0
.LBB111_30:
	s_and_b32 vcc_lo, exec_lo, s3
	s_cbranch_vccz .LBB111_32
; %bb.31:
	v_mul_f32_e32 v3, 0xbfb8aa3b, v2
	v_cmp_nlt_f32_e32 vcc_lo, 0x42ce8ed0, v2
	v_rndne_f32_e32 v4, v3
	v_fma_f32 v5, 0xbfb8aa3b, v2, -v3
	v_sub_f32_e32 v3, v3, v4
	v_fmamk_f32 v5, v2, 0xb2a5705f, v5
	v_cvt_i32_f32_e32 v4, v4
	v_add_f32_e32 v3, v3, v5
	v_exp_f32_e32 v3, v3
	v_ldexp_f32 v3, v3, v4
	v_cndmask_b32_e32 v3, 0, v3, vcc_lo
	v_cmp_ngt_f32_e32 vcc_lo, 0xc2b17218, v2
	v_cndmask_b32_e32 v3, 0x7f800000, v3, vcc_lo
	v_add_f32_e32 v3, 1.0, v3
	v_div_scale_f32 v4, null, v3, v3, v2
	v_rcp_f32_e32 v5, v4
	v_fma_f32 v6, -v4, v5, 1.0
	v_fmac_f32_e32 v5, v6, v5
	v_div_scale_f32 v6, vcc_lo, v2, v3, v2
	v_mul_f32_e32 v7, v6, v5
	v_fma_f32 v8, -v4, v7, v6
	v_fmac_f32_e32 v7, v8, v5
	v_fma_f32 v4, -v4, v7, v6
	v_div_fmas_f32 v4, v4, v5, v7
	v_div_fixup_f32 v3, v4, v3, v2
	v_mul_f32_e32 v3, v1, v3
.LBB111_32:
	s_branch .LBB111_34
.LBB111_33:
	s_cmp_lg_u32 s2, 1
	s_mov_b32 s0, -1
	s_cselect_b32 s1, -1, 0
.LBB111_34:
	s_andn2_b32 vcc_lo, exec_lo, s1
	s_cbranch_vccz .LBB111_36
; %bb.35:
	s_andn2_b32 vcc_lo, exec_lo, s0
	s_cbranch_vccz .LBB111_37
	s_branch .LBB111_42
.LBB111_36:
	v_mul_f32_e32 v3, v2, v1
	s_cbranch_execnz .LBB111_42
.LBB111_37:
	v_mul_f32_e32 v3, 0x3d372713, v2
	v_mul_f32_e32 v4, 0x3f4c422a, v2
	v_fma_f32 v3, v2, v3, 1.0
	v_mul_f32_e32 v3, v4, v3
                                        ; implicit-def: $vgpr4
	v_cmp_ngt_f32_e64 s0, 0x3f200000, |v3|
	s_and_saveexec_b32 s1, s0
	s_xor_b32 s0, exec_lo, s1
	s_cbranch_execz .LBB111_39
; %bb.38:
	v_add_f32_e64 v4, |v3|, |v3|
	v_mul_f32_e32 v5, 0x3fb8aa3b, v4
	v_cmp_ngt_f32_e32 vcc_lo, 0xc2ce8ed0, v4
	v_rndne_f32_e32 v6, v5
	v_fma_f32 v7, 0x3fb8aa3b, v4, -v5
	v_sub_f32_e32 v5, v5, v6
	v_fmamk_f32 v7, v4, 0x32a5705f, v7
	v_cvt_i32_f32_e32 v6, v6
	v_add_f32_e32 v5, v5, v7
	v_exp_f32_e32 v5, v5
	v_ldexp_f32 v5, v5, v6
	v_cndmask_b32_e32 v5, 0, v5, vcc_lo
	v_cmp_nlt_f32_e32 vcc_lo, 0x42b17218, v4
	v_cndmask_b32_e32 v4, 0x7f800000, v5, vcc_lo
	v_add_f32_e32 v4, 1.0, v4
	v_rcp_f32_e32 v4, v4
	v_fma_f32 v4, v4, -2.0, 1.0
.LBB111_39:
	s_andn2_saveexec_b32 s0, s0
	s_cbranch_execz .LBB111_41
; %bb.40:
	v_mul_f32_e32 v4, v3, v3
	s_mov_b32 s1, 0xbbbac73d
	v_fmaak_f32 v5, s1, v4, 0x3ca908c9
	v_fmaak_f32 v5, v4, v5, 0xbd5c1c4e
	v_fmaak_f32 v5, v4, v5, 0x3e088382
	v_fmaak_f32 v5, v4, v5, 0xbeaaaa99
	v_mul_f32_e64 v5, |v3|, v5
	v_fma_f32 v4, v4, v5, |v3|
.LBB111_41:
	s_or_b32 exec_lo, exec_lo, s0
	v_bfi_b32 v3, 0x7fffffff, v4, v3
	v_mul_f32_e32 v2, 0.5, v2
	v_add_f32_e32 v3, 1.0, v3
	v_mul_f32_e32 v2, v2, v3
	v_mul_f32_e32 v3, v1, v2
.LBB111_42:
	v_mov_b32_e32 v1, v3
.LBB111_43:
	s_load_dwordx2 s[0:1], s[4:5], 0x38
	s_mul_i32 s2, s22, s10
	s_mul_i32 s3, s26, s8
	s_add_i32 s2, s2, s6
	v_lshlrev_b32_e32 v0, 2, v0
	s_add_i32 s2, s2, s3
	s_mov_b32 s3, 0
	s_lshl_b64 s[2:3], s[2:3], 2
	s_waitcnt lgkmcnt(0)
	s_add_u32 s0, s0, s2
	s_addc_u32 s1, s1, s3
	global_store_dword v0, v1, s[0:1]
.LBB111_44:
	s_endpgm
	.section	.rodata,"a",@progbits
	.p2align	6, 0x0
	.amdhsa_kernel _ZL13mul_mat_vec_qIL9ggml_type11ELi1ELb1ELb0EEvPKvS2_PKi31ggml_cuda_mm_fusion_args_devicePfj15HIP_vector_typeIjLj3EEjjjS8_jjjS8_jjjj
		.amdhsa_group_segment_fixed_size 0
		.amdhsa_private_segment_fixed_size 0
		.amdhsa_kernarg_size 144
		.amdhsa_user_sgpr_count 6
		.amdhsa_user_sgpr_private_segment_buffer 1
		.amdhsa_user_sgpr_dispatch_ptr 0
		.amdhsa_user_sgpr_queue_ptr 0
		.amdhsa_user_sgpr_kernarg_segment_ptr 1
		.amdhsa_user_sgpr_dispatch_id 0
		.amdhsa_user_sgpr_flat_scratch_init 0
		.amdhsa_user_sgpr_private_segment_size 0
		.amdhsa_wavefront_size32 1
		.amdhsa_uses_dynamic_stack 0
		.amdhsa_system_sgpr_private_segment_wavefront_offset 0
		.amdhsa_system_sgpr_workgroup_id_x 1
		.amdhsa_system_sgpr_workgroup_id_y 1
		.amdhsa_system_sgpr_workgroup_id_z 1
		.amdhsa_system_sgpr_workgroup_info 0
		.amdhsa_system_vgpr_workitem_id 1
		.amdhsa_next_free_vgpr 60
		.amdhsa_next_free_sgpr 40
		.amdhsa_reserve_vcc 1
		.amdhsa_reserve_flat_scratch 0
		.amdhsa_float_round_mode_32 0
		.amdhsa_float_round_mode_16_64 0
		.amdhsa_float_denorm_mode_32 3
		.amdhsa_float_denorm_mode_16_64 3
		.amdhsa_dx10_clamp 1
		.amdhsa_ieee_mode 1
		.amdhsa_fp16_overflow 0
		.amdhsa_workgroup_processor_mode 1
		.amdhsa_memory_ordered 1
		.amdhsa_forward_progress 1
		.amdhsa_shared_vgpr_count 0
		.amdhsa_exception_fp_ieee_invalid_op 0
		.amdhsa_exception_fp_denorm_src 0
		.amdhsa_exception_fp_ieee_div_zero 0
		.amdhsa_exception_fp_ieee_overflow 0
		.amdhsa_exception_fp_ieee_underflow 0
		.amdhsa_exception_fp_ieee_inexact 0
		.amdhsa_exception_int_div_zero 0
	.end_amdhsa_kernel
	.section	.text._ZL13mul_mat_vec_qIL9ggml_type11ELi1ELb1ELb0EEvPKvS2_PKi31ggml_cuda_mm_fusion_args_devicePfj15HIP_vector_typeIjLj3EEjjjS8_jjjS8_jjjj,"axG",@progbits,_ZL13mul_mat_vec_qIL9ggml_type11ELi1ELb1ELb0EEvPKvS2_PKi31ggml_cuda_mm_fusion_args_devicePfj15HIP_vector_typeIjLj3EEjjjS8_jjjS8_jjjj,comdat
.Lfunc_end111:
	.size	_ZL13mul_mat_vec_qIL9ggml_type11ELi1ELb1ELb0EEvPKvS2_PKi31ggml_cuda_mm_fusion_args_devicePfj15HIP_vector_typeIjLj3EEjjjS8_jjjS8_jjjj, .Lfunc_end111-_ZL13mul_mat_vec_qIL9ggml_type11ELi1ELb1ELb0EEvPKvS2_PKi31ggml_cuda_mm_fusion_args_devicePfj15HIP_vector_typeIjLj3EEjjjS8_jjjS8_jjjj
                                        ; -- End function
	.set _ZL13mul_mat_vec_qIL9ggml_type11ELi1ELb1ELb0EEvPKvS2_PKi31ggml_cuda_mm_fusion_args_devicePfj15HIP_vector_typeIjLj3EEjjjS8_jjjS8_jjjj.num_vgpr, 60
	.set _ZL13mul_mat_vec_qIL9ggml_type11ELi1ELb1ELb0EEvPKvS2_PKi31ggml_cuda_mm_fusion_args_devicePfj15HIP_vector_typeIjLj3EEjjjS8_jjjS8_jjjj.num_agpr, 0
	.set _ZL13mul_mat_vec_qIL9ggml_type11ELi1ELb1ELb0EEvPKvS2_PKi31ggml_cuda_mm_fusion_args_devicePfj15HIP_vector_typeIjLj3EEjjjS8_jjjS8_jjjj.numbered_sgpr, 40
	.set _ZL13mul_mat_vec_qIL9ggml_type11ELi1ELb1ELb0EEvPKvS2_PKi31ggml_cuda_mm_fusion_args_devicePfj15HIP_vector_typeIjLj3EEjjjS8_jjjS8_jjjj.num_named_barrier, 0
	.set _ZL13mul_mat_vec_qIL9ggml_type11ELi1ELb1ELb0EEvPKvS2_PKi31ggml_cuda_mm_fusion_args_devicePfj15HIP_vector_typeIjLj3EEjjjS8_jjjS8_jjjj.private_seg_size, 0
	.set _ZL13mul_mat_vec_qIL9ggml_type11ELi1ELb1ELb0EEvPKvS2_PKi31ggml_cuda_mm_fusion_args_devicePfj15HIP_vector_typeIjLj3EEjjjS8_jjjS8_jjjj.uses_vcc, 1
	.set _ZL13mul_mat_vec_qIL9ggml_type11ELi1ELb1ELb0EEvPKvS2_PKi31ggml_cuda_mm_fusion_args_devicePfj15HIP_vector_typeIjLj3EEjjjS8_jjjS8_jjjj.uses_flat_scratch, 0
	.set _ZL13mul_mat_vec_qIL9ggml_type11ELi1ELb1ELb0EEvPKvS2_PKi31ggml_cuda_mm_fusion_args_devicePfj15HIP_vector_typeIjLj3EEjjjS8_jjjS8_jjjj.has_dyn_sized_stack, 0
	.set _ZL13mul_mat_vec_qIL9ggml_type11ELi1ELb1ELb0EEvPKvS2_PKi31ggml_cuda_mm_fusion_args_devicePfj15HIP_vector_typeIjLj3EEjjjS8_jjjS8_jjjj.has_recursion, 0
	.set _ZL13mul_mat_vec_qIL9ggml_type11ELi1ELb1ELb0EEvPKvS2_PKi31ggml_cuda_mm_fusion_args_devicePfj15HIP_vector_typeIjLj3EEjjjS8_jjjS8_jjjj.has_indirect_call, 0
	.section	.AMDGPU.csdata,"",@progbits
; Kernel info:
; codeLenInByte = 4012
; TotalNumSgprs: 42
; NumVgprs: 60
; ScratchSize: 0
; MemoryBound: 0
; FloatMode: 240
; IeeeMode: 1
; LDSByteSize: 0 bytes/workgroup (compile time only)
; SGPRBlocks: 0
; VGPRBlocks: 7
; NumSGPRsForWavesPerEU: 42
; NumVGPRsForWavesPerEU: 60
; Occupancy: 16
; WaveLimiterHint : 0
; COMPUTE_PGM_RSRC2:SCRATCH_EN: 0
; COMPUTE_PGM_RSRC2:USER_SGPR: 6
; COMPUTE_PGM_RSRC2:TRAP_HANDLER: 0
; COMPUTE_PGM_RSRC2:TGID_X_EN: 1
; COMPUTE_PGM_RSRC2:TGID_Y_EN: 1
; COMPUTE_PGM_RSRC2:TGID_Z_EN: 1
; COMPUTE_PGM_RSRC2:TIDIG_COMP_CNT: 1
	.section	.text._ZL13mul_mat_vec_qIL9ggml_type11ELi1ELb0ELb0EEvPKvS2_PKi31ggml_cuda_mm_fusion_args_devicePfj15HIP_vector_typeIjLj3EEjjjS8_jjjS8_jjjj,"axG",@progbits,_ZL13mul_mat_vec_qIL9ggml_type11ELi1ELb0ELb0EEvPKvS2_PKi31ggml_cuda_mm_fusion_args_devicePfj15HIP_vector_typeIjLj3EEjjjS8_jjjS8_jjjj,comdat
	.globl	_ZL13mul_mat_vec_qIL9ggml_type11ELi1ELb0ELb0EEvPKvS2_PKi31ggml_cuda_mm_fusion_args_devicePfj15HIP_vector_typeIjLj3EEjjjS8_jjjS8_jjjj ; -- Begin function _ZL13mul_mat_vec_qIL9ggml_type11ELi1ELb0ELb0EEvPKvS2_PKi31ggml_cuda_mm_fusion_args_devicePfj15HIP_vector_typeIjLj3EEjjjS8_jjjS8_jjjj
	.p2align	8
	.type	_ZL13mul_mat_vec_qIL9ggml_type11ELi1ELb0ELb0EEvPKvS2_PKi31ggml_cuda_mm_fusion_args_devicePfj15HIP_vector_typeIjLj3EEjjjS8_jjjS8_jjjj,@function
_ZL13mul_mat_vec_qIL9ggml_type11ELi1ELb0ELb0EEvPKvS2_PKi31ggml_cuda_mm_fusion_args_devicePfj15HIP_vector_typeIjLj3EEjjjS8_jjjS8_jjjj: ; @_ZL13mul_mat_vec_qIL9ggml_type11ELi1ELb0ELb0EEvPKvS2_PKi31ggml_cuda_mm_fusion_args_devicePfj15HIP_vector_typeIjLj3EEjjjS8_jjjS8_jjjj
; %bb.0:
	s_clause 0x1
	s_load_dwordx2 s[0:1], s[4:5], 0x10
	s_load_dwordx4 s[16:19], s[4:5], 0x40
	s_mov_b32 s10, s7
	s_waitcnt lgkmcnt(0)
	s_cmp_lg_u64 s[0:1], 0
	s_cselect_b32 s7, -1, 0
	s_cmp_eq_u64 s[0:1], 0
	s_cbranch_scc1 .LBB112_5
; %bb.1:
	s_mov_b32 s11, 0
	s_lshl_b64 s[2:3], s[10:11], 2
	s_add_u32 s0, s0, s2
	s_addc_u32 s1, s1, s3
	s_load_dword s20, s[0:1], 0x0
	s_clause 0x1
	s_load_dwordx4 s[0:3], s[4:5], 0x68
	s_load_dword s21, s[4:5], 0x50
	s_cbranch_execnz .LBB112_3
.LBB112_2:
	s_load_dwordx2 s[12:13], s[4:5], 0x5c
	s_waitcnt lgkmcnt(0)
	s_mul_hi_u32 s9, s12, s10
	s_add_i32 s9, s10, s9
	s_lshr_b32 s20, s9, s13
.LBB112_3:
	s_load_dword s22, s[4:5], 0x78
	s_andn2_b32 vcc_lo, exec_lo, s7
	s_cbranch_vccnz .LBB112_6
; %bb.4:
	s_mul_hi_u32 s7, s17, s10
	s_add_i32 s7, s10, s7
	s_lshr_b32 s7, s7, s18
	s_mul_i32 s7, s7, s19
	s_sub_i32 s11, s10, s7
	s_branch .LBB112_7
.LBB112_5:
                                        ; implicit-def: $sgpr20
	s_clause 0x1
	s_load_dwordx4 s[0:3], s[4:5], 0x68
	s_load_dword s21, s[4:5], 0x50
	s_branch .LBB112_2
.LBB112_6:
	s_mov_b32 s11, s10
.LBB112_7:
	s_load_dwordx4 s[12:15], s[4:5], 0x80
	v_lshl_or_b32 v2, v1, 5, v0
	v_mov_b32_e32 v4, 0
	s_lshr_b32 s9, s16, 8
	s_mov_b32 s7, exec_lo
	v_lshrrev_b32_e32 v5, 4, v2
	v_cmpx_gt_u32_e64 s9, v5
	s_cbranch_execz .LBB112_11
; %bb.8:
	s_load_dwordx4 s[16:19], s[4:5], 0x0
	v_and_b32_e32 v3, 8, v0
	v_bfe_u32 v6, v0, 2, 1
	v_lshlrev_b32_e32 v8, 1, v0
	v_bfe_u32 v13, v0, 3, 1
	s_waitcnt lgkmcnt(0)
	s_mul_hi_u32 s3, s3, s8
	v_lshrrev_b32_e32 v18, 4, v2
	s_add_i32 s3, s8, s3
	v_or_b32_e32 v9, v6, v3
	v_and_b32_e32 v15, 30, v8
	v_lshrrev_b32_e32 v8, 1, v3
	v_mul_hi_u32_u24_e32 v3, 0x90, v13
	v_mul_u32_u24_e32 v2, 0x90, v13
	s_lshr_b32 s3, s3, s22
	s_mul_i32 s21, s21, s6
	s_mul_i32 s3, s3, s12
	;; [unrolled: 1-line block ×4, first 2 shown]
	s_add_i32 s3, s3, s21
	v_and_b32_e32 v14, 7, v0
	v_or_b32_e32 v12, 6, v9
	v_mad_u64_u32 v[2:3], null, 0x120, v18, v[2:3]
	s_mul_i32 s11, s11, s1
	s_add_i32 s1, s0, s3
	s_mul_i32 s3, s12, 36
	s_mul_hi_u32 s12, s12, 36
	s_mul_hi_u32 s0, s11, 36
	s_mul_i32 s11, s11, 36
	s_add_u32 s3, s18, s3
	v_lshrrev_b32_e32 v4, 1, v0
	v_or_b32_e32 v10, 4, v9
	v_lshlrev_b32_e32 v16, 1, v14
	v_lshrrev_b32_e32 v17, 1, v12
	s_addc_u32 s12, s19, s12
	s_add_u32 s3, s3, s11
	s_addc_u32 s0, s12, s0
	v_add_co_u32 v2, vcc_lo, s3, v2
	v_and_b32_e32 v7, 4, v4
	v_mov_b32_e32 v4, 0
	v_and_b32_e32 v9, 5, v10
	v_lshrrev_b32_e32 v10, 1, v10
	v_and_b32_e32 v11, 7, v12
	v_and_b32_e32 v12, 3, v12
	;; [unrolled: 1-line block ×3, first 2 shown]
	v_lshlrev_b32_e32 v14, 2, v14
	v_add_co_ci_u32_e64 v3, null, s0, v3, vcc_lo
	v_lshlrev_b32_e32 v15, 1, v15
	v_lshlrev_b32_e32 v16, 1, v16
	s_mov_b32 s3, 0
.LBB112_9:                              ; =>This Inner Loop Header: Depth=1
	v_add_nc_u32_e32 v19, s1, v5
	v_add_co_u32 v17, vcc_lo, v2, v14
	v_add_co_ci_u32_e64 v18, null, 0, v3, vcc_lo
	v_mad_i64_i32 v[19:20], null, 0x6e, v19, s[16:17]
	v_mov_b32_e32 v35, 0
	v_mov_b32_e32 v36, 0
	;; [unrolled: 1-line block ×4, first 2 shown]
	v_add_nc_u32_e32 v5, 2, v5
	v_add_co_u32 v21, vcc_lo, v19, v15
	v_add_co_ci_u32_e64 v22, null, 0, v20, vcc_lo
	v_add_co_u32 v23, vcc_lo, v19, v16
	v_add_co_ci_u32_e64 v24, null, 0, v20, vcc_lo
	;; [unrolled: 2-line block ×6, first 2 shown]
	s_clause 0x9
	global_load_ushort v19, v[19:20], off offset:108
	global_load_dword v20, v[21:22], off offset:32
	global_load_dword v21, v[23:24], off
	global_load_ubyte v22, v[25:26], off offset:96
	global_load_ubyte v23, v[25:26], off offset:104
	;; [unrolled: 1-line block ×7, first 2 shown]
	s_clause 0x7
	global_load_dword v26, v[17:18], off offset:4
	global_load_dword v30, v[17:18], off offset:40
	;; [unrolled: 1-line block ×4, first 2 shown]
	global_load_dword v18, v[2:3], off
	global_load_dword v32, v[2:3], off offset:36
	global_load_dword v33, v[2:3], off offset:72
	;; [unrolled: 1-line block ×3, first 2 shown]
	v_add_co_u32 v2, vcc_lo, 0x240, v2
	v_cmp_le_u32_e64 s0, s9, v5
	v_add_co_ci_u32_e64 v3, null, 0, v3, vcc_lo
	s_or_b32 s3, s0, s3
	s_waitcnt vmcnt(16)
	v_lshrrev_b32_e32 v43, 4, v20
	s_waitcnt vmcnt(15)
	v_ashrrev_i32_e32 v21, v7, v21
	s_waitcnt vmcnt(14)
	v_bfe_u32 v22, v22, v8, 4
	s_waitcnt vmcnt(13)
	v_lshrrev_b32_e32 v39, v8, v23
	v_lshrrev_b32_e32 v23, v10, v23
	v_and_b32_e32 v40, 0x3030303, v20
	v_not_b32_e32 v21, v21
	s_waitcnt vmcnt(12)
	v_lshrrev_b32_e32 v24, v8, v24
	v_lshlrev_b32_e32 v39, 4, v39
	v_lshrrev_b32_e32 v42, 2, v20
	s_waitcnt vmcnt(11)
	v_bfe_u32 v27, v27, v8, 4
	s_waitcnt vmcnt(9)
	v_lshrrev_b32_e32 v29, v13, v29
	v_lshrrev_b32_e32 v44, 6, v20
	v_and_or_b32 v22, v39, 48, v22
	v_lshlrev_b32_e32 v39, 2, v21
	v_lshlrev_b32_e32 v23, 4, v23
	v_and_b32_e32 v48, 0x3030303, v43
	v_lshlrev_b32_e32 v50, 1, v21
	v_and_b32_e32 v52, 0x4040404, v21
	v_lshrrev_b32_e32 v21, 1, v21
	v_and_b32_e32 v39, 0x4040404, v39
	v_bfe_u32 v41, v20, 24, 2
	s_waitcnt vmcnt(8)
	v_bfe_u32 v25, v25, v8, 4
	v_bfe_u32 v28, v28, v8, 4
	v_lshrrev_b16 v46, 8, v40
	v_lshlrev_b32_e32 v24, 4, v24
	v_and_b32_e32 v47, 0x3030303, v42
	v_bfe_u32 v43, v43, 24, 2
	v_lshlrev_b32_e32 v29, 4, v29
	v_and_b32_e32 v44, 0x3030303, v44
	v_and_or_b32 v23, v23, 48, v27
	v_lshrrev_b32_e32 v27, 16, v48
	v_lshrrev_b16 v51, 8, v48
	v_and_b32_e32 v50, 0x4040404, v50
	v_lshrrev_b32_e32 v54, 16, v52
	v_lshrrev_b32_e32 v55, 24, v52
	v_lshrrev_b16 v56, 8, v52
	v_and_b32_e32 v21, 0x4040404, v21
	v_lshrrev_b32_e32 v57, 24, v39
	v_lshrrev_b16 v58, 8, v39
	v_lshrrev_b32_e32 v45, 16, v40
	v_bfe_u32 v42, v42, 24, 2
	v_and_or_b32 v24, v24, 48, v25
	v_lshrrev_b32_e32 v25, 16, v47
	v_lshrrev_b16 v49, 8, v47
	v_and_or_b32 v28, v29, 48, v28
	v_lshrrev_b32_e32 v29, 16, v44
	v_lshrrev_b16 v53, 8, v44
	v_sub_nc_u16 v48, v48, v52
	v_lshrrev_b32_e32 v52, 16, v39
	v_sub_nc_u16 v39, v40, v39
	v_lshrrev_b32_e32 v40, 16, v50
	v_lshrrev_b32_e32 v59, 24, v50
	v_lshrrev_b16 v60, 8, v50
	v_sub_nc_u16 v47, v47, v50
	v_sub_nc_u16 v50, v51, v56
	;; [unrolled: 1-line block ×4, first 2 shown]
	v_lshrrev_b32_e32 v51, 16, v21
	v_lshrrev_b32_e32 v54, 24, v21
	v_lshrrev_b16 v55, 8, v21
	v_sub_nc_u16 v21, v44, v21
	v_sub_nc_u16 v44, v46, v58
	;; [unrolled: 1-line block ×6, first 2 shown]
	v_lshlrev_b16 v44, 8, v44
	v_lshlrev_b16 v41, 8, v41
	v_lshrrev_b32_e32 v20, 30, v20
	v_sub_nc_u16 v25, v25, v40
	v_lshlrev_b16 v46, 8, v46
	v_lshlrev_b16 v42, 8, v42
	v_or_b32_sdwa v39, v39, v44 dst_sel:DWORD dst_unused:UNUSED_PAD src0_sel:BYTE_0 src1_sel:DWORD
	v_or_b32_sdwa v41, v45, v41 dst_sel:WORD_1 dst_unused:UNUSED_PAD src0_sel:BYTE_0 src1_sel:DWORD
	v_lshlrev_b16 v40, 8, v50
	v_lshlrev_b16 v43, 8, v43
	v_sub_nc_u16 v49, v53, v55
	v_sub_nc_u16 v20, v20, v54
	v_or_b32_sdwa v44, v47, v46 dst_sel:DWORD dst_unused:UNUSED_PAD src0_sel:BYTE_0 src1_sel:DWORD
	v_or_b32_sdwa v25, v25, v42 dst_sel:WORD_1 dst_unused:UNUSED_PAD src0_sel:BYTE_0 src1_sel:DWORD
	v_or_b32_sdwa v39, v39, v41 dst_sel:DWORD dst_unused:UNUSED_PAD src0_sel:WORD_0 src1_sel:DWORD
	v_subrev_nc_u32_e32 v22, 32, v22
	v_sub_nc_u16 v29, v29, v51
	v_or_b32_sdwa v40, v48, v40 dst_sel:DWORD dst_unused:UNUSED_PAD src0_sel:BYTE_0 src1_sel:DWORD
	v_or_b32_sdwa v27, v27, v43 dst_sel:WORD_1 dst_unused:UNUSED_PAD src0_sel:BYTE_0 src1_sel:DWORD
	v_lshlrev_b16 v43, 8, v49
	v_lshlrev_b16 v20, 8, v20
	v_or_b32_sdwa v25, v44, v25 dst_sel:DWORD dst_unused:UNUSED_PAD src0_sel:WORD_0 src1_sel:DWORD
	s_waitcnt vmcnt(7)
	v_dot4c_i32_i8 v35, v39, v26
	v_subrev_nc_u32_e32 v24, 32, v24
	v_or_b32_sdwa v27, v40, v27 dst_sel:DWORD dst_unused:UNUSED_PAD src0_sel:WORD_0 src1_sel:DWORD
	v_or_b32_sdwa v21, v21, v43 dst_sel:DWORD dst_unused:UNUSED_PAD src0_sel:BYTE_0 src1_sel:DWORD
	v_or_b32_sdwa v20, v29, v20 dst_sel:WORD_1 dst_unused:UNUSED_PAD src0_sel:BYTE_0 src1_sel:DWORD
	s_waitcnt vmcnt(6)
	v_dot4c_i32_i8 v36, v25, v30
	v_mul_lo_u32 v22, v22, v35
	v_subrev_nc_u32_e32 v23, 32, v23
	s_waitcnt vmcnt(5)
	v_dot4c_i32_i8 v37, v27, v31
	v_or_b32_sdwa v20, v21, v20 dst_sel:DWORD dst_unused:UNUSED_PAD src0_sel:WORD_0 src1_sel:DWORD
	v_mul_lo_u32 v21, v24, v36
	v_subrev_nc_u32_e32 v28, 32, v28
	v_mul_lo_u32 v23, v23, v37
	v_cvt_f32_i32_e32 v22, v22
	s_waitcnt vmcnt(4)
	v_dot4c_i32_i8 v38, v20, v17
	v_cvt_f32_i32_e32 v17, v21
	s_waitcnt vmcnt(3)
	v_fma_mix_f32 v18, v18, v22, 0 op_sel_hi:[1,0,0]
	v_mul_lo_u32 v20, v28, v38
	v_cvt_f32_i32_e32 v21, v23
	s_waitcnt vmcnt(2)
	v_fma_mix_f32 v17, v32, v17, v18 op_sel_hi:[1,0,0]
	v_cvt_f32_i32_e32 v18, v20
	s_waitcnt vmcnt(1)
	v_fma_mix_f32 v17, v33, v21, v17 op_sel_hi:[1,0,0]
	s_waitcnt vmcnt(0)
	v_fma_mix_f32 v17, v34, v18, v17 op_sel_hi:[1,0,0]
	v_fma_mix_f32 v4, v17, v19, v4 op_sel_hi:[0,1,0]
	s_andn2_b32 exec_lo, exec_lo, s3
	s_cbranch_execnz .LBB112_9
; %bb.10:
	s_or_b32 exec_lo, exec_lo, s3
.LBB112_11:
	s_or_b32 exec_lo, exec_lo, s7
	s_waitcnt lgkmcnt(0)
	; wave barrier
	buffer_gl0_inv
	s_mov_b32 s0, exec_lo
	v_cmpx_eq_u32_e32 0, v1
	s_cbranch_execz .LBB112_14
; %bb.12:
	v_mbcnt_lo_u32_b32 v1, -1, 0
	v_xor_b32_e32 v2, 16, v1
	v_xor_b32_e32 v3, 8, v1
	v_cmp_gt_i32_e32 vcc_lo, 32, v2
	v_cndmask_b32_e32 v2, v1, v2, vcc_lo
	v_cmp_gt_i32_e32 vcc_lo, 32, v3
	v_lshlrev_b32_e32 v2, 2, v2
	v_cndmask_b32_e32 v3, v1, v3, vcc_lo
	ds_bpermute_b32 v2, v2, v4
	v_lshlrev_b32_e32 v3, 2, v3
	s_waitcnt lgkmcnt(0)
	v_add_f32_e32 v2, v4, v2
	v_xor_b32_e32 v4, 4, v1
	ds_bpermute_b32 v3, v3, v2
	v_cmp_gt_i32_e32 vcc_lo, 32, v4
	v_cndmask_b32_e32 v4, v1, v4, vcc_lo
	v_lshlrev_b32_e32 v4, 2, v4
	s_waitcnt lgkmcnt(0)
	v_add_f32_e32 v2, v2, v3
	ds_bpermute_b32 v3, v4, v2
	v_xor_b32_e32 v4, 2, v1
	v_cmp_gt_i32_e32 vcc_lo, 32, v4
	v_cndmask_b32_e32 v4, v1, v4, vcc_lo
	v_lshlrev_b32_e32 v4, 2, v4
	s_waitcnt lgkmcnt(0)
	v_add_f32_e32 v2, v2, v3
	ds_bpermute_b32 v3, v4, v2
	v_xor_b32_e32 v4, 1, v1
	v_cmp_gt_i32_e32 vcc_lo, 32, v4
	v_cndmask_b32_e32 v1, v1, v4, vcc_lo
	v_cmp_eq_u32_e32 vcc_lo, 0, v0
	v_lshlrev_b32_e32 v4, 2, v1
	s_waitcnt lgkmcnt(0)
	v_add_f32_e32 v1, v2, v3
	ds_bpermute_b32 v2, v4, v1
	s_and_b32 exec_lo, exec_lo, vcc_lo
	s_cbranch_execz .LBB112_14
; %bb.13:
	s_load_dwordx2 s[0:1], s[4:5], 0x38
	s_mul_i32 s2, s2, s10
	s_mul_i32 s3, s14, s8
	s_add_i32 s2, s2, s6
	s_waitcnt lgkmcnt(0)
	v_add_f32_e32 v0, v1, v2
	s_add_i32 s2, s2, s3
	s_mov_b32 s3, 0
	v_mov_b32_e32 v1, 0
	s_lshl_b64 s[2:3], s[2:3], 2
	s_add_u32 s0, s0, s2
	s_addc_u32 s1, s1, s3
	global_store_dword v1, v0, s[0:1]
.LBB112_14:
	s_endpgm
	.section	.rodata,"a",@progbits
	.p2align	6, 0x0
	.amdhsa_kernel _ZL13mul_mat_vec_qIL9ggml_type11ELi1ELb0ELb0EEvPKvS2_PKi31ggml_cuda_mm_fusion_args_devicePfj15HIP_vector_typeIjLj3EEjjjS8_jjjS8_jjjj
		.amdhsa_group_segment_fixed_size 0
		.amdhsa_private_segment_fixed_size 0
		.amdhsa_kernarg_size 144
		.amdhsa_user_sgpr_count 6
		.amdhsa_user_sgpr_private_segment_buffer 1
		.amdhsa_user_sgpr_dispatch_ptr 0
		.amdhsa_user_sgpr_queue_ptr 0
		.amdhsa_user_sgpr_kernarg_segment_ptr 1
		.amdhsa_user_sgpr_dispatch_id 0
		.amdhsa_user_sgpr_flat_scratch_init 0
		.amdhsa_user_sgpr_private_segment_size 0
		.amdhsa_wavefront_size32 1
		.amdhsa_uses_dynamic_stack 0
		.amdhsa_system_sgpr_private_segment_wavefront_offset 0
		.amdhsa_system_sgpr_workgroup_id_x 1
		.amdhsa_system_sgpr_workgroup_id_y 1
		.amdhsa_system_sgpr_workgroup_id_z 1
		.amdhsa_system_sgpr_workgroup_info 0
		.amdhsa_system_vgpr_workitem_id 1
		.amdhsa_next_free_vgpr 61
		.amdhsa_next_free_sgpr 23
		.amdhsa_reserve_vcc 1
		.amdhsa_reserve_flat_scratch 0
		.amdhsa_float_round_mode_32 0
		.amdhsa_float_round_mode_16_64 0
		.amdhsa_float_denorm_mode_32 3
		.amdhsa_float_denorm_mode_16_64 3
		.amdhsa_dx10_clamp 1
		.amdhsa_ieee_mode 1
		.amdhsa_fp16_overflow 0
		.amdhsa_workgroup_processor_mode 1
		.amdhsa_memory_ordered 1
		.amdhsa_forward_progress 1
		.amdhsa_shared_vgpr_count 0
		.amdhsa_exception_fp_ieee_invalid_op 0
		.amdhsa_exception_fp_denorm_src 0
		.amdhsa_exception_fp_ieee_div_zero 0
		.amdhsa_exception_fp_ieee_overflow 0
		.amdhsa_exception_fp_ieee_underflow 0
		.amdhsa_exception_fp_ieee_inexact 0
		.amdhsa_exception_int_div_zero 0
	.end_amdhsa_kernel
	.section	.text._ZL13mul_mat_vec_qIL9ggml_type11ELi1ELb0ELb0EEvPKvS2_PKi31ggml_cuda_mm_fusion_args_devicePfj15HIP_vector_typeIjLj3EEjjjS8_jjjS8_jjjj,"axG",@progbits,_ZL13mul_mat_vec_qIL9ggml_type11ELi1ELb0ELb0EEvPKvS2_PKi31ggml_cuda_mm_fusion_args_devicePfj15HIP_vector_typeIjLj3EEjjjS8_jjjS8_jjjj,comdat
.Lfunc_end112:
	.size	_ZL13mul_mat_vec_qIL9ggml_type11ELi1ELb0ELb0EEvPKvS2_PKi31ggml_cuda_mm_fusion_args_devicePfj15HIP_vector_typeIjLj3EEjjjS8_jjjS8_jjjj, .Lfunc_end112-_ZL13mul_mat_vec_qIL9ggml_type11ELi1ELb0ELb0EEvPKvS2_PKi31ggml_cuda_mm_fusion_args_devicePfj15HIP_vector_typeIjLj3EEjjjS8_jjjS8_jjjj
                                        ; -- End function
	.set _ZL13mul_mat_vec_qIL9ggml_type11ELi1ELb0ELb0EEvPKvS2_PKi31ggml_cuda_mm_fusion_args_devicePfj15HIP_vector_typeIjLj3EEjjjS8_jjjS8_jjjj.num_vgpr, 61
	.set _ZL13mul_mat_vec_qIL9ggml_type11ELi1ELb0ELb0EEvPKvS2_PKi31ggml_cuda_mm_fusion_args_devicePfj15HIP_vector_typeIjLj3EEjjjS8_jjjS8_jjjj.num_agpr, 0
	.set _ZL13mul_mat_vec_qIL9ggml_type11ELi1ELb0ELb0EEvPKvS2_PKi31ggml_cuda_mm_fusion_args_devicePfj15HIP_vector_typeIjLj3EEjjjS8_jjjS8_jjjj.numbered_sgpr, 23
	.set _ZL13mul_mat_vec_qIL9ggml_type11ELi1ELb0ELb0EEvPKvS2_PKi31ggml_cuda_mm_fusion_args_devicePfj15HIP_vector_typeIjLj3EEjjjS8_jjjS8_jjjj.num_named_barrier, 0
	.set _ZL13mul_mat_vec_qIL9ggml_type11ELi1ELb0ELb0EEvPKvS2_PKi31ggml_cuda_mm_fusion_args_devicePfj15HIP_vector_typeIjLj3EEjjjS8_jjjS8_jjjj.private_seg_size, 0
	.set _ZL13mul_mat_vec_qIL9ggml_type11ELi1ELb0ELb0EEvPKvS2_PKi31ggml_cuda_mm_fusion_args_devicePfj15HIP_vector_typeIjLj3EEjjjS8_jjjS8_jjjj.uses_vcc, 1
	.set _ZL13mul_mat_vec_qIL9ggml_type11ELi1ELb0ELb0EEvPKvS2_PKi31ggml_cuda_mm_fusion_args_devicePfj15HIP_vector_typeIjLj3EEjjjS8_jjjS8_jjjj.uses_flat_scratch, 0
	.set _ZL13mul_mat_vec_qIL9ggml_type11ELi1ELb0ELb0EEvPKvS2_PKi31ggml_cuda_mm_fusion_args_devicePfj15HIP_vector_typeIjLj3EEjjjS8_jjjS8_jjjj.has_dyn_sized_stack, 0
	.set _ZL13mul_mat_vec_qIL9ggml_type11ELi1ELb0ELb0EEvPKvS2_PKi31ggml_cuda_mm_fusion_args_devicePfj15HIP_vector_typeIjLj3EEjjjS8_jjjS8_jjjj.has_recursion, 0
	.set _ZL13mul_mat_vec_qIL9ggml_type11ELi1ELb0ELb0EEvPKvS2_PKi31ggml_cuda_mm_fusion_args_devicePfj15HIP_vector_typeIjLj3EEjjjS8_jjjS8_jjjj.has_indirect_call, 0
	.section	.AMDGPU.csdata,"",@progbits
; Kernel info:
; codeLenInByte = 1876
; TotalNumSgprs: 25
; NumVgprs: 61
; ScratchSize: 0
; MemoryBound: 0
; FloatMode: 240
; IeeeMode: 1
; LDSByteSize: 0 bytes/workgroup (compile time only)
; SGPRBlocks: 0
; VGPRBlocks: 7
; NumSGPRsForWavesPerEU: 25
; NumVGPRsForWavesPerEU: 61
; Occupancy: 16
; WaveLimiterHint : 0
; COMPUTE_PGM_RSRC2:SCRATCH_EN: 0
; COMPUTE_PGM_RSRC2:USER_SGPR: 6
; COMPUTE_PGM_RSRC2:TRAP_HANDLER: 0
; COMPUTE_PGM_RSRC2:TGID_X_EN: 1
; COMPUTE_PGM_RSRC2:TGID_Y_EN: 1
; COMPUTE_PGM_RSRC2:TGID_Z_EN: 1
; COMPUTE_PGM_RSRC2:TIDIG_COMP_CNT: 1
	.section	.text._ZL13mul_mat_vec_qIL9ggml_type11ELi2ELb0ELb0EEvPKvS2_PKi31ggml_cuda_mm_fusion_args_devicePfj15HIP_vector_typeIjLj3EEjjjS8_jjjS8_jjjj,"axG",@progbits,_ZL13mul_mat_vec_qIL9ggml_type11ELi2ELb0ELb0EEvPKvS2_PKi31ggml_cuda_mm_fusion_args_devicePfj15HIP_vector_typeIjLj3EEjjjS8_jjjS8_jjjj,comdat
	.globl	_ZL13mul_mat_vec_qIL9ggml_type11ELi2ELb0ELb0EEvPKvS2_PKi31ggml_cuda_mm_fusion_args_devicePfj15HIP_vector_typeIjLj3EEjjjS8_jjjS8_jjjj ; -- Begin function _ZL13mul_mat_vec_qIL9ggml_type11ELi2ELb0ELb0EEvPKvS2_PKi31ggml_cuda_mm_fusion_args_devicePfj15HIP_vector_typeIjLj3EEjjjS8_jjjS8_jjjj
	.p2align	8
	.type	_ZL13mul_mat_vec_qIL9ggml_type11ELi2ELb0ELb0EEvPKvS2_PKi31ggml_cuda_mm_fusion_args_devicePfj15HIP_vector_typeIjLj3EEjjjS8_jjjS8_jjjj,@function
_ZL13mul_mat_vec_qIL9ggml_type11ELi2ELb0ELb0EEvPKvS2_PKi31ggml_cuda_mm_fusion_args_devicePfj15HIP_vector_typeIjLj3EEjjjS8_jjjS8_jjjj: ; @_ZL13mul_mat_vec_qIL9ggml_type11ELi2ELb0ELb0EEvPKvS2_PKi31ggml_cuda_mm_fusion_args_devicePfj15HIP_vector_typeIjLj3EEjjjS8_jjjS8_jjjj
; %bb.0:
	s_clause 0x5
	s_load_dword s9, s[4:5], 0x40
	s_load_dwordx4 s[0:3], s[4:5], 0x50
	s_load_dword s11, s[4:5], 0x60
	s_load_dwordx4 s[12:15], s[4:5], 0x68
	;; [unrolled: 2-line block ×3, first 2 shown]
	v_lshl_or_b32 v2, v1, 5, v0
	v_mov_b32_e32 v8, 0
	v_mov_b32_e32 v7, 0
	v_lshrrev_b32_e32 v6, 4, v2
	s_waitcnt lgkmcnt(0)
	s_lshr_b32 s10, s9, 8
	s_mov_b32 s9, exec_lo
	v_cmpx_gt_u32_e64 s10, v6
	s_cbranch_execz .LBB113_4
; %bb.1:
	s_load_dwordx4 s[20:23], s[4:5], 0x0
	v_and_b32_e32 v8, 8, v0
	v_bfe_u32 v9, v0, 2, 1
	v_bfe_u32 v4, v0, 3, 1
	s_mul_hi_u32 s3, s3, s7
	s_mul_hi_u32 s15, s15, s8
	v_lshrrev_b32_e32 v2, 1, v0
	v_or_b32_e32 v11, v9, v8
	v_mul_hi_u32_u24_e32 v5, 0x90, v4
	v_mul_u32_u24_e32 v4, 0x90, v4
	s_mul_i32 s17, s17, s8
	s_add_i32 s3, s7, s3
	s_add_i32 s15, s8, s15
	s_mul_i32 s13, s13, s7
	v_lshlrev_b32_e32 v3, 1, v0
	s_mul_hi_u32 s19, s17, 36
	s_mul_i32 s17, s17, 36
	s_lshr_b32 s3, s3, s11
	v_and_b32_e32 v21, 7, v0
	v_or_b32_e32 v15, 6, v11
	v_mad_u64_u32 v[4:5], null, 0x120, v6, v[4:5]
	s_lshr_b32 s11, s15, s24
	s_mul_hi_u32 s25, s13, 36
	s_mul_i32 s13, s13, 36
	s_mul_i32 s3, s3, s12
	s_waitcnt lgkmcnt(0)
	s_add_u32 s12, s22, s17
	v_and_b32_e32 v10, 4, v2
	s_addc_u32 s15, s23, s19
	s_add_u32 s12, s12, s13
	s_addc_u32 s13, s15, s25
	v_and_b32_e32 v19, 30, v3
	v_lshlrev_b32_e32 v20, 1, v21
	v_or_b32_e32 v13, 4, v11
	v_lshrrev_b32_e32 v11, 1, v8
	v_lshrrev_b32_e32 v8, 1, v15
	v_mad_u64_u32 v[2:3], null, v10, 36, s[12:13]
	v_add_co_u32 v4, vcc_lo, s12, v4
	s_mul_i32 s0, s0, s6
	v_mov_b32_e32 v7, 0
	v_and_b32_e32 v12, 5, v13
	v_lshrrev_b32_e32 v13, 1, v13
	v_and_b32_e32 v14, 7, v15
	v_and_b32_e32 v15, 3, v15
	;; [unrolled: 1-line block ×3, first 2 shown]
	v_lshlrev_b32_e32 v17, 2, v21
	v_add_co_ci_u32_e64 v5, null, s13, v5, vcc_lo
	v_lshl_add_u32 v18, v6, 3, s1
	v_lshlrev_b32_e32 v19, 1, v19
	v_lshlrev_b32_e32 v20, 1, v20
	v_lshlrev_b32_e32 v21, 2, v21
	v_mov_b32_e32 v8, 0
	s_mul_i32 s11, s11, s16
	s_add_i32 s3, s3, s0
	s_mov_b32 s0, 0
	s_add_i32 s1, s11, s3
.LBB113_2:                              ; =>This Inner Loop Header: Depth=1
	v_add_nc_u32_e32 v26, s1, v6
	v_mad_u64_u32 v[24:25], null, v18, 36, v[2:3]
	v_add_co_u32 v22, vcc_lo, v4, v17
	v_mad_i64_i32 v[26:27], null, 0x6e, v26, s[20:21]
	v_add_co_ci_u32_e64 v23, null, 0, v5, vcc_lo
	s_clause 0x4
	global_load_dword v40, v[4:5], off
	global_load_dword v41, v[22:23], off offset:4
	global_load_dword v42, v[22:23], off offset:40
	global_load_dword v43, v[22:23], off offset:76
	global_load_dword v44, v[22:23], off offset:112
	v_add_co_u32 v22, vcc_lo, v24, v21
	v_add_co_ci_u32_e64 v23, null, 0, v25, vcc_lo
	v_add_co_u32 v28, vcc_lo, v26, v19
	v_add_co_ci_u32_e64 v29, null, 0, v27, vcc_lo
	v_add_co_u32 v30, vcc_lo, v26, v20
	v_add_co_ci_u32_e64 v31, null, 0, v27, vcc_lo
	v_add_co_u32 v32, vcc_lo, v26, v9
	v_add_co_ci_u32_e64 v33, null, 0, v27, vcc_lo
	v_add_co_u32 v34, vcc_lo, v26, v12
	v_add_co_ci_u32_e64 v35, null, 0, v27, vcc_lo
	v_add_co_u32 v36, vcc_lo, v26, v14
	v_add_co_ci_u32_e64 v37, null, 0, v27, vcc_lo
	v_add_co_u32 v38, vcc_lo, v26, v15
	v_add_co_ci_u32_e64 v39, null, 0, v27, vcc_lo
	s_clause 0x2
	global_load_dword v45, v[22:23], off offset:4
	global_load_dword v46, v[22:23], off offset:40
	;; [unrolled: 1-line block ×3, first 2 shown]
	s_clause 0x9
	global_load_ushort v26, v[26:27], off offset:108
	global_load_dword v27, v[28:29], off offset:32
	global_load_dword v28, v[30:31], off
	global_load_ubyte v29, v[32:33], off offset:96
	global_load_ubyte v30, v[32:33], off offset:104
	;; [unrolled: 1-line block ×7, first 2 shown]
	s_clause 0x1
	global_load_dword v22, v[22:23], off offset:112
	global_load_dword v23, v[24:25], off
	global_load_dword v36, v[4:5], off offset:36
	global_load_dword v37, v[24:25], off offset:36
	;; [unrolled: 1-line block ×6, first 2 shown]
	v_mov_b32_e32 v25, 0
	v_mov_b32_e32 v49, 0
	v_add_nc_u32_e32 v6, 2, v6
	v_add_co_u32 v4, vcc_lo, 0x240, v4
	v_add_co_ci_u32_e64 v5, null, 0, v5, vcc_lo
	v_cmp_le_u32_e32 vcc_lo, s10, v6
	v_add_nc_u32_e32 v18, 16, v18
	s_or_b32 s0, vcc_lo, s0
	s_waitcnt vmcnt(16)
	v_lshrrev_b32_e32 v54, 4, v27
	s_waitcnt vmcnt(15)
	v_ashrrev_i32_e32 v28, v10, v28
	s_waitcnt vmcnt(14)
	v_bfe_u32 v29, v29, v11, 4
	s_waitcnt vmcnt(13)
	v_lshrrev_b32_e32 v50, v11, v30
	v_lshrrev_b32_e32 v30, v13, v30
	s_waitcnt vmcnt(11)
	v_bfe_u32 v34, v34, v11, 4
	v_not_b32_e32 v28, v28
	s_waitcnt vmcnt(9)
	v_bfe_u32 v33, v33, v11, 4
	s_waitcnt vmcnt(8)
	v_lshrrev_b32_e32 v35, v16, v35
	v_lshlrev_b32_e32 v30, 4, v30
	v_and_b32_e32 v59, 0x3030303, v54
	v_and_b32_e32 v60, 0x4040404, v28
	v_lshlrev_b32_e32 v50, 4, v50
	v_lshlrev_b32_e32 v35, 4, v35
	v_and_or_b32 v30, v30, 48, v34
	v_lshrrev_b16 v34, 8, v59
	v_bfe_u32 v54, v54, 24, 2
	v_and_or_b32 v29, v50, 48, v29
	v_and_or_b32 v33, v35, 48, v33
	v_lshrrev_b16 v35, 8, v60
	v_lshlrev_b32_e32 v50, 2, v28
	v_and_b32_e32 v51, 0x3030303, v27
	v_lshrrev_b32_e32 v53, 2, v27
	v_lshlrev_b32_e32 v61, 1, v28
	v_sub_nc_u16 v34, v34, v35
	v_lshrrev_b32_e32 v35, 24, v60
	v_and_b32_e32 v50, 0x4040404, v50
	v_lshrrev_b16 v57, 8, v51
	v_bfe_u32 v52, v27, 24, 2
	v_lshrrev_b32_e32 v31, v11, v31
	v_sub_nc_u16 v35, v54, v35
	v_lshrrev_b32_e32 v54, 16, v59
	v_sub_nc_u16 v59, v59, v60
	v_lshrrev_b32_e32 v60, 16, v60
	v_lshrrev_b32_e32 v56, 16, v51
	v_and_b32_e32 v58, 0x3030303, v53
	v_and_b32_e32 v61, 0x4040404, v61
	v_sub_nc_u16 v51, v51, v50
	v_sub_nc_u16 v54, v54, v60
	v_lshrrev_b16 v60, 8, v50
	v_bfe_u32 v32, v32, v11, 4
	v_lshrrev_b32_e32 v55, 6, v27
	v_lshlrev_b32_e32 v31, 4, v31
	v_lshrrev_b32_e32 v28, 1, v28
	v_sub_nc_u16 v57, v57, v60
	v_lshrrev_b32_e32 v60, 24, v50
	v_lshrrev_b32_e32 v50, 16, v50
	v_bfe_u32 v53, v53, 24, 2
	v_and_b32_e32 v55, 0x3030303, v55
	v_and_or_b32 v31, v31, 48, v32
	v_sub_nc_u16 v52, v52, v60
	v_lshrrev_b16 v60, 8, v58
	v_sub_nc_u16 v50, v56, v50
	v_lshrrev_b16 v56, 8, v61
	v_lshrrev_b32_e32 v32, 16, v58
	v_and_b32_e32 v28, 0x4040404, v28
	v_sub_nc_u16 v58, v58, v61
	v_lshrrev_b32_e32 v27, 30, v27
	v_sub_nc_u16 v56, v60, v56
	v_lshrrev_b32_e32 v60, 24, v61
	v_lshrrev_b32_e32 v61, 16, v61
	v_lshlrev_b16 v34, 8, v34
	v_lshlrev_b16 v35, 8, v35
	v_lshlrev_b16 v57, 8, v57
	v_sub_nc_u16 v53, v53, v60
	v_lshrrev_b16 v60, 8, v55
	v_sub_nc_u16 v32, v32, v61
	v_lshrrev_b16 v61, 8, v28
	v_lshlrev_b16 v52, 8, v52
	v_or_b32_sdwa v34, v59, v34 dst_sel:DWORD dst_unused:UNUSED_PAD src0_sel:BYTE_0 src1_sel:DWORD
	v_or_b32_sdwa v35, v54, v35 dst_sel:WORD_1 dst_unused:UNUSED_PAD src0_sel:BYTE_0 src1_sel:DWORD
	v_or_b32_sdwa v51, v51, v57 dst_sel:DWORD dst_unused:UNUSED_PAD src0_sel:BYTE_0 src1_sel:DWORD
	v_sub_nc_u16 v60, v60, v61
	v_lshrrev_b32_e32 v61, 24, v28
	v_or_b32_sdwa v50, v50, v52 dst_sel:WORD_1 dst_unused:UNUSED_PAD src0_sel:BYTE_0 src1_sel:DWORD
	v_lshlrev_b16 v56, 8, v56
	v_lshlrev_b16 v53, 8, v53
	v_mov_b32_e32 v54, 0
	v_sub_nc_u16 v27, v27, v61
	v_lshrrev_b32_e32 v61, 16, v55
	v_sub_nc_u16 v55, v55, v28
	v_lshrrev_b32_e32 v28, 16, v28
	v_or_b32_sdwa v56, v58, v56 dst_sel:DWORD dst_unused:UNUSED_PAD src0_sel:BYTE_0 src1_sel:DWORD
	v_lshlrev_b16 v27, 8, v27
	v_lshlrev_b16 v60, 8, v60
	v_or_b32_sdwa v32, v32, v53 dst_sel:WORD_1 dst_unused:UNUSED_PAD src0_sel:BYTE_0 src1_sel:DWORD
	v_sub_nc_u16 v28, v61, v28
	v_mov_b32_e32 v61, 0
	v_mov_b32_e32 v57, 0
	;; [unrolled: 1-line block ×3, first 2 shown]
	v_subrev_nc_u32_e32 v29, 32, v29
	v_or_b32_sdwa v27, v28, v27 dst_sel:WORD_1 dst_unused:UNUSED_PAD src0_sel:BYTE_0 src1_sel:DWORD
	v_or_b32_sdwa v28, v34, v35 dst_sel:DWORD dst_unused:UNUSED_PAD src0_sel:WORD_0 src1_sel:DWORD
	v_or_b32_sdwa v34, v51, v50 dst_sel:DWORD dst_unused:UNUSED_PAD src0_sel:WORD_0 src1_sel:DWORD
	v_or_b32_sdwa v53, v55, v60 dst_sel:DWORD dst_unused:UNUSED_PAD src0_sel:BYTE_0 src1_sel:DWORD
	v_or_b32_sdwa v32, v56, v32 dst_sel:DWORD dst_unused:UNUSED_PAD src0_sel:WORD_0 src1_sel:DWORD
	v_mov_b32_e32 v59, 0
	v_mov_b32_e32 v58, 0
	v_dot4c_i32_i8 v25, v34, v41
	v_dot4c_i32_i8 v54, v34, v45
	v_subrev_nc_u32_e32 v31, 32, v31
	v_subrev_nc_u32_e32 v30, 32, v30
	v_or_b32_sdwa v27, v53, v27 dst_sel:DWORD dst_unused:UNUSED_PAD src0_sel:WORD_0 src1_sel:DWORD
	v_dot4c_i32_i8 v61, v28, v43
	v_dot4c_i32_i8 v52, v28, v47
	;; [unrolled: 1-line block ×4, first 2 shown]
	v_mul_lo_u32 v28, v29, v54
	v_mul_lo_u32 v25, v29, v25
	v_dot4c_i32_i8 v59, v27, v44
	s_waitcnt vmcnt(7)
	v_dot4c_i32_i8 v58, v27, v22
	v_mul_lo_u32 v22, v30, v61
	v_mul_lo_u32 v27, v30, v52
	v_mul_lo_u32 v29, v31, v49
	v_mul_lo_u32 v30, v31, v57
	v_cvt_f32_i32_e32 v28, v28
	v_cvt_f32_i32_e32 v25, v25
	v_subrev_nc_u32_e32 v33, 32, v33
	v_cvt_f32_i32_e32 v22, v22
	s_waitcnt vmcnt(6)
	v_fma_mix_f32 v23, v23, v28, 0 op_sel_hi:[1,0,0]
	v_cvt_f32_i32_e32 v29, v29
	v_cvt_f32_i32_e32 v30, v30
	v_fma_mix_f32 v25, v40, v25, 0 op_sel_hi:[1,0,0]
	v_mul_lo_u32 v31, v33, v58
	v_mul_lo_u32 v32, v33, v59
	v_cvt_f32_i32_e32 v27, v27
	s_waitcnt vmcnt(4)
	v_fma_mix_f32 v23, v37, v30, v23 op_sel_hi:[1,0,0]
	v_fma_mix_f32 v25, v36, v29, v25 op_sel_hi:[1,0,0]
	v_cvt_f32_i32_e32 v29, v31
	v_cvt_f32_i32_e32 v28, v32
	s_waitcnt vmcnt(2)
	v_fma_mix_f32 v23, v39, v27, v23 op_sel_hi:[1,0,0]
	v_fma_mix_f32 v22, v38, v22, v25 op_sel_hi:[1,0,0]
	s_waitcnt vmcnt(0)
	v_fma_mix_f32 v23, v24, v29, v23 op_sel_hi:[1,0,0]
	v_fma_mix_f32 v22, v48, v28, v22 op_sel_hi:[1,0,0]
	;; [unrolled: 1-line block ×4, first 2 shown]
	s_andn2_b32 exec_lo, exec_lo, s0
	s_cbranch_execnz .LBB113_2
; %bb.3:
	s_or_b32 exec_lo, exec_lo, s0
.LBB113_4:
	s_or_b32 exec_lo, exec_lo, s9
	s_mov_b32 s1, 0
	; wave barrier
	buffer_gl0_inv
	s_mov_b32 s0, exec_lo
	v_cmpx_eq_u32_e32 0, v1
	s_cbranch_execz .LBB113_9
; %bb.5:
	v_mbcnt_lo_u32_b32 v5, -1, 0
	s_load_dwordx2 s[4:5], s[4:5], 0x38
	s_mul_i32 s0, s14, s7
	s_mul_i32 s3, s18, s8
	s_add_i32 s0, s0, s6
	v_xor_b32_e32 v1, 16, v5
	v_xor_b32_e32 v2, 8, v5
	;; [unrolled: 1-line block ×3, first 2 shown]
	s_add_i32 s0, s0, s3
	s_lshl_b64 s[0:1], s[0:1], 2
	v_cmp_gt_i32_e32 vcc_lo, 32, v1
	v_cndmask_b32_e32 v1, v5, v1, vcc_lo
	v_cmp_gt_i32_e32 vcc_lo, 32, v2
	v_lshlrev_b32_e32 v1, 2, v1
	v_cndmask_b32_e32 v2, v5, v2, vcc_lo
	s_waitcnt lgkmcnt(0)
	s_add_u32 s0, s4, s0
	s_addc_u32 s1, s5, s1
	ds_bpermute_b32 v3, v1, v7
	v_lshlrev_b32_e32 v2, 2, v2
	s_waitcnt lgkmcnt(0)
	v_add_f32_e32 v4, v7, v3
	v_xor_b32_e32 v3, 4, v5
	ds_bpermute_b32 v6, v2, v4
	v_cmp_gt_i32_e32 vcc_lo, 32, v3
	v_cndmask_b32_e32 v3, v5, v3, vcc_lo
	v_lshlrev_b32_e32 v3, 2, v3
	s_waitcnt lgkmcnt(0)
	v_add_f32_e32 v6, v4, v6
	v_xor_b32_e32 v4, 2, v5
	ds_bpermute_b32 v7, v3, v6
	v_cmp_gt_i32_e32 vcc_lo, 32, v4
	v_cndmask_b32_e32 v4, v5, v4, vcc_lo
	v_cmp_gt_i32_e32 vcc_lo, 32, v9
	v_lshlrev_b32_e32 v4, 2, v4
	v_cndmask_b32_e32 v5, v5, v9, vcc_lo
	v_cmp_eq_u32_e32 vcc_lo, 0, v0
	v_lshlrev_b32_e32 v5, 2, v5
	s_waitcnt lgkmcnt(0)
	v_add_f32_e32 v6, v6, v7
	ds_bpermute_b32 v7, v4, v6
	s_waitcnt lgkmcnt(0)
	v_add_f32_e32 v6, v6, v7
	ds_bpermute_b32 v7, v5, v6
	s_and_saveexec_b32 s3, vcc_lo
	s_cbranch_execz .LBB113_7
; %bb.6:
	s_waitcnt lgkmcnt(0)
	v_add_f32_e32 v0, v6, v7
	v_mov_b32_e32 v6, 0
	global_store_dword v6, v0, s[0:1]
.LBB113_7:
	s_or_b32 exec_lo, exec_lo, s3
	ds_bpermute_b32 v0, v1, v8
	s_waitcnt lgkmcnt(0)
	v_add_f32_e32 v0, v8, v0
	ds_bpermute_b32 v1, v2, v0
	s_waitcnt lgkmcnt(0)
	v_add_f32_e32 v0, v0, v1
	;; [unrolled: 3-line block ×4, first 2 shown]
	ds_bpermute_b32 v1, v5, v0
	s_and_b32 exec_lo, exec_lo, vcc_lo
	s_cbranch_execz .LBB113_9
; %bb.8:
	s_mov_b32 s3, 0
	s_waitcnt lgkmcnt(0)
	v_add_f32_e32 v0, v0, v1
	s_lshl_b64 s[2:3], s[2:3], 2
	v_mov_b32_e32 v1, 0
	s_add_u32 s0, s0, s2
	s_addc_u32 s1, s1, s3
	global_store_dword v1, v0, s[0:1]
.LBB113_9:
	s_endpgm
	.section	.rodata,"a",@progbits
	.p2align	6, 0x0
	.amdhsa_kernel _ZL13mul_mat_vec_qIL9ggml_type11ELi2ELb0ELb0EEvPKvS2_PKi31ggml_cuda_mm_fusion_args_devicePfj15HIP_vector_typeIjLj3EEjjjS8_jjjS8_jjjj
		.amdhsa_group_segment_fixed_size 0
		.amdhsa_private_segment_fixed_size 0
		.amdhsa_kernarg_size 144
		.amdhsa_user_sgpr_count 6
		.amdhsa_user_sgpr_private_segment_buffer 1
		.amdhsa_user_sgpr_dispatch_ptr 0
		.amdhsa_user_sgpr_queue_ptr 0
		.amdhsa_user_sgpr_kernarg_segment_ptr 1
		.amdhsa_user_sgpr_dispatch_id 0
		.amdhsa_user_sgpr_flat_scratch_init 0
		.amdhsa_user_sgpr_private_segment_size 0
		.amdhsa_wavefront_size32 1
		.amdhsa_uses_dynamic_stack 0
		.amdhsa_system_sgpr_private_segment_wavefront_offset 0
		.amdhsa_system_sgpr_workgroup_id_x 1
		.amdhsa_system_sgpr_workgroup_id_y 1
		.amdhsa_system_sgpr_workgroup_id_z 1
		.amdhsa_system_sgpr_workgroup_info 0
		.amdhsa_system_vgpr_workitem_id 1
		.amdhsa_next_free_vgpr 62
		.amdhsa_next_free_sgpr 26
		.amdhsa_reserve_vcc 1
		.amdhsa_reserve_flat_scratch 0
		.amdhsa_float_round_mode_32 0
		.amdhsa_float_round_mode_16_64 0
		.amdhsa_float_denorm_mode_32 3
		.amdhsa_float_denorm_mode_16_64 3
		.amdhsa_dx10_clamp 1
		.amdhsa_ieee_mode 1
		.amdhsa_fp16_overflow 0
		.amdhsa_workgroup_processor_mode 1
		.amdhsa_memory_ordered 1
		.amdhsa_forward_progress 1
		.amdhsa_shared_vgpr_count 0
		.amdhsa_exception_fp_ieee_invalid_op 0
		.amdhsa_exception_fp_denorm_src 0
		.amdhsa_exception_fp_ieee_div_zero 0
		.amdhsa_exception_fp_ieee_overflow 0
		.amdhsa_exception_fp_ieee_underflow 0
		.amdhsa_exception_fp_ieee_inexact 0
		.amdhsa_exception_int_div_zero 0
	.end_amdhsa_kernel
	.section	.text._ZL13mul_mat_vec_qIL9ggml_type11ELi2ELb0ELb0EEvPKvS2_PKi31ggml_cuda_mm_fusion_args_devicePfj15HIP_vector_typeIjLj3EEjjjS8_jjjS8_jjjj,"axG",@progbits,_ZL13mul_mat_vec_qIL9ggml_type11ELi2ELb0ELb0EEvPKvS2_PKi31ggml_cuda_mm_fusion_args_devicePfj15HIP_vector_typeIjLj3EEjjjS8_jjjS8_jjjj,comdat
.Lfunc_end113:
	.size	_ZL13mul_mat_vec_qIL9ggml_type11ELi2ELb0ELb0EEvPKvS2_PKi31ggml_cuda_mm_fusion_args_devicePfj15HIP_vector_typeIjLj3EEjjjS8_jjjS8_jjjj, .Lfunc_end113-_ZL13mul_mat_vec_qIL9ggml_type11ELi2ELb0ELb0EEvPKvS2_PKi31ggml_cuda_mm_fusion_args_devicePfj15HIP_vector_typeIjLj3EEjjjS8_jjjS8_jjjj
                                        ; -- End function
	.set _ZL13mul_mat_vec_qIL9ggml_type11ELi2ELb0ELb0EEvPKvS2_PKi31ggml_cuda_mm_fusion_args_devicePfj15HIP_vector_typeIjLj3EEjjjS8_jjjS8_jjjj.num_vgpr, 62
	.set _ZL13mul_mat_vec_qIL9ggml_type11ELi2ELb0ELb0EEvPKvS2_PKi31ggml_cuda_mm_fusion_args_devicePfj15HIP_vector_typeIjLj3EEjjjS8_jjjS8_jjjj.num_agpr, 0
	.set _ZL13mul_mat_vec_qIL9ggml_type11ELi2ELb0ELb0EEvPKvS2_PKi31ggml_cuda_mm_fusion_args_devicePfj15HIP_vector_typeIjLj3EEjjjS8_jjjS8_jjjj.numbered_sgpr, 26
	.set _ZL13mul_mat_vec_qIL9ggml_type11ELi2ELb0ELb0EEvPKvS2_PKi31ggml_cuda_mm_fusion_args_devicePfj15HIP_vector_typeIjLj3EEjjjS8_jjjS8_jjjj.num_named_barrier, 0
	.set _ZL13mul_mat_vec_qIL9ggml_type11ELi2ELb0ELb0EEvPKvS2_PKi31ggml_cuda_mm_fusion_args_devicePfj15HIP_vector_typeIjLj3EEjjjS8_jjjS8_jjjj.private_seg_size, 0
	.set _ZL13mul_mat_vec_qIL9ggml_type11ELi2ELb0ELb0EEvPKvS2_PKi31ggml_cuda_mm_fusion_args_devicePfj15HIP_vector_typeIjLj3EEjjjS8_jjjS8_jjjj.uses_vcc, 1
	.set _ZL13mul_mat_vec_qIL9ggml_type11ELi2ELb0ELb0EEvPKvS2_PKi31ggml_cuda_mm_fusion_args_devicePfj15HIP_vector_typeIjLj3EEjjjS8_jjjS8_jjjj.uses_flat_scratch, 0
	.set _ZL13mul_mat_vec_qIL9ggml_type11ELi2ELb0ELb0EEvPKvS2_PKi31ggml_cuda_mm_fusion_args_devicePfj15HIP_vector_typeIjLj3EEjjjS8_jjjS8_jjjj.has_dyn_sized_stack, 0
	.set _ZL13mul_mat_vec_qIL9ggml_type11ELi2ELb0ELb0EEvPKvS2_PKi31ggml_cuda_mm_fusion_args_devicePfj15HIP_vector_typeIjLj3EEjjjS8_jjjS8_jjjj.has_recursion, 0
	.set _ZL13mul_mat_vec_qIL9ggml_type11ELi2ELb0ELb0EEvPKvS2_PKi31ggml_cuda_mm_fusion_args_devicePfj15HIP_vector_typeIjLj3EEjjjS8_jjjS8_jjjj.has_indirect_call, 0
	.section	.AMDGPU.csdata,"",@progbits
; Kernel info:
; codeLenInByte = 2096
; TotalNumSgprs: 28
; NumVgprs: 62
; ScratchSize: 0
; MemoryBound: 0
; FloatMode: 240
; IeeeMode: 1
; LDSByteSize: 0 bytes/workgroup (compile time only)
; SGPRBlocks: 0
; VGPRBlocks: 7
; NumSGPRsForWavesPerEU: 28
; NumVGPRsForWavesPerEU: 62
; Occupancy: 16
; WaveLimiterHint : 0
; COMPUTE_PGM_RSRC2:SCRATCH_EN: 0
; COMPUTE_PGM_RSRC2:USER_SGPR: 6
; COMPUTE_PGM_RSRC2:TRAP_HANDLER: 0
; COMPUTE_PGM_RSRC2:TGID_X_EN: 1
; COMPUTE_PGM_RSRC2:TGID_Y_EN: 1
; COMPUTE_PGM_RSRC2:TGID_Z_EN: 1
; COMPUTE_PGM_RSRC2:TIDIG_COMP_CNT: 1
	.section	.text._ZL13mul_mat_vec_qIL9ggml_type11ELi3ELb0ELb0EEvPKvS2_PKi31ggml_cuda_mm_fusion_args_devicePfj15HIP_vector_typeIjLj3EEjjjS8_jjjS8_jjjj,"axG",@progbits,_ZL13mul_mat_vec_qIL9ggml_type11ELi3ELb0ELb0EEvPKvS2_PKi31ggml_cuda_mm_fusion_args_devicePfj15HIP_vector_typeIjLj3EEjjjS8_jjjS8_jjjj,comdat
	.globl	_ZL13mul_mat_vec_qIL9ggml_type11ELi3ELb0ELb0EEvPKvS2_PKi31ggml_cuda_mm_fusion_args_devicePfj15HIP_vector_typeIjLj3EEjjjS8_jjjS8_jjjj ; -- Begin function _ZL13mul_mat_vec_qIL9ggml_type11ELi3ELb0ELb0EEvPKvS2_PKi31ggml_cuda_mm_fusion_args_devicePfj15HIP_vector_typeIjLj3EEjjjS8_jjjS8_jjjj
	.p2align	8
	.type	_ZL13mul_mat_vec_qIL9ggml_type11ELi3ELb0ELb0EEvPKvS2_PKi31ggml_cuda_mm_fusion_args_devicePfj15HIP_vector_typeIjLj3EEjjjS8_jjjS8_jjjj,@function
_ZL13mul_mat_vec_qIL9ggml_type11ELi3ELb0ELb0EEvPKvS2_PKi31ggml_cuda_mm_fusion_args_devicePfj15HIP_vector_typeIjLj3EEjjjS8_jjjS8_jjjj: ; @_ZL13mul_mat_vec_qIL9ggml_type11ELi3ELb0ELb0EEvPKvS2_PKi31ggml_cuda_mm_fusion_args_devicePfj15HIP_vector_typeIjLj3EEjjjS8_jjjS8_jjjj
; %bb.0:
	s_clause 0x5
	s_load_dword s9, s[4:5], 0x40
	s_load_dwordx4 s[0:3], s[4:5], 0x50
	s_load_dword s11, s[4:5], 0x60
	s_load_dwordx4 s[12:15], s[4:5], 0x68
	;; [unrolled: 2-line block ×3, first 2 shown]
	v_lshl_or_b32 v2, v1, 5, v0
	v_mov_b32_e32 v6, 0
	v_mov_b32_e32 v9, 0
	;; [unrolled: 1-line block ×3, first 2 shown]
	v_lshrrev_b32_e32 v7, 4, v2
	s_waitcnt lgkmcnt(0)
	s_lshr_b32 s10, s9, 8
	s_mov_b32 s9, exec_lo
	v_cmpx_gt_u32_e64 s10, v7
	s_cbranch_execz .LBB114_4
; %bb.1:
	s_load_dwordx4 s[20:23], s[4:5], 0x0
	v_and_b32_e32 v6, 8, v0
	v_bfe_u32 v10, v0, 2, 1
	v_bfe_u32 v12, v0, 3, 1
	s_mul_hi_u32 s3, s3, s7
	s_mul_hi_u32 s15, s15, s8
	v_lshrrev_b32_e32 v2, 1, v0
	v_or_b32_e32 v4, v10, v6
	v_mul_hi_u32_u24_e32 v5, 0x90, v12
	s_mul_i32 s17, s17, s8
	s_add_i32 s3, s7, s3
	s_add_i32 s15, s8, s15
	v_or_b32_e32 v14, 4, v4
	v_or_b32_e32 v16, 6, v4
	v_mul_u32_u24_e32 v4, 0x90, v12
	s_mul_i32 s13, s13, s7
	v_lshlrev_b32_e32 v3, 1, v0
	s_mul_hi_u32 s19, s17, 36
	s_mul_i32 s17, s17, 36
	s_lshr_b32 s3, s3, s11
	v_and_b32_e32 v9, 7, v0
	v_lshrrev_b32_e32 v12, 1, v6
	v_lshrrev_b32_e32 v6, 1, v16
	v_mad_u64_u32 v[4:5], null, 0x120, v7, v[4:5]
	s_lshr_b32 s11, s15, s24
	s_mul_hi_u32 s25, s13, 36
	s_mul_i32 s13, s13, 36
	s_mul_i32 s3, s3, s12
	s_waitcnt lgkmcnt(0)
	s_add_u32 s12, s22, s17
	v_and_b32_e32 v11, 4, v2
	s_addc_u32 s15, s23, s19
	s_add_u32 s12, s12, s13
	s_addc_u32 s13, s15, s25
	v_and_b32_e32 v21, 30, v3
	v_lshlrev_b32_e32 v22, 1, v9
	v_and_b32_e32 v17, 6, v6
	v_lshlrev_b32_e32 v6, 3, v7
	v_mad_u64_u32 v[2:3], null, v11, 36, s[12:13]
	v_add_co_u32 v4, vcc_lo, s12, v4
	s_mul_i32 s0, s0, s6
	v_mov_b32_e32 v8, 0
	v_and_b32_e32 v13, 5, v14
	v_lshrrev_b32_e32 v14, 1, v14
	v_and_b32_e32 v15, 7, v16
	v_and_b32_e32 v16, 3, v16
	v_lshlrev_b32_e32 v18, 2, v9
	v_add_co_ci_u32_e64 v5, null, s13, v5, vcc_lo
	v_add_nc_u32_e32 v19, s1, v6
	v_lshl_add_u32 v20, s1, 1, v6
	v_lshlrev_b32_e32 v21, 1, v21
	v_lshlrev_b32_e32 v22, 1, v22
	;; [unrolled: 1-line block ×3, first 2 shown]
	v_mov_b32_e32 v9, 0
	v_mov_b32_e32 v6, 0
	s_mul_i32 s11, s11, s16
	s_add_i32 s3, s3, s0
	s_mov_b32 s0, 0
	s_add_i32 s1, s11, s3
.LBB114_2:                              ; =>This Inner Loop Header: Depth=1
	v_add_nc_u32_e32 v30, s1, v7
	v_mad_u64_u32 v[26:27], null, v19, 36, v[2:3]
	v_add_co_u32 v24, vcc_lo, v4, v18
	v_mad_u64_u32 v[28:29], null, v20, 36, v[2:3]
	v_add_co_ci_u32_e64 v25, null, 0, v5, vcc_lo
	v_mad_i64_i32 v[30:31], null, 0x6e, v30, s[20:21]
	s_clause 0x3
	global_load_dword v47, v[24:25], off offset:4
	global_load_dword v48, v[24:25], off offset:40
	;; [unrolled: 1-line block ×4, first 2 shown]
	v_add_co_u32 v24, vcc_lo, v26, v23
	v_add_co_ci_u32_e64 v25, null, 0, v27, vcc_lo
	v_add_co_u32 v32, vcc_lo, v28, v23
	v_add_co_ci_u32_e64 v33, null, 0, v29, vcc_lo
	;; [unrolled: 2-line block ×6, first 2 shown]
	v_add_co_u32 v42, vcc_lo, v30, v15
	s_clause 0x5
	global_load_dword v51, v[26:27], off
	global_load_dword v52, v[26:27], off offset:36
	global_load_dword v53, v[26:27], off offset:72
	global_load_dword v54, v[28:29], off
	global_load_dword v55, v[28:29], off offset:36
	global_load_dword v56, v[28:29], off offset:72
	v_add_co_ci_u32_e64 v43, null, 0, v31, vcc_lo
	s_clause 0x8
	global_load_dword v57, v[24:25], off offset:4
	global_load_dword v58, v[24:25], off offset:40
	;; [unrolled: 1-line block ×9, first 2 shown]
	v_add_co_u32 v24, vcc_lo, v30, v16
	v_add_co_ci_u32_e64 v25, null, 0, v31, vcc_lo
	global_load_dword v28, v[28:29], off offset:108
	s_clause 0x9
	global_load_ushort v29, v[30:31], off offset:108
	global_load_dword v30, v[36:37], off
	global_load_dword v31, v[34:35], off offset:32
	global_load_ubyte v33, v[38:39], off offset:96
	global_load_ubyte v34, v[38:39], off offset:104
	;; [unrolled: 1-line block ×7, first 2 shown]
	v_mov_b32_e32 v44, 0
	v_mov_b32_e32 v45, 0
	;; [unrolled: 1-line block ×3, first 2 shown]
	v_add_nc_u32_e32 v7, 2, v7
	v_add_nc_u32_e32 v19, 16, v19
	;; [unrolled: 1-line block ×3, first 2 shown]
	s_waitcnt vmcnt(8)
	v_ashrrev_i32_e32 v25, v11, v30
	s_waitcnt vmcnt(7)
	v_lshrrev_b32_e32 v30, 4, v31
	s_waitcnt vmcnt(6)
	v_bfe_u32 v33, v33, v12, 4
	v_lshrrev_b32_e32 v43, 6, v31
	s_waitcnt vmcnt(4)
	v_lshrrev_b32_e32 v35, v12, v35
	v_not_b32_e32 v25, v25
	v_and_b32_e32 v39, 0x3030303, v30
	v_bfe_u32 v30, v30, 24, 2
	s_waitcnt vmcnt(0)
	v_lshrrev_b32_e32 v24, v17, v24
	v_bfe_u32 v38, v38, v12, 4
	v_and_b32_e32 v40, 0x4040404, v25
	v_lshrrev_b16 v41, 8, v39
	v_bfe_u32 v36, v36, v12, 4
	v_lshlrev_b32_e32 v24, 4, v24
	v_bfe_u32 v37, v37, v12, 4
	v_lshrrev_b16 v42, 8, v40
	v_lshlrev_b32_e32 v35, 4, v35
	v_and_b32_e32 v43, 0x3030303, v43
	v_and_or_b32 v24, v24, 48, v38
	v_sub_nc_u16 v41, v41, v42
	v_lshrrev_b32_e32 v42, 24, v40
	v_and_or_b32 v35, v35, 48, v37
	v_subrev_nc_u32_e32 v24, 32, v24
	v_lshlrev_b16 v41, 8, v41
	v_sub_nc_u16 v30, v30, v42
	v_lshrrev_b32_e32 v42, 16, v39
	v_sub_nc_u16 v39, v39, v40
	v_lshrrev_b32_e32 v40, 16, v40
	v_subrev_nc_u32_e32 v35, 32, v35
	v_lshlrev_b16 v30, 8, v30
	v_or_b32_sdwa v39, v39, v41 dst_sel:DWORD dst_unused:UNUSED_PAD src0_sel:BYTE_0 src1_sel:DWORD
	v_sub_nc_u16 v40, v42, v40
	v_lshrrev_b32_e32 v42, v12, v34
	v_lshrrev_b32_e32 v34, v14, v34
	v_and_b32_e32 v41, 0x3030303, v31
	v_or_b32_sdwa v30, v40, v30 dst_sel:WORD_1 dst_unused:UNUSED_PAD src0_sel:BYTE_0 src1_sel:DWORD
	v_lshlrev_b32_e32 v42, 4, v42
	v_lshlrev_b32_e32 v34, 4, v34
	v_bfe_u32 v40, v31, 24, 2
	v_or_b32_sdwa v30, v39, v30 dst_sel:DWORD dst_unused:UNUSED_PAD src0_sel:WORD_0 src1_sel:DWORD
	v_and_or_b32 v33, v42, 48, v33
	v_lshlrev_b32_e32 v42, 2, v25
	v_lshrrev_b32_e32 v39, 2, v31
	v_and_or_b32 v34, v34, 48, v36
	v_dot4c_i32_i8 v44, v30, v49
	v_dot4c_i32_i8 v45, v30, v59
	v_and_b32_e32 v38, 0x4040404, v42
	v_dot4c_i32_i8 v46, v30, v62
	v_lshrrev_b16 v30, 8, v41
	v_lshlrev_b32_e32 v36, 1, v25
	v_lshrrev_b32_e32 v49, 16, v41
	v_lshrrev_b16 v42, 8, v38
	v_and_b32_e32 v59, 0x3030303, v39
	v_sub_nc_u16 v41, v41, v38
	v_and_b32_e32 v36, 0x4040404, v36
	v_lshrrev_b32_e32 v25, 1, v25
	v_sub_nc_u16 v30, v30, v42
	v_lshrrev_b32_e32 v42, 24, v38
	v_lshrrev_b32_e32 v38, 16, v38
	v_bfe_u32 v39, v39, 24, 2
	v_lshrrev_b32_e32 v37, 16, v59
	v_and_b32_e32 v25, 0x4040404, v25
	v_sub_nc_u16 v40, v40, v42
	v_lshrrev_b16 v42, 8, v59
	v_sub_nc_u16 v38, v49, v38
	v_lshrrev_b16 v49, 8, v36
	v_sub_nc_u16 v59, v59, v36
	v_lshrrev_b32_e32 v31, 30, v31
	v_lshlrev_b16 v30, 8, v30
	v_lshlrev_b16 v40, 8, v40
	v_sub_nc_u16 v42, v42, v49
	v_lshrrev_b32_e32 v49, 24, v36
	v_lshrrev_b32_e32 v36, 16, v36
	v_or_b32_sdwa v30, v41, v30 dst_sel:DWORD dst_unused:UNUSED_PAD src0_sel:BYTE_0 src1_sel:DWORD
	global_load_dword v41, v[4:5], off offset:36
	v_or_b32_sdwa v38, v38, v40 dst_sel:WORD_1 dst_unused:UNUSED_PAD src0_sel:BYTE_0 src1_sel:DWORD
	v_sub_nc_u16 v39, v39, v49
	v_lshrrev_b16 v49, 8, v43
	v_sub_nc_u16 v36, v37, v36
	v_lshrrev_b16 v37, 8, v25
	global_load_dword v40, v[4:5], off offset:72
	v_lshlrev_b16 v42, 8, v42
	v_lshlrev_b16 v39, 8, v39
	v_or_b32_sdwa v30, v30, v38 dst_sel:DWORD dst_unused:UNUSED_PAD src0_sel:WORD_0 src1_sel:DWORD
	v_sub_nc_u16 v37, v49, v37
	v_lshrrev_b32_e32 v49, 24, v25
	v_or_b32_sdwa v42, v59, v42 dst_sel:DWORD dst_unused:UNUSED_PAD src0_sel:BYTE_0 src1_sel:DWORD
	global_load_dword v59, v[4:5], off offset:108
	v_or_b32_sdwa v36, v36, v39 dst_sel:WORD_1 dst_unused:UNUSED_PAD src0_sel:BYTE_0 src1_sel:DWORD
	v_lshlrev_b16 v37, 8, v37
	v_sub_nc_u16 v31, v31, v49
	v_lshrrev_b32_e32 v49, 16, v43
	v_sub_nc_u16 v43, v43, v25
	v_lshrrev_b32_e32 v25, 16, v25
	v_mov_b32_e32 v39, 0
	v_lshlrev_b16 v31, 8, v31
	v_mov_b32_e32 v38, 0
	v_or_b32_sdwa v37, v43, v37 dst_sel:DWORD dst_unused:UNUSED_PAD src0_sel:BYTE_0 src1_sel:DWORD
	v_sub_nc_u16 v25, v49, v25
	global_load_dword v49, v[4:5], off
	v_mov_b32_e32 v43, 0
	v_or_b32_sdwa v36, v42, v36 dst_sel:DWORD dst_unused:UNUSED_PAD src0_sel:WORD_0 src1_sel:DWORD
	v_dot4c_i32_i8 v39, v30, v47
	v_or_b32_sdwa v25, v25, v31 dst_sel:WORD_1 dst_unused:UNUSED_PAD src0_sel:BYTE_0 src1_sel:DWORD
	v_mov_b32_e32 v31, 0
	v_mov_b32_e32 v47, 0
	;; [unrolled: 1-line block ×3, first 2 shown]
	v_dot4c_i32_i8 v43, v36, v48
	v_or_b32_sdwa v25, v37, v25 dst_sel:DWORD dst_unused:UNUSED_PAD src0_sel:WORD_0 src1_sel:DWORD
	v_mov_b32_e32 v37, 0
	v_mov_b32_e32 v48, 0
	v_subrev_nc_u32_e32 v34, 32, v34
	v_subrev_nc_u32_e32 v33, 32, v33
	v_dot4c_i32_i8 v31, v25, v50
	v_mov_b32_e32 v50, 0
	v_dot4c_i32_i8 v38, v30, v57
	v_dot4c_i32_i8 v47, v30, v27
	v_mul_lo_u32 v44, v34, v44
	v_dot4c_i32_i8 v42, v36, v58
	v_dot4c_i32_i8 v37, v25, v60
	;; [unrolled: 1-line block ×4, first 2 shown]
	v_mul_lo_u32 v25, v34, v45
	v_mul_lo_u32 v27, v34, v46
	;; [unrolled: 1-line block ×10, first 2 shown]
	v_cvt_f32_i32_e32 v30, v30
	v_cvt_f32_i32_e32 v34, v34
	;; [unrolled: 1-line block ×6, first 2 shown]
	v_fma_mix_f32 v34, v51, v34, 0 op_sel_hi:[1,0,0]
	v_fma_mix_f32 v33, v54, v33, 0 op_sel_hi:[1,0,0]
	v_mul_lo_u32 v24, v24, v37
	v_cvt_f32_i32_e32 v37, v44
	v_cvt_f32_i32_e32 v27, v27
	;; [unrolled: 1-line block ×3, first 2 shown]
	v_fma_mix_f32 v33, v55, v36, v33 op_sel_hi:[1,0,0]
	v_cvt_f32_i32_e32 v31, v31
	v_add_co_u32 v4, vcc_lo, 0x240, v4
	v_cvt_f32_i32_e32 v24, v24
	v_fma_mix_f32 v27, v56, v27, v33 op_sel_hi:[1,0,0]
	v_add_co_ci_u32_e64 v5, null, 0, v5, vcc_lo
	v_cmp_le_u32_e32 vcc_lo, s10, v7
	s_or_b32 s0, vcc_lo, s0
	s_waitcnt vmcnt(0)
	v_fma_mix_f32 v30, v49, v30, 0 op_sel_hi:[1,0,0]
	v_fma_mix_f32 v30, v41, v32, v30 op_sel_hi:[1,0,0]
	;; [unrolled: 1-line block ×3, first 2 shown]
	v_cvt_f32_i32_e32 v34, v38
	v_fma_mix_f32 v30, v40, v37, v30 op_sel_hi:[1,0,0]
	v_fma_mix_f32 v25, v53, v25, v32 op_sel_hi:[1,0,0]
	;; [unrolled: 1-line block ×8, first 2 shown]
	s_andn2_b32 exec_lo, exec_lo, s0
	s_cbranch_execnz .LBB114_2
; %bb.3:
	s_or_b32 exec_lo, exec_lo, s0
.LBB114_4:
	s_or_b32 exec_lo, exec_lo, s9
	s_mov_b32 s1, 0
	; wave barrier
	buffer_gl0_inv
	s_mov_b32 s0, exec_lo
	v_cmpx_eq_u32_e32 0, v1
	s_cbranch_execz .LBB114_11
; %bb.5:
	v_mbcnt_lo_u32_b32 v5, -1, 0
	s_load_dwordx2 s[4:5], s[4:5], 0x38
	s_mul_i32 s0, s14, s7
	s_mul_i32 s3, s18, s8
	s_add_i32 s0, s0, s6
	v_xor_b32_e32 v1, 16, v5
	v_xor_b32_e32 v2, 8, v5
	;; [unrolled: 1-line block ×3, first 2 shown]
	s_add_i32 s0, s0, s3
	s_lshl_b64 s[0:1], s[0:1], 2
	v_cmp_gt_i32_e32 vcc_lo, 32, v1
	v_cndmask_b32_e32 v1, v5, v1, vcc_lo
	v_cmp_gt_i32_e32 vcc_lo, 32, v2
	v_lshlrev_b32_e32 v1, 2, v1
	v_cndmask_b32_e32 v2, v5, v2, vcc_lo
	s_waitcnt lgkmcnt(0)
	s_add_u32 s0, s4, s0
	s_addc_u32 s1, s5, s1
	ds_bpermute_b32 v3, v1, v8
	v_lshlrev_b32_e32 v2, 2, v2
	s_waitcnt lgkmcnt(0)
	v_add_f32_e32 v4, v8, v3
	v_xor_b32_e32 v3, 4, v5
	ds_bpermute_b32 v7, v2, v4
	v_cmp_gt_i32_e32 vcc_lo, 32, v3
	v_cndmask_b32_e32 v3, v5, v3, vcc_lo
	v_lshlrev_b32_e32 v3, 2, v3
	s_waitcnt lgkmcnt(0)
	v_add_f32_e32 v7, v4, v7
	v_xor_b32_e32 v4, 2, v5
	ds_bpermute_b32 v8, v3, v7
	v_cmp_gt_i32_e32 vcc_lo, 32, v4
	v_cndmask_b32_e32 v4, v5, v4, vcc_lo
	v_cmp_gt_i32_e32 vcc_lo, 32, v10
	v_lshlrev_b32_e32 v4, 2, v4
	v_cndmask_b32_e32 v5, v5, v10, vcc_lo
	v_cmp_eq_u32_e32 vcc_lo, 0, v0
	v_lshlrev_b32_e32 v5, 2, v5
	s_waitcnt lgkmcnt(0)
	v_add_f32_e32 v7, v7, v8
	ds_bpermute_b32 v8, v4, v7
	s_waitcnt lgkmcnt(0)
	v_add_f32_e32 v7, v7, v8
	ds_bpermute_b32 v8, v5, v7
	s_and_saveexec_b32 s3, vcc_lo
	s_cbranch_execz .LBB114_7
; %bb.6:
	s_waitcnt lgkmcnt(0)
	v_add_f32_e32 v0, v7, v8
	v_mov_b32_e32 v7, 0
	global_store_dword v7, v0, s[0:1]
.LBB114_7:
	s_or_b32 exec_lo, exec_lo, s3
	ds_bpermute_b32 v0, v1, v9
	s_waitcnt lgkmcnt(0)
	v_add_f32_e32 v0, v9, v0
	ds_bpermute_b32 v7, v2, v0
	s_waitcnt lgkmcnt(0)
	v_add_f32_e32 v0, v0, v7
	;; [unrolled: 3-line block ×4, first 2 shown]
	ds_bpermute_b32 v7, v5, v0
	s_and_saveexec_b32 s4, vcc_lo
	s_cbranch_execz .LBB114_9
; %bb.8:
	s_mov_b32 s3, 0
	s_waitcnt lgkmcnt(0)
	v_add_f32_e32 v0, v0, v7
	s_lshl_b64 s[6:7], s[2:3], 2
	v_mov_b32_e32 v7, 0
	s_add_u32 s6, s0, s6
	s_addc_u32 s7, s1, s7
	global_store_dword v7, v0, s[6:7]
.LBB114_9:
	s_or_b32 exec_lo, exec_lo, s4
	ds_bpermute_b32 v0, v1, v6
	s_waitcnt lgkmcnt(0)
	v_add_f32_e32 v0, v6, v0
	ds_bpermute_b32 v1, v2, v0
	s_waitcnt lgkmcnt(0)
	v_add_f32_e32 v0, v0, v1
	;; [unrolled: 3-line block ×4, first 2 shown]
	ds_bpermute_b32 v1, v5, v0
	s_and_b32 exec_lo, exec_lo, vcc_lo
	s_cbranch_execz .LBB114_11
; %bb.10:
	s_lshl_b32 s2, s2, 1
	s_mov_b32 s3, 0
	s_waitcnt lgkmcnt(0)
	v_add_f32_e32 v0, v0, v1
	s_lshl_b64 s[2:3], s[2:3], 2
	v_mov_b32_e32 v1, 0
	s_add_u32 s0, s0, s2
	s_addc_u32 s1, s1, s3
	global_store_dword v1, v0, s[0:1]
.LBB114_11:
	s_endpgm
	.section	.rodata,"a",@progbits
	.p2align	6, 0x0
	.amdhsa_kernel _ZL13mul_mat_vec_qIL9ggml_type11ELi3ELb0ELb0EEvPKvS2_PKi31ggml_cuda_mm_fusion_args_devicePfj15HIP_vector_typeIjLj3EEjjjS8_jjjS8_jjjj
		.amdhsa_group_segment_fixed_size 0
		.amdhsa_private_segment_fixed_size 0
		.amdhsa_kernarg_size 144
		.amdhsa_user_sgpr_count 6
		.amdhsa_user_sgpr_private_segment_buffer 1
		.amdhsa_user_sgpr_dispatch_ptr 0
		.amdhsa_user_sgpr_queue_ptr 0
		.amdhsa_user_sgpr_kernarg_segment_ptr 1
		.amdhsa_user_sgpr_dispatch_id 0
		.amdhsa_user_sgpr_flat_scratch_init 0
		.amdhsa_user_sgpr_private_segment_size 0
		.amdhsa_wavefront_size32 1
		.amdhsa_uses_dynamic_stack 0
		.amdhsa_system_sgpr_private_segment_wavefront_offset 0
		.amdhsa_system_sgpr_workgroup_id_x 1
		.amdhsa_system_sgpr_workgroup_id_y 1
		.amdhsa_system_sgpr_workgroup_id_z 1
		.amdhsa_system_sgpr_workgroup_info 0
		.amdhsa_system_vgpr_workitem_id 1
		.amdhsa_next_free_vgpr 63
		.amdhsa_next_free_sgpr 26
		.amdhsa_reserve_vcc 1
		.amdhsa_reserve_flat_scratch 0
		.amdhsa_float_round_mode_32 0
		.amdhsa_float_round_mode_16_64 0
		.amdhsa_float_denorm_mode_32 3
		.amdhsa_float_denorm_mode_16_64 3
		.amdhsa_dx10_clamp 1
		.amdhsa_ieee_mode 1
		.amdhsa_fp16_overflow 0
		.amdhsa_workgroup_processor_mode 1
		.amdhsa_memory_ordered 1
		.amdhsa_forward_progress 1
		.amdhsa_shared_vgpr_count 0
		.amdhsa_exception_fp_ieee_invalid_op 0
		.amdhsa_exception_fp_denorm_src 0
		.amdhsa_exception_fp_ieee_div_zero 0
		.amdhsa_exception_fp_ieee_overflow 0
		.amdhsa_exception_fp_ieee_underflow 0
		.amdhsa_exception_fp_ieee_inexact 0
		.amdhsa_exception_int_div_zero 0
	.end_amdhsa_kernel
	.section	.text._ZL13mul_mat_vec_qIL9ggml_type11ELi3ELb0ELb0EEvPKvS2_PKi31ggml_cuda_mm_fusion_args_devicePfj15HIP_vector_typeIjLj3EEjjjS8_jjjS8_jjjj,"axG",@progbits,_ZL13mul_mat_vec_qIL9ggml_type11ELi3ELb0ELb0EEvPKvS2_PKi31ggml_cuda_mm_fusion_args_devicePfj15HIP_vector_typeIjLj3EEjjjS8_jjjS8_jjjj,comdat
.Lfunc_end114:
	.size	_ZL13mul_mat_vec_qIL9ggml_type11ELi3ELb0ELb0EEvPKvS2_PKi31ggml_cuda_mm_fusion_args_devicePfj15HIP_vector_typeIjLj3EEjjjS8_jjjS8_jjjj, .Lfunc_end114-_ZL13mul_mat_vec_qIL9ggml_type11ELi3ELb0ELb0EEvPKvS2_PKi31ggml_cuda_mm_fusion_args_devicePfj15HIP_vector_typeIjLj3EEjjjS8_jjjS8_jjjj
                                        ; -- End function
	.set _ZL13mul_mat_vec_qIL9ggml_type11ELi3ELb0ELb0EEvPKvS2_PKi31ggml_cuda_mm_fusion_args_devicePfj15HIP_vector_typeIjLj3EEjjjS8_jjjS8_jjjj.num_vgpr, 63
	.set _ZL13mul_mat_vec_qIL9ggml_type11ELi3ELb0ELb0EEvPKvS2_PKi31ggml_cuda_mm_fusion_args_devicePfj15HIP_vector_typeIjLj3EEjjjS8_jjjS8_jjjj.num_agpr, 0
	.set _ZL13mul_mat_vec_qIL9ggml_type11ELi3ELb0ELb0EEvPKvS2_PKi31ggml_cuda_mm_fusion_args_devicePfj15HIP_vector_typeIjLj3EEjjjS8_jjjS8_jjjj.numbered_sgpr, 26
	.set _ZL13mul_mat_vec_qIL9ggml_type11ELi3ELb0ELb0EEvPKvS2_PKi31ggml_cuda_mm_fusion_args_devicePfj15HIP_vector_typeIjLj3EEjjjS8_jjjS8_jjjj.num_named_barrier, 0
	.set _ZL13mul_mat_vec_qIL9ggml_type11ELi3ELb0ELb0EEvPKvS2_PKi31ggml_cuda_mm_fusion_args_devicePfj15HIP_vector_typeIjLj3EEjjjS8_jjjS8_jjjj.private_seg_size, 0
	.set _ZL13mul_mat_vec_qIL9ggml_type11ELi3ELb0ELb0EEvPKvS2_PKi31ggml_cuda_mm_fusion_args_devicePfj15HIP_vector_typeIjLj3EEjjjS8_jjjS8_jjjj.uses_vcc, 1
	.set _ZL13mul_mat_vec_qIL9ggml_type11ELi3ELb0ELb0EEvPKvS2_PKi31ggml_cuda_mm_fusion_args_devicePfj15HIP_vector_typeIjLj3EEjjjS8_jjjS8_jjjj.uses_flat_scratch, 0
	.set _ZL13mul_mat_vec_qIL9ggml_type11ELi3ELb0ELb0EEvPKvS2_PKi31ggml_cuda_mm_fusion_args_devicePfj15HIP_vector_typeIjLj3EEjjjS8_jjjS8_jjjj.has_dyn_sized_stack, 0
	.set _ZL13mul_mat_vec_qIL9ggml_type11ELi3ELb0ELb0EEvPKvS2_PKi31ggml_cuda_mm_fusion_args_devicePfj15HIP_vector_typeIjLj3EEjjjS8_jjjS8_jjjj.has_recursion, 0
	.set _ZL13mul_mat_vec_qIL9ggml_type11ELi3ELb0ELb0EEvPKvS2_PKi31ggml_cuda_mm_fusion_args_devicePfj15HIP_vector_typeIjLj3EEjjjS8_jjjS8_jjjj.has_indirect_call, 0
	.section	.AMDGPU.csdata,"",@progbits
; Kernel info:
; codeLenInByte = 2424
; TotalNumSgprs: 28
; NumVgprs: 63
; ScratchSize: 0
; MemoryBound: 0
; FloatMode: 240
; IeeeMode: 1
; LDSByteSize: 0 bytes/workgroup (compile time only)
; SGPRBlocks: 0
; VGPRBlocks: 7
; NumSGPRsForWavesPerEU: 28
; NumVGPRsForWavesPerEU: 63
; Occupancy: 16
; WaveLimiterHint : 0
; COMPUTE_PGM_RSRC2:SCRATCH_EN: 0
; COMPUTE_PGM_RSRC2:USER_SGPR: 6
; COMPUTE_PGM_RSRC2:TRAP_HANDLER: 0
; COMPUTE_PGM_RSRC2:TGID_X_EN: 1
; COMPUTE_PGM_RSRC2:TGID_Y_EN: 1
; COMPUTE_PGM_RSRC2:TGID_Z_EN: 1
; COMPUTE_PGM_RSRC2:TIDIG_COMP_CNT: 1
	.section	.text._ZL13mul_mat_vec_qIL9ggml_type11ELi4ELb0ELb0EEvPKvS2_PKi31ggml_cuda_mm_fusion_args_devicePfj15HIP_vector_typeIjLj3EEjjjS8_jjjS8_jjjj,"axG",@progbits,_ZL13mul_mat_vec_qIL9ggml_type11ELi4ELb0ELb0EEvPKvS2_PKi31ggml_cuda_mm_fusion_args_devicePfj15HIP_vector_typeIjLj3EEjjjS8_jjjS8_jjjj,comdat
	.globl	_ZL13mul_mat_vec_qIL9ggml_type11ELi4ELb0ELb0EEvPKvS2_PKi31ggml_cuda_mm_fusion_args_devicePfj15HIP_vector_typeIjLj3EEjjjS8_jjjS8_jjjj ; -- Begin function _ZL13mul_mat_vec_qIL9ggml_type11ELi4ELb0ELb0EEvPKvS2_PKi31ggml_cuda_mm_fusion_args_devicePfj15HIP_vector_typeIjLj3EEjjjS8_jjjS8_jjjj
	.p2align	8
	.type	_ZL13mul_mat_vec_qIL9ggml_type11ELi4ELb0ELb0EEvPKvS2_PKi31ggml_cuda_mm_fusion_args_devicePfj15HIP_vector_typeIjLj3EEjjjS8_jjjS8_jjjj,@function
_ZL13mul_mat_vec_qIL9ggml_type11ELi4ELb0ELb0EEvPKvS2_PKi31ggml_cuda_mm_fusion_args_devicePfj15HIP_vector_typeIjLj3EEjjjS8_jjjS8_jjjj: ; @_ZL13mul_mat_vec_qIL9ggml_type11ELi4ELb0ELb0EEvPKvS2_PKi31ggml_cuda_mm_fusion_args_devicePfj15HIP_vector_typeIjLj3EEjjjS8_jjjS8_jjjj
; %bb.0:
	s_clause 0x5
	s_load_dword s9, s[4:5], 0x40
	s_load_dwordx4 s[0:3], s[4:5], 0x50
	s_load_dword s11, s[4:5], 0x60
	s_load_dwordx4 s[12:15], s[4:5], 0x68
	s_load_dword s24, s[4:5], 0x78
	s_load_dwordx4 s[16:19], s[4:5], 0x80
	v_lshl_or_b32 v2, v1, 5, v0
	v_mov_b32_e32 v7, 0
	v_mov_b32_e32 v8, 0
	;; [unrolled: 1-line block ×4, first 2 shown]
	v_lshrrev_b32_e32 v9, 4, v2
	s_waitcnt lgkmcnt(0)
	s_lshr_b32 s10, s9, 8
	s_mov_b32 s9, exec_lo
	v_cmpx_gt_u32_e64 s10, v9
	s_cbranch_execz .LBB115_4
; %bb.1:
	s_load_dwordx4 s[20:23], s[4:5], 0x0
	v_and_b32_e32 v6, 8, v0
	v_bfe_u32 v12, v0, 2, 1
	v_bfe_u32 v7, v0, 3, 1
	s_mul_hi_u32 s3, s3, s7
	s_mul_hi_u32 s15, s15, s8
	v_lshrrev_b32_e32 v2, 1, v0
	v_or_b32_e32 v4, v12, v6
	v_mul_hi_u32_u24_e32 v5, 0x90, v7
	v_lshrrev_b32_e32 v14, 1, v6
	s_mul_i32 s17, s17, s8
	s_add_i32 s3, s7, s3
	v_or_b32_e32 v18, 6, v4
	v_or_b32_e32 v16, 4, v4
	v_mul_u32_u24_e32 v4, 0x90, v7
	s_add_i32 s15, s8, s15
	s_mul_i32 s13, s13, s7
	v_lshrrev_b32_e32 v6, 1, v18
	v_lshlrev_b32_e32 v3, 1, v0
	s_mul_hi_u32 s19, s17, 36
	s_mul_i32 s17, s17, 36
	s_lshr_b32 s3, s3, s11
	v_and_b32_e32 v10, 7, v0
	v_mad_u64_u32 v[4:5], null, 0x120, v9, v[4:5]
	s_lshr_b32 s11, s15, s24
	s_mul_hi_u32 s25, s13, 36
	s_mul_i32 s13, s13, 36
	s_mul_i32 s3, s3, s12
	s_waitcnt lgkmcnt(0)
	s_add_u32 s12, s22, s17
	v_and_b32_e32 v13, 4, v2
	v_and_b32_e32 v19, 6, v6
	v_lshlrev_b32_e32 v6, 3, v9
	s_addc_u32 s15, s23, s19
	s_add_u32 s12, s12, s13
	s_addc_u32 s13, s15, s25
	v_and_b32_e32 v11, 30, v3
	v_lshlrev_b32_e32 v24, 1, v10
	v_mad_u64_u32 v[2:3], null, v13, 36, s[12:13]
	v_add_nc_u32_e32 v21, s1, v6
	v_lshl_add_u32 v22, s1, 1, v6
	v_mad_u64_u32 v[6:7], null, s1, 3, v[6:7]
	v_add_co_u32 v4, vcc_lo, s12, v4
	s_mul_i32 s0, s0, s6
	v_mov_b32_e32 v8, 0
	v_and_b32_e32 v15, 5, v16
	v_lshrrev_b32_e32 v16, 1, v16
	v_and_b32_e32 v17, 7, v18
	v_and_b32_e32 v18, 3, v18
	v_lshlrev_b32_e32 v20, 2, v10
	v_add_co_ci_u32_e64 v5, null, s13, v5, vcc_lo
	v_lshlrev_b32_e32 v23, 1, v11
	v_lshlrev_b32_e32 v24, 1, v24
	;; [unrolled: 1-line block ×3, first 2 shown]
	v_mov_b32_e32 v7, 0
	v_mov_b32_e32 v11, 0
	;; [unrolled: 1-line block ×3, first 2 shown]
	s_mul_i32 s11, s11, s16
	s_add_i32 s3, s3, s0
	s_mov_b32 s0, 0
	s_add_i32 s1, s11, s3
.LBB115_2:                              ; =>This Inner Loop Header: Depth=1
	v_add_nc_u32_e32 v26, s1, v9
	v_mov_b32_e32 v46, 0
	v_mov_b32_e32 v44, 0
	v_mov_b32_e32 v45, 0
	v_add_nc_u32_e32 v9, 2, v9
	v_mad_i64_i32 v[31:32], null, 0x6e, v26, s[20:21]
	v_add_co_u32 v27, vcc_lo, v31, v23
	v_add_co_ci_u32_e64 v28, null, 0, v32, vcc_lo
	s_clause 0x1
	global_load_ushort v26, v[31:32], off offset:108
	global_load_dword v35, v[27:28], off offset:32
	v_add_co_u32 v27, vcc_lo, v31, v24
	v_add_co_ci_u32_e64 v28, null, 0, v32, vcc_lo
	v_add_co_u32 v29, vcc_lo, v31, v12
	v_add_co_ci_u32_e64 v30, null, 0, v32, vcc_lo
	s_clause 0x1
	global_load_dword v27, v[27:28], off
	global_load_ubyte v37, v[29:30], off offset:104
	s_waitcnt vmcnt(2)
	v_bfe_u32 v34, v35, 24, 2
	s_waitcnt vmcnt(1)
	v_ashrrev_i32_e32 v27, v13, v27
	s_waitcnt vmcnt(0)
	v_lshrrev_b32_e32 v28, v14, v37
	v_not_b32_e32 v36, v27
	global_load_ubyte v27, v[29:30], off offset:96
	v_lshlrev_b32_e32 v28, 4, v28
	v_lshlrev_b32_e32 v39, 2, v36
	v_and_b32_e32 v39, 0x4040404, v39
	v_lshrrev_b32_e32 v41, 24, v39
	v_lshrrev_b16 v42, 8, v39
	v_lshrrev_b32_e32 v40, 16, v39
	v_sub_nc_u16 v34, v34, v41
	v_lshlrev_b16 v34, 8, v34
	s_waitcnt vmcnt(0)
	v_bfe_u32 v27, v27, v14, 4
	v_and_or_b32 v27, v28, 48, v27
	v_subrev_nc_u32_e32 v28, 32, v27
	v_and_b32_e32 v27, 0x3030303, v35
	v_lshrrev_b16 v38, 8, v27
	v_lshrrev_b32_e32 v33, 16, v27
	v_sub_nc_u16 v27, v27, v39
	v_lshlrev_b32_e32 v39, 1, v36
	v_sub_nc_u16 v38, v38, v42
	v_sub_nc_u16 v33, v33, v40
	v_and_b32_e32 v39, 0x4040404, v39
	v_lshlrev_b16 v38, 8, v38
	v_or_b32_sdwa v33, v33, v34 dst_sel:WORD_1 dst_unused:UNUSED_PAD src0_sel:BYTE_0 src1_sel:DWORD
	v_lshrrev_b32_e32 v41, 24, v39
	v_lshrrev_b16 v42, 8, v39
	v_or_b32_sdwa v27, v27, v38 dst_sel:DWORD dst_unused:UNUSED_PAD src0_sel:BYTE_0 src1_sel:DWORD
	v_lshrrev_b32_e32 v40, 16, v39
	v_or_b32_sdwa v38, v27, v33 dst_sel:DWORD dst_unused:UNUSED_PAD src0_sel:WORD_0 src1_sel:DWORD
	s_clause 0x1
	global_load_ubyte v27, v[29:30], off offset:98
	global_load_ubyte v29, v[29:30], off offset:106
	s_waitcnt vmcnt(1)
	v_bfe_u32 v27, v27, v14, 4
	s_waitcnt vmcnt(0)
	v_lshrrev_b32_e32 v29, v14, v29
	v_lshlrev_b32_e32 v29, 4, v29
	v_and_or_b32 v27, v29, 48, v27
	v_subrev_nc_u32_e32 v30, 32, v27
	v_lshrrev_b32_e32 v27, 2, v35
	v_and_b32_e32 v29, 0x3030303, v27
	v_bfe_u32 v27, v27, 24, 2
	v_lshrrev_b16 v34, 8, v29
	v_lshrrev_b32_e32 v33, 16, v29
	v_sub_nc_u16 v27, v27, v41
	v_sub_nc_u16 v29, v29, v39
	;; [unrolled: 1-line block ×4, first 2 shown]
	v_lshlrev_b16 v27, 8, v27
	v_and_b32_e32 v40, 0x4040404, v36
	v_lshlrev_b16 v34, 8, v34
	v_or_b32_sdwa v27, v33, v27 dst_sel:WORD_1 dst_unused:UNUSED_PAD src0_sel:BYTE_0 src1_sel:DWORD
	v_add_co_u32 v33, vcc_lo, v31, v15
	v_or_b32_sdwa v29, v29, v34 dst_sel:DWORD dst_unused:UNUSED_PAD src0_sel:BYTE_0 src1_sel:DWORD
	v_add_co_ci_u32_e64 v34, null, 0, v32, vcc_lo
	v_lshrrev_b32_e32 v42, 24, v40
	v_lshrrev_b16 v43, 8, v40
	v_or_b32_sdwa v39, v29, v27 dst_sel:DWORD dst_unused:UNUSED_PAD src0_sel:WORD_0 src1_sel:DWORD
	global_load_ubyte v27, v[33:34], off offset:96
	v_lshrrev_b32_e32 v29, v16, v37
	v_lshrrev_b32_e32 v41, 16, v40
	v_lshlrev_b32_e32 v29, 4, v29
	s_waitcnt vmcnt(0)
	v_bfe_u32 v27, v27, v14, 4
	v_and_or_b32 v27, v29, 48, v27
	v_lshrrev_b32_e32 v29, 4, v35
	v_subrev_nc_u32_e32 v27, 32, v27
	v_and_b32_e32 v33, 0x3030303, v29
	v_bfe_u32 v29, v29, 24, 2
	v_lshrrev_b16 v37, 8, v33
	v_lshrrev_b32_e32 v34, 16, v33
	v_sub_nc_u16 v29, v29, v42
	v_sub_nc_u16 v33, v33, v40
	;; [unrolled: 1-line block ×4, first 2 shown]
	v_lshlrev_b16 v29, 8, v29
	v_lshlrev_b16 v37, 8, v37
	v_or_b32_sdwa v29, v34, v29 dst_sel:WORD_1 dst_unused:UNUSED_PAD src0_sel:BYTE_0 src1_sel:DWORD
	v_or_b32_sdwa v33, v33, v37 dst_sel:DWORD dst_unused:UNUSED_PAD src0_sel:BYTE_0 src1_sel:DWORD
	v_or_b32_sdwa v37, v33, v29 dst_sel:DWORD dst_unused:UNUSED_PAD src0_sel:WORD_0 src1_sel:DWORD
	v_add_co_u32 v33, vcc_lo, v31, v17
	v_add_co_ci_u32_e64 v34, null, 0, v32, vcc_lo
	v_add_co_u32 v31, vcc_lo, v31, v18
	v_add_co_ci_u32_e64 v32, null, 0, v32, vcc_lo
	s_clause 0x1
	global_load_ubyte v29, v[33:34], off offset:96
	global_load_ubyte v31, v[31:32], off offset:104
	v_lshrrev_b32_e32 v33, 30, v35
	s_waitcnt vmcnt(1)
	v_bfe_u32 v29, v29, v14, 4
	s_waitcnt vmcnt(0)
	v_lshrrev_b32_e32 v31, v19, v31
	v_lshlrev_b32_e32 v31, 4, v31
	v_and_or_b32 v29, v31, 48, v29
	v_lshrrev_b32_e32 v31, 6, v35
	v_lshrrev_b32_e32 v35, 1, v36
	v_subrev_nc_u32_e32 v29, 32, v29
	v_and_b32_e32 v31, 0x3030303, v31
	v_and_b32_e32 v35, 0x4040404, v35
	v_lshrrev_b16 v34, 8, v31
	v_lshrrev_b32_e32 v40, 24, v35
	v_lshrrev_b16 v41, 8, v35
	v_lshrrev_b32_e32 v32, 16, v31
	v_lshrrev_b32_e32 v36, 16, v35
	v_sub_nc_u16 v31, v31, v35
	v_sub_nc_u16 v33, v33, v40
	;; [unrolled: 1-line block ×4, first 2 shown]
	v_lshlrev_b16 v33, 8, v33
	v_lshlrev_b16 v34, 8, v34
	v_or_b32_sdwa v32, v32, v33 dst_sel:WORD_1 dst_unused:UNUSED_PAD src0_sel:BYTE_0 src1_sel:DWORD
	v_or_b32_sdwa v31, v31, v34 dst_sel:DWORD dst_unused:UNUSED_PAD src0_sel:BYTE_0 src1_sel:DWORD
	v_or_b32_sdwa v35, v31, v32 dst_sel:DWORD dst_unused:UNUSED_PAD src0_sel:WORD_0 src1_sel:DWORD
	v_add_co_u32 v31, vcc_lo, v4, v20
	v_add_co_ci_u32_e64 v32, null, 0, v5, vcc_lo
	s_clause 0x7
	global_load_dword v33, v[31:32], off offset:4
	global_load_dword v36, v[4:5], off
	global_load_dword v34, v[31:32], off offset:40
	global_load_dword v40, v[4:5], off offset:36
	global_load_dword v41, v[31:32], off offset:76
	global_load_dword v42, v[4:5], off offset:72
	global_load_dword v31, v[31:32], off offset:112
	global_load_dword v43, v[4:5], off offset:108
	s_waitcnt vmcnt(7)
	v_dot4c_i32_i8 v44, v38, v33
	s_waitcnt vmcnt(5)
	v_dot4c_i32_i8 v45, v39, v34
	;; [unrolled: 2-line block ×3, first 2 shown]
	v_mov_b32_e32 v41, 0
	s_waitcnt vmcnt(1)
	v_dot4c_i32_i8 v41, v35, v31
	v_mad_u64_u32 v[31:32], null, v21, 36, v[2:3]
	v_add_nc_u32_e32 v21, 16, v21
	v_add_co_u32 v33, vcc_lo, v31, v25
	v_add_co_ci_u32_e64 v34, null, 0, v32, vcc_lo
	s_clause 0x7
	global_load_dword v47, v[33:34], off offset:4
	global_load_dword v48, v[31:32], off
	global_load_dword v49, v[33:34], off offset:40
	global_load_dword v50, v[31:32], off offset:36
	;; [unrolled: 1-line block ×6, first 2 shown]
	v_mov_b32_e32 v34, 0
	v_mov_b32_e32 v32, 0
	s_waitcnt vmcnt(7)
	v_dot4c_i32_i8 v32, v38, v47
	v_mov_b32_e32 v47, 0
	s_waitcnt vmcnt(5)
	v_dot4c_i32_i8 v34, v39, v49
	v_mov_b32_e32 v49, 0
	v_mul_lo_u32 v32, v28, v32
	s_waitcnt vmcnt(3)
	v_dot4c_i32_i8 v47, v37, v51
	v_mul_lo_u32 v34, v30, v34
	s_waitcnt vmcnt(1)
	v_dot4c_i32_i8 v49, v35, v33
	v_mul_lo_u32 v33, v28, v44
	v_cvt_f32_i32_e32 v32, v32
	v_cvt_f32_i32_e32 v34, v34
	;; [unrolled: 1-line block ×3, first 2 shown]
	v_fma_mix_f32 v32, v48, v32, 0 op_sel_hi:[1,0,0]
	v_fma_mix_f32 v33, v36, v33, 0 op_sel_hi:[1,0,0]
	v_mul_lo_u32 v36, v30, v45
	v_fma_mix_f32 v32, v50, v34, v32 op_sel_hi:[1,0,0]
	v_mul_lo_u32 v34, v27, v46
	v_mov_b32_e32 v46, 0
	v_cvt_f32_i32_e32 v36, v36
	v_cvt_f32_i32_e32 v34, v34
	v_fma_mix_f32 v33, v40, v36, v33 op_sel_hi:[1,0,0]
	v_mul_lo_u32 v36, v27, v47
	v_fma_mix_f32 v33, v42, v34, v33 op_sel_hi:[1,0,0]
	v_mul_lo_u32 v34, v29, v49
	v_cvt_f32_i32_e32 v36, v36
	v_fma_mix_f32 v32, v52, v36, v32 op_sel_hi:[1,0,0]
	v_mul_lo_u32 v36, v29, v41
	v_cvt_f32_i32_e32 v34, v34
	s_waitcnt vmcnt(0)
	v_fma_mix_f32 v31, v31, v34, v32 op_sel_hi:[1,0,0]
	v_cvt_f32_i32_e32 v36, v36
	v_fma_mix_f32 v10, v31, v26, v10 op_sel_hi:[0,1,0]
	v_fma_mix_f32 v32, v43, v36, v33 op_sel_hi:[1,0,0]
	v_fma_mix_f32 v11, v32, v26, v11 op_sel_hi:[0,1,0]
	v_mad_u64_u32 v[31:32], null, v22, 36, v[2:3]
	v_add_nc_u32_e32 v22, 16, v22
	v_add_co_u32 v33, vcc_lo, v31, v25
	v_add_co_ci_u32_e64 v34, null, 0, v32, vcc_lo
	s_clause 0x7
	global_load_dword v36, v[33:34], off offset:4
	global_load_dword v40, v[31:32], off
	global_load_dword v41, v[33:34], off offset:40
	global_load_dword v42, v[31:32], off offset:36
	;; [unrolled: 1-line block ×6, first 2 shown]
	v_mad_u64_u32 v[31:32], null, v6, 36, v[2:3]
	v_add_nc_u32_e32 v6, 16, v6
	s_waitcnt vmcnt(7)
	v_dot4c_i32_i8 v46, v38, v36
	v_mov_b32_e32 v36, 0
	s_waitcnt vmcnt(5)
	v_dot4c_i32_i8 v36, v39, v41
	v_mov_b32_e32 v41, 0
	;; [unrolled: 3-line block ×3, first 2 shown]
	s_waitcnt vmcnt(1)
	v_dot4c_i32_i8 v43, v35, v33
	v_add_co_u32 v33, vcc_lo, v31, v25
	v_add_co_ci_u32_e64 v34, null, 0, v32, vcc_lo
	s_clause 0x7
	global_load_dword v47, v[33:34], off offset:4
	global_load_dword v48, v[31:32], off
	global_load_dword v49, v[33:34], off offset:40
	global_load_dword v50, v[31:32], off offset:36
	;; [unrolled: 1-line block ×6, first 2 shown]
	v_mov_b32_e32 v32, 0
	v_mov_b32_e32 v34, 0
	v_add_co_u32 v4, vcc_lo, 0x240, v4
	v_add_co_ci_u32_e64 v5, null, 0, v5, vcc_lo
	v_cmp_le_u32_e32 vcc_lo, s10, v9
	s_or_b32 s0, vcc_lo, s0
	s_waitcnt vmcnt(7)
	v_dot4c_i32_i8 v32, v38, v47
	v_mov_b32_e32 v38, 0
	s_waitcnt vmcnt(5)
	v_dot4c_i32_i8 v34, v39, v49
	s_waitcnt vmcnt(3)
	v_dot4c_i32_i8 v38, v37, v51
	v_mov_b32_e32 v37, 0
	s_waitcnt vmcnt(1)
	v_dot4c_i32_i8 v37, v35, v33
	v_mul_lo_u32 v33, v28, v46
	v_mul_lo_u32 v28, v28, v32
	v_cvt_f32_i32_e32 v32, v33
	v_mul_lo_u32 v33, v30, v34
	v_mul_lo_u32 v30, v30, v36
	v_cvt_f32_i32_e32 v28, v28
	v_fma_mix_f32 v32, v40, v32, 0 op_sel_hi:[1,0,0]
	v_fma_mix_f32 v28, v48, v28, 0 op_sel_hi:[1,0,0]
	v_cvt_f32_i32_e32 v33, v33
	v_cvt_f32_i32_e32 v30, v30
	v_fma_mix_f32 v28, v50, v33, v28 op_sel_hi:[1,0,0]
	v_fma_mix_f32 v30, v42, v30, v32 op_sel_hi:[1,0,0]
	v_mul_lo_u32 v32, v27, v41
	v_mul_lo_u32 v27, v27, v38
	v_cvt_f32_i32_e32 v32, v32
	v_cvt_f32_i32_e32 v27, v27
	v_fma_mix_f32 v30, v44, v32, v30 op_sel_hi:[1,0,0]
	v_fma_mix_f32 v27, v52, v27, v28 op_sel_hi:[1,0,0]
	v_mul_lo_u32 v28, v29, v37
	v_mul_lo_u32 v29, v29, v43
	v_cvt_f32_i32_e32 v28, v28
	v_cvt_f32_i32_e32 v29, v29
	s_waitcnt vmcnt(0)
	v_fma_mix_f32 v27, v31, v28, v27 op_sel_hi:[1,0,0]
	v_fma_mix_f32 v28, v45, v29, v30 op_sel_hi:[1,0,0]
	;; [unrolled: 1-line block ×4, first 2 shown]
	s_andn2_b32 exec_lo, exec_lo, s0
	s_cbranch_execnz .LBB115_2
; %bb.3:
	s_or_b32 exec_lo, exec_lo, s0
.LBB115_4:
	s_or_b32 exec_lo, exec_lo, s9
	s_mov_b32 s1, 0
	; wave barrier
	buffer_gl0_inv
	s_mov_b32 s0, exec_lo
	v_cmpx_eq_u32_e32 0, v1
	s_cbranch_execz .LBB115_13
; %bb.5:
	v_mbcnt_lo_u32_b32 v5, -1, 0
	s_load_dwordx2 s[4:5], s[4:5], 0x38
	s_mul_i32 s0, s14, s7
	s_mul_i32 s3, s18, s8
	s_add_i32 s0, s0, s6
	v_xor_b32_e32 v1, 16, v5
	v_xor_b32_e32 v2, 8, v5
	s_add_i32 s0, s0, s3
	s_lshl_b64 s[0:1], s[0:1], 2
	v_cmp_gt_i32_e32 vcc_lo, 32, v1
	v_cndmask_b32_e32 v1, v5, v1, vcc_lo
	v_cmp_gt_i32_e32 vcc_lo, 32, v2
	v_lshlrev_b32_e32 v1, 2, v1
	v_cndmask_b32_e32 v2, v5, v2, vcc_lo
	s_waitcnt lgkmcnt(0)
	s_add_u32 s0, s4, s0
	s_addc_u32 s1, s5, s1
	ds_bpermute_b32 v3, v1, v11
	v_lshlrev_b32_e32 v2, 2, v2
	s_waitcnt lgkmcnt(0)
	v_add_f32_e32 v4, v11, v3
	v_xor_b32_e32 v3, 4, v5
	v_xor_b32_e32 v11, 1, v5
	ds_bpermute_b32 v6, v2, v4
	v_cmp_gt_i32_e32 vcc_lo, 32, v3
	v_cndmask_b32_e32 v3, v5, v3, vcc_lo
	v_lshlrev_b32_e32 v3, 2, v3
	s_waitcnt lgkmcnt(0)
	v_add_f32_e32 v6, v4, v6
	v_xor_b32_e32 v4, 2, v5
	ds_bpermute_b32 v9, v3, v6
	v_cmp_gt_i32_e32 vcc_lo, 32, v4
	v_cndmask_b32_e32 v4, v5, v4, vcc_lo
	v_cmp_gt_i32_e32 vcc_lo, 32, v11
	v_lshlrev_b32_e32 v4, 2, v4
	v_cndmask_b32_e32 v5, v5, v11, vcc_lo
	v_cmp_eq_u32_e32 vcc_lo, 0, v0
	v_lshlrev_b32_e32 v5, 2, v5
	s_waitcnt lgkmcnt(0)
	v_add_f32_e32 v6, v6, v9
	ds_bpermute_b32 v9, v4, v6
	s_waitcnt lgkmcnt(0)
	v_add_f32_e32 v6, v6, v9
	ds_bpermute_b32 v9, v5, v6
	s_and_saveexec_b32 s3, vcc_lo
	s_cbranch_execz .LBB115_7
; %bb.6:
	s_waitcnt lgkmcnt(0)
	v_add_f32_e32 v0, v6, v9
	v_mov_b32_e32 v6, 0
	global_store_dword v6, v0, s[0:1]
.LBB115_7:
	s_or_b32 exec_lo, exec_lo, s3
	ds_bpermute_b32 v0, v1, v10
	s_waitcnt lgkmcnt(0)
	v_add_f32_e32 v0, v10, v0
	ds_bpermute_b32 v6, v2, v0
	s_waitcnt lgkmcnt(0)
	v_add_f32_e32 v0, v0, v6
	;; [unrolled: 3-line block ×4, first 2 shown]
	ds_bpermute_b32 v6, v5, v0
	s_and_saveexec_b32 s4, vcc_lo
	s_cbranch_execz .LBB115_9
; %bb.8:
	s_mov_b32 s3, 0
	s_waitcnt lgkmcnt(0)
	v_add_f32_e32 v0, v0, v6
	s_lshl_b64 s[6:7], s[2:3], 2
	v_mov_b32_e32 v6, 0
	s_add_u32 s6, s0, s6
	s_addc_u32 s7, s1, s7
	global_store_dword v6, v0, s[6:7]
.LBB115_9:
	s_or_b32 exec_lo, exec_lo, s4
	ds_bpermute_b32 v0, v1, v8
	s_waitcnt lgkmcnt(0)
	v_add_f32_e32 v0, v8, v0
	ds_bpermute_b32 v6, v2, v0
	s_waitcnt lgkmcnt(0)
	v_add_f32_e32 v0, v0, v6
	;; [unrolled: 3-line block ×4, first 2 shown]
	ds_bpermute_b32 v6, v5, v0
	s_and_saveexec_b32 s3, vcc_lo
	s_cbranch_execz .LBB115_11
; %bb.10:
	s_lshl_b32 s4, s2, 1
	s_mov_b32 s5, 0
	s_waitcnt lgkmcnt(0)
	v_add_f32_e32 v0, v0, v6
	s_lshl_b64 s[4:5], s[4:5], 2
	v_mov_b32_e32 v6, 0
	s_add_u32 s4, s0, s4
	s_addc_u32 s5, s1, s5
	global_store_dword v6, v0, s[4:5]
.LBB115_11:
	s_or_b32 exec_lo, exec_lo, s3
	ds_bpermute_b32 v0, v1, v7
	s_waitcnt lgkmcnt(0)
	v_add_f32_e32 v0, v7, v0
	ds_bpermute_b32 v1, v2, v0
	s_waitcnt lgkmcnt(0)
	v_add_f32_e32 v0, v0, v1
	;; [unrolled: 3-line block ×4, first 2 shown]
	ds_bpermute_b32 v1, v5, v0
	s_and_b32 exec_lo, exec_lo, vcc_lo
	s_cbranch_execz .LBB115_13
; %bb.12:
	s_mul_i32 s2, s2, 3
	s_mov_b32 s3, 0
	s_waitcnt lgkmcnt(0)
	v_add_f32_e32 v0, v0, v1
	s_lshl_b64 s[2:3], s[2:3], 2
	v_mov_b32_e32 v1, 0
	s_add_u32 s0, s0, s2
	s_addc_u32 s1, s1, s3
	global_store_dword v1, v0, s[0:1]
.LBB115_13:
	s_endpgm
	.section	.rodata,"a",@progbits
	.p2align	6, 0x0
	.amdhsa_kernel _ZL13mul_mat_vec_qIL9ggml_type11ELi4ELb0ELb0EEvPKvS2_PKi31ggml_cuda_mm_fusion_args_devicePfj15HIP_vector_typeIjLj3EEjjjS8_jjjS8_jjjj
		.amdhsa_group_segment_fixed_size 0
		.amdhsa_private_segment_fixed_size 0
		.amdhsa_kernarg_size 144
		.amdhsa_user_sgpr_count 6
		.amdhsa_user_sgpr_private_segment_buffer 1
		.amdhsa_user_sgpr_dispatch_ptr 0
		.amdhsa_user_sgpr_queue_ptr 0
		.amdhsa_user_sgpr_kernarg_segment_ptr 1
		.amdhsa_user_sgpr_dispatch_id 0
		.amdhsa_user_sgpr_flat_scratch_init 0
		.amdhsa_user_sgpr_private_segment_size 0
		.amdhsa_wavefront_size32 1
		.amdhsa_uses_dynamic_stack 0
		.amdhsa_system_sgpr_private_segment_wavefront_offset 0
		.amdhsa_system_sgpr_workgroup_id_x 1
		.amdhsa_system_sgpr_workgroup_id_y 1
		.amdhsa_system_sgpr_workgroup_id_z 1
		.amdhsa_system_sgpr_workgroup_info 0
		.amdhsa_system_vgpr_workitem_id 1
		.amdhsa_next_free_vgpr 53
		.amdhsa_next_free_sgpr 26
		.amdhsa_reserve_vcc 1
		.amdhsa_reserve_flat_scratch 0
		.amdhsa_float_round_mode_32 0
		.amdhsa_float_round_mode_16_64 0
		.amdhsa_float_denorm_mode_32 3
		.amdhsa_float_denorm_mode_16_64 3
		.amdhsa_dx10_clamp 1
		.amdhsa_ieee_mode 1
		.amdhsa_fp16_overflow 0
		.amdhsa_workgroup_processor_mode 1
		.amdhsa_memory_ordered 1
		.amdhsa_forward_progress 1
		.amdhsa_shared_vgpr_count 0
		.amdhsa_exception_fp_ieee_invalid_op 0
		.amdhsa_exception_fp_denorm_src 0
		.amdhsa_exception_fp_ieee_div_zero 0
		.amdhsa_exception_fp_ieee_overflow 0
		.amdhsa_exception_fp_ieee_underflow 0
		.amdhsa_exception_fp_ieee_inexact 0
		.amdhsa_exception_int_div_zero 0
	.end_amdhsa_kernel
	.section	.text._ZL13mul_mat_vec_qIL9ggml_type11ELi4ELb0ELb0EEvPKvS2_PKi31ggml_cuda_mm_fusion_args_devicePfj15HIP_vector_typeIjLj3EEjjjS8_jjjS8_jjjj,"axG",@progbits,_ZL13mul_mat_vec_qIL9ggml_type11ELi4ELb0ELb0EEvPKvS2_PKi31ggml_cuda_mm_fusion_args_devicePfj15HIP_vector_typeIjLj3EEjjjS8_jjjS8_jjjj,comdat
.Lfunc_end115:
	.size	_ZL13mul_mat_vec_qIL9ggml_type11ELi4ELb0ELb0EEvPKvS2_PKi31ggml_cuda_mm_fusion_args_devicePfj15HIP_vector_typeIjLj3EEjjjS8_jjjS8_jjjj, .Lfunc_end115-_ZL13mul_mat_vec_qIL9ggml_type11ELi4ELb0ELb0EEvPKvS2_PKi31ggml_cuda_mm_fusion_args_devicePfj15HIP_vector_typeIjLj3EEjjjS8_jjjS8_jjjj
                                        ; -- End function
	.set _ZL13mul_mat_vec_qIL9ggml_type11ELi4ELb0ELb0EEvPKvS2_PKi31ggml_cuda_mm_fusion_args_devicePfj15HIP_vector_typeIjLj3EEjjjS8_jjjS8_jjjj.num_vgpr, 53
	.set _ZL13mul_mat_vec_qIL9ggml_type11ELi4ELb0ELb0EEvPKvS2_PKi31ggml_cuda_mm_fusion_args_devicePfj15HIP_vector_typeIjLj3EEjjjS8_jjjS8_jjjj.num_agpr, 0
	.set _ZL13mul_mat_vec_qIL9ggml_type11ELi4ELb0ELb0EEvPKvS2_PKi31ggml_cuda_mm_fusion_args_devicePfj15HIP_vector_typeIjLj3EEjjjS8_jjjS8_jjjj.numbered_sgpr, 26
	.set _ZL13mul_mat_vec_qIL9ggml_type11ELi4ELb0ELb0EEvPKvS2_PKi31ggml_cuda_mm_fusion_args_devicePfj15HIP_vector_typeIjLj3EEjjjS8_jjjS8_jjjj.num_named_barrier, 0
	.set _ZL13mul_mat_vec_qIL9ggml_type11ELi4ELb0ELb0EEvPKvS2_PKi31ggml_cuda_mm_fusion_args_devicePfj15HIP_vector_typeIjLj3EEjjjS8_jjjS8_jjjj.private_seg_size, 0
	.set _ZL13mul_mat_vec_qIL9ggml_type11ELi4ELb0ELb0EEvPKvS2_PKi31ggml_cuda_mm_fusion_args_devicePfj15HIP_vector_typeIjLj3EEjjjS8_jjjS8_jjjj.uses_vcc, 1
	.set _ZL13mul_mat_vec_qIL9ggml_type11ELi4ELb0ELb0EEvPKvS2_PKi31ggml_cuda_mm_fusion_args_devicePfj15HIP_vector_typeIjLj3EEjjjS8_jjjS8_jjjj.uses_flat_scratch, 0
	.set _ZL13mul_mat_vec_qIL9ggml_type11ELi4ELb0ELb0EEvPKvS2_PKi31ggml_cuda_mm_fusion_args_devicePfj15HIP_vector_typeIjLj3EEjjjS8_jjjS8_jjjj.has_dyn_sized_stack, 0
	.set _ZL13mul_mat_vec_qIL9ggml_type11ELi4ELb0ELb0EEvPKvS2_PKi31ggml_cuda_mm_fusion_args_devicePfj15HIP_vector_typeIjLj3EEjjjS8_jjjS8_jjjj.has_recursion, 0
	.set _ZL13mul_mat_vec_qIL9ggml_type11ELi4ELb0ELb0EEvPKvS2_PKi31ggml_cuda_mm_fusion_args_devicePfj15HIP_vector_typeIjLj3EEjjjS8_jjjS8_jjjj.has_indirect_call, 0
	.section	.AMDGPU.csdata,"",@progbits
; Kernel info:
; codeLenInByte = 2876
; TotalNumSgprs: 28
; NumVgprs: 53
; ScratchSize: 0
; MemoryBound: 0
; FloatMode: 240
; IeeeMode: 1
; LDSByteSize: 0 bytes/workgroup (compile time only)
; SGPRBlocks: 0
; VGPRBlocks: 6
; NumSGPRsForWavesPerEU: 28
; NumVGPRsForWavesPerEU: 53
; Occupancy: 16
; WaveLimiterHint : 0
; COMPUTE_PGM_RSRC2:SCRATCH_EN: 0
; COMPUTE_PGM_RSRC2:USER_SGPR: 6
; COMPUTE_PGM_RSRC2:TRAP_HANDLER: 0
; COMPUTE_PGM_RSRC2:TGID_X_EN: 1
; COMPUTE_PGM_RSRC2:TGID_Y_EN: 1
; COMPUTE_PGM_RSRC2:TGID_Z_EN: 1
; COMPUTE_PGM_RSRC2:TIDIG_COMP_CNT: 1
	.section	.text._ZL13mul_mat_vec_qIL9ggml_type11ELi5ELb0ELb0EEvPKvS2_PKi31ggml_cuda_mm_fusion_args_devicePfj15HIP_vector_typeIjLj3EEjjjS8_jjjS8_jjjj,"axG",@progbits,_ZL13mul_mat_vec_qIL9ggml_type11ELi5ELb0ELb0EEvPKvS2_PKi31ggml_cuda_mm_fusion_args_devicePfj15HIP_vector_typeIjLj3EEjjjS8_jjjS8_jjjj,comdat
	.globl	_ZL13mul_mat_vec_qIL9ggml_type11ELi5ELb0ELb0EEvPKvS2_PKi31ggml_cuda_mm_fusion_args_devicePfj15HIP_vector_typeIjLj3EEjjjS8_jjjS8_jjjj ; -- Begin function _ZL13mul_mat_vec_qIL9ggml_type11ELi5ELb0ELb0EEvPKvS2_PKi31ggml_cuda_mm_fusion_args_devicePfj15HIP_vector_typeIjLj3EEjjjS8_jjjS8_jjjj
	.p2align	8
	.type	_ZL13mul_mat_vec_qIL9ggml_type11ELi5ELb0ELb0EEvPKvS2_PKi31ggml_cuda_mm_fusion_args_devicePfj15HIP_vector_typeIjLj3EEjjjS8_jjjS8_jjjj,@function
_ZL13mul_mat_vec_qIL9ggml_type11ELi5ELb0ELb0EEvPKvS2_PKi31ggml_cuda_mm_fusion_args_devicePfj15HIP_vector_typeIjLj3EEjjjS8_jjjS8_jjjj: ; @_ZL13mul_mat_vec_qIL9ggml_type11ELi5ELb0ELb0EEvPKvS2_PKi31ggml_cuda_mm_fusion_args_devicePfj15HIP_vector_typeIjLj3EEjjjS8_jjjS8_jjjj
; %bb.0:
	s_clause 0x5
	s_load_dword s9, s[4:5], 0x40
	s_load_dwordx4 s[0:3], s[4:5], 0x50
	s_load_dword s11, s[4:5], 0x60
	s_load_dwordx4 s[12:15], s[4:5], 0x68
	;; [unrolled: 2-line block ×3, first 2 shown]
	v_lshl_or_b32 v2, v1, 5, v0
	v_mov_b32_e32 v7, 0
	v_mov_b32_e32 v8, 0
	;; [unrolled: 1-line block ×4, first 2 shown]
	v_lshrrev_b32_e32 v11, 4, v2
	v_mov_b32_e32 v10, 0
	s_waitcnt lgkmcnt(0)
	s_lshr_b32 s10, s9, 8
	s_mov_b32 s9, exec_lo
	v_cmpx_gt_u32_e64 s10, v11
	s_cbranch_execz .LBB116_4
; %bb.1:
	s_load_dwordx4 s[20:23], s[4:5], 0x0
	v_and_b32_e32 v6, 8, v0
	v_bfe_u32 v13, v0, 2, 1
	v_bfe_u32 v7, v0, 3, 1
	s_mul_hi_u32 s3, s3, s7
	s_mul_hi_u32 s15, s15, s8
	v_lshrrev_b32_e32 v2, 1, v0
	v_or_b32_e32 v4, v13, v6
	v_mul_hi_u32_u24_e32 v5, 0x90, v7
	s_mul_i32 s17, s17, s8
	s_add_i32 s3, s7, s3
	s_add_i32 s15, s8, s15
	v_or_b32_e32 v8, 4, v4
	v_or_b32_e32 v19, 6, v4
	v_mul_u32_u24_e32 v4, 0x90, v7
	s_mul_i32 s13, s13, s7
	v_lshlrev_b32_e32 v3, 1, v0
	s_mul_hi_u32 s19, s17, 36
	s_mul_i32 s17, s17, 36
	s_lshr_b32 s3, s3, s11
	v_and_b32_e32 v9, 7, v0
	v_mad_u64_u32 v[4:5], null, 0x120, v11, v[4:5]
	s_lshr_b32 s11, s15, s24
	s_mul_hi_u32 s25, s13, 36
	s_mul_i32 s13, s13, 36
	s_mul_i32 s3, s3, s12
	s_waitcnt lgkmcnt(0)
	s_add_u32 s12, s22, s17
	v_and_b32_e32 v14, 4, v2
	v_lshrrev_b32_e32 v15, 1, v6
	v_and_b32_e32 v16, 5, v8
	v_lshrrev_b32_e32 v6, 1, v19
	v_lshrrev_b32_e32 v17, 1, v8
	v_lshlrev_b32_e32 v8, 3, v11
	s_addc_u32 s15, s23, s19
	s_add_u32 s12, s12, s13
	s_addc_u32 s13, s15, s25
	v_and_b32_e32 v12, 30, v3
	v_lshlrev_b32_e32 v26, 1, v9
	v_mad_u64_u32 v[2:3], null, v14, 36, s[12:13]
	v_and_b32_e32 v20, 6, v6
	v_mad_u64_u32 v[6:7], null, s1, 3, v[8:9]
	v_add_co_u32 v4, vcc_lo, s12, v4
	s_mul_i32 s0, s0, s6
	v_mov_b32_e32 v10, 0
	v_and_b32_e32 v18, 7, v19
	v_and_b32_e32 v19, 3, v19
	v_lshlrev_b32_e32 v21, 2, v9
	v_add_co_ci_u32_e64 v5, null, s13, v5, vcc_lo
	v_add_nc_u32_e32 v22, s1, v8
	v_lshl_add_u32 v23, s1, 1, v8
	v_lshl_add_u32 v24, s1, 2, v8
	v_lshlrev_b32_e32 v25, 1, v12
	v_lshlrev_b32_e32 v26, 1, v26
	v_lshlrev_b32_e32 v27, 2, v9
	v_mov_b32_e32 v8, 0
	v_mov_b32_e32 v7, 0
	;; [unrolled: 1-line block ×4, first 2 shown]
	s_mul_i32 s11, s11, s16
	s_add_i32 s3, s3, s0
	s_mov_b32 s0, 0
	s_add_i32 s1, s11, s3
.LBB116_2:                              ; =>This Inner Loop Header: Depth=1
	v_add_nc_u32_e32 v28, s1, v11
	v_mov_b32_e32 v48, 0
	v_add_nc_u32_e32 v11, 2, v11
	v_mad_i64_i32 v[33:34], null, 0x6e, v28, s[20:21]
	v_add_co_u32 v29, vcc_lo, v33, v25
	v_add_co_ci_u32_e64 v30, null, 0, v34, vcc_lo
	s_clause 0x1
	global_load_ushort v28, v[33:34], off offset:108
	global_load_dword v37, v[29:30], off offset:32
	v_add_co_u32 v29, vcc_lo, v33, v26
	v_add_co_ci_u32_e64 v30, null, 0, v34, vcc_lo
	global_load_dword v29, v[29:30], off
	s_waitcnt vmcnt(1)
	v_bfe_u32 v39, v37, 24, 2
	s_waitcnt vmcnt(0)
	v_ashrrev_i32_e32 v29, v14, v29
	v_not_b32_e32 v38, v29
	v_add_co_u32 v29, vcc_lo, v33, v13
	v_add_co_ci_u32_e64 v30, null, 0, v34, vcc_lo
	v_lshlrev_b32_e32 v41, 2, v38
	s_clause 0x1
	global_load_ubyte v31, v[29:30], off offset:96
	global_load_ubyte v35, v[29:30], off offset:104
	v_and_b32_e32 v41, 0x4040404, v41
	v_lshrrev_b32_e32 v43, 24, v41
	v_lshrrev_b16 v44, 8, v41
	v_lshrrev_b32_e32 v42, 16, v41
	v_sub_nc_u16 v39, v39, v43
	v_lshlrev_b16 v39, 8, v39
	s_waitcnt vmcnt(1)
	v_bfe_u32 v31, v31, v15, 4
	s_waitcnt vmcnt(0)
	v_lshrrev_b32_e32 v32, v15, v35
	v_lshlrev_b32_e32 v32, 4, v32
	v_and_or_b32 v31, v32, 48, v31
	v_and_b32_e32 v32, 0x3030303, v37
	v_subrev_nc_u32_e32 v31, 32, v31
	v_lshrrev_b16 v40, 8, v32
	v_lshrrev_b32_e32 v36, 16, v32
	v_sub_nc_u16 v32, v32, v41
	v_lshlrev_b32_e32 v41, 1, v38
	v_sub_nc_u16 v40, v40, v44
	v_sub_nc_u16 v36, v36, v42
	v_and_b32_e32 v41, 0x4040404, v41
	v_lshlrev_b16 v40, 8, v40
	v_or_b32_sdwa v36, v36, v39 dst_sel:WORD_1 dst_unused:UNUSED_PAD src0_sel:BYTE_0 src1_sel:DWORD
	v_lshrrev_b32_e32 v43, 24, v41
	v_lshrrev_b16 v44, 8, v41
	v_or_b32_sdwa v32, v32, v40 dst_sel:DWORD dst_unused:UNUSED_PAD src0_sel:BYTE_0 src1_sel:DWORD
	v_lshrrev_b32_e32 v42, 16, v41
	v_or_b32_sdwa v39, v32, v36 dst_sel:DWORD dst_unused:UNUSED_PAD src0_sel:WORD_0 src1_sel:DWORD
	s_clause 0x1
	global_load_ubyte v32, v[29:30], off offset:98
	global_load_ubyte v29, v[29:30], off offset:106
	s_waitcnt vmcnt(1)
	v_bfe_u32 v32, v32, v15, 4
	s_waitcnt vmcnt(0)
	v_lshrrev_b32_e32 v29, v15, v29
	v_lshlrev_b32_e32 v29, 4, v29
	v_and_or_b32 v29, v29, 48, v32
	v_subrev_nc_u32_e32 v32, 32, v29
	v_lshrrev_b32_e32 v29, 2, v37
	v_and_b32_e32 v30, 0x3030303, v29
	v_bfe_u32 v29, v29, 24, 2
	v_lshrrev_b16 v40, 8, v30
	v_lshrrev_b32_e32 v36, 16, v30
	v_sub_nc_u16 v29, v29, v43
	v_sub_nc_u16 v30, v30, v41
	;; [unrolled: 1-line block ×4, first 2 shown]
	v_lshlrev_b16 v29, 8, v29
	v_and_b32_e32 v42, 0x4040404, v38
	v_lshlrev_b16 v40, 8, v40
	v_or_b32_sdwa v29, v36, v29 dst_sel:WORD_1 dst_unused:UNUSED_PAD src0_sel:BYTE_0 src1_sel:DWORD
	v_lshrrev_b32_e32 v44, 24, v42
	v_lshrrev_b16 v45, 8, v42
	v_or_b32_sdwa v30, v30, v40 dst_sel:DWORD dst_unused:UNUSED_PAD src0_sel:BYTE_0 src1_sel:DWORD
	v_lshrrev_b32_e32 v43, 16, v42
	v_or_b32_sdwa v40, v30, v29 dst_sel:DWORD dst_unused:UNUSED_PAD src0_sel:WORD_0 src1_sel:DWORD
	v_add_co_u32 v29, vcc_lo, v33, v16
	v_add_co_ci_u32_e64 v30, null, 0, v34, vcc_lo
	global_load_ubyte v29, v[29:30], off offset:96
	v_lshrrev_b32_e32 v30, v17, v35
	v_lshlrev_b32_e32 v30, 4, v30
	s_waitcnt vmcnt(0)
	v_bfe_u32 v29, v29, v15, 4
	v_and_or_b32 v29, v30, 48, v29
	v_lshrrev_b32_e32 v30, 4, v37
	v_subrev_nc_u32_e32 v29, 32, v29
	v_and_b32_e32 v35, 0x3030303, v30
	v_bfe_u32 v30, v30, 24, 2
	v_lshrrev_b16 v41, 8, v35
	v_lshrrev_b32_e32 v36, 16, v35
	v_sub_nc_u16 v30, v30, v44
	v_sub_nc_u16 v35, v35, v42
	v_sub_nc_u16 v41, v41, v45
	v_sub_nc_u16 v36, v36, v43
	v_lshlrev_b16 v30, 8, v30
	v_mov_b32_e32 v45, 0
	v_lshlrev_b16 v41, 8, v41
	v_or_b32_sdwa v30, v36, v30 dst_sel:WORD_1 dst_unused:UNUSED_PAD src0_sel:BYTE_0 src1_sel:DWORD
	v_or_b32_sdwa v35, v35, v41 dst_sel:DWORD dst_unused:UNUSED_PAD src0_sel:BYTE_0 src1_sel:DWORD
	v_or_b32_sdwa v41, v35, v30 dst_sel:DWORD dst_unused:UNUSED_PAD src0_sel:WORD_0 src1_sel:DWORD
	v_add_co_u32 v35, vcc_lo, v33, v18
	v_add_co_ci_u32_e64 v36, null, 0, v34, vcc_lo
	v_add_co_u32 v33, vcc_lo, v33, v19
	v_add_co_ci_u32_e64 v34, null, 0, v34, vcc_lo
	s_clause 0x1
	global_load_ubyte v30, v[35:36], off offset:96
	global_load_ubyte v33, v[33:34], off offset:104
	v_lshrrev_b32_e32 v35, 30, v37
	s_waitcnt vmcnt(1)
	v_bfe_u32 v30, v30, v15, 4
	s_waitcnt vmcnt(0)
	v_lshrrev_b32_e32 v33, v20, v33
	v_lshlrev_b32_e32 v33, 4, v33
	v_and_or_b32 v30, v33, 48, v30
	v_lshrrev_b32_e32 v33, 6, v37
	v_lshrrev_b32_e32 v37, 1, v38
	v_subrev_nc_u32_e32 v30, 32, v30
	v_and_b32_e32 v33, 0x3030303, v33
	v_and_b32_e32 v37, 0x4040404, v37
	v_lshrrev_b16 v36, 8, v33
	v_lshrrev_b32_e32 v42, 24, v37
	v_lshrrev_b16 v43, 8, v37
	v_lshrrev_b32_e32 v34, 16, v33
	v_lshrrev_b32_e32 v38, 16, v37
	v_sub_nc_u16 v33, v33, v37
	v_sub_nc_u16 v35, v35, v42
	;; [unrolled: 1-line block ×4, first 2 shown]
	v_lshlrev_b16 v35, 8, v35
	v_lshlrev_b16 v36, 8, v36
	v_or_b32_sdwa v34, v34, v35 dst_sel:WORD_1 dst_unused:UNUSED_PAD src0_sel:BYTE_0 src1_sel:DWORD
	v_or_b32_sdwa v33, v33, v36 dst_sel:DWORD dst_unused:UNUSED_PAD src0_sel:BYTE_0 src1_sel:DWORD
	v_or_b32_sdwa v33, v33, v34 dst_sel:DWORD dst_unused:UNUSED_PAD src0_sel:WORD_0 src1_sel:DWORD
	v_add_co_u32 v34, vcc_lo, v4, v21
	v_add_co_ci_u32_e64 v35, null, 0, v5, vcc_lo
	s_clause 0x7
	global_load_dword v36, v[34:35], off offset:4
	global_load_dword v37, v[4:5], off
	global_load_dword v38, v[34:35], off offset:40
	global_load_dword v42, v[4:5], off offset:36
	;; [unrolled: 1-line block ×6, first 2 shown]
	s_waitcnt vmcnt(7)
	v_dot4c_i32_i8 v45, v39, v36
	v_mul_lo_u32 v36, v31, v45
	v_cvt_f32_i32_e32 v36, v36
	s_waitcnt vmcnt(6)
	v_fma_mix_f32 v36, v37, v36, 0 op_sel_hi:[1,0,0]
	v_mov_b32_e32 v37, 0
	s_waitcnt vmcnt(5)
	v_dot4c_i32_i8 v37, v40, v38
	v_mul_lo_u32 v37, v32, v37
	v_cvt_f32_i32_e32 v37, v37
	s_waitcnt vmcnt(4)
	v_fma_mix_f32 v36, v42, v37, v36 op_sel_hi:[1,0,0]
	v_mov_b32_e32 v37, 0
	;; [unrolled: 7-line block ×3, first 2 shown]
	s_waitcnt vmcnt(1)
	v_dot4c_i32_i8 v37, v33, v34
	v_mul_lo_u32 v34, v30, v37
	v_cvt_f32_i32_e32 v34, v34
	s_waitcnt vmcnt(0)
	v_fma_mix_f32 v34, v35, v34, v36 op_sel_hi:[1,0,0]
	v_fma_mix_f32 v10, v34, v28, v10 op_sel_hi:[0,1,0]
	v_mad_u64_u32 v[34:35], null, v22, 36, v[2:3]
	v_add_nc_u32_e32 v22, 16, v22
	v_add_co_u32 v36, vcc_lo, v34, v27
	v_add_co_ci_u32_e64 v37, null, 0, v35, vcc_lo
	s_clause 0x7
	global_load_dword v38, v[36:37], off offset:4
	global_load_dword v42, v[34:35], off
	global_load_dword v43, v[36:37], off offset:40
	global_load_dword v44, v[34:35], off offset:36
	;; [unrolled: 1-line block ×6, first 2 shown]
	v_mad_u64_u32 v[34:35], null, v23, 36, v[2:3]
	v_add_nc_u32_e32 v23, 16, v23
	s_waitcnt vmcnt(7)
	v_dot4c_i32_i8 v48, v39, v38
	v_mov_b32_e32 v38, 0
	s_waitcnt vmcnt(5)
	v_dot4c_i32_i8 v38, v40, v43
	v_mov_b32_e32 v43, 0
	v_mul_lo_u32 v38, v32, v38
	s_waitcnt vmcnt(3)
	v_dot4c_i32_i8 v43, v41, v45
	v_mov_b32_e32 v45, 0
	s_waitcnt vmcnt(1)
	v_dot4c_i32_i8 v45, v33, v36
	v_add_co_u32 v36, vcc_lo, v34, v27
	v_add_co_ci_u32_e64 v37, null, 0, v35, vcc_lo
	s_clause 0x7
	global_load_dword v49, v[36:37], off offset:4
	global_load_dword v50, v[34:35], off
	global_load_dword v51, v[36:37], off offset:40
	global_load_dword v52, v[34:35], off offset:36
	;; [unrolled: 1-line block ×6, first 2 shown]
	v_mov_b32_e32 v35, 0
	v_mov_b32_e32 v37, 0
	v_cvt_f32_i32_e32 v38, v38
	s_waitcnt vmcnt(7)
	v_dot4c_i32_i8 v35, v39, v49
	v_mov_b32_e32 v49, 0
	s_waitcnt vmcnt(5)
	v_dot4c_i32_i8 v37, v40, v51
	v_mov_b32_e32 v51, 0
	v_mul_lo_u32 v35, v31, v35
	s_waitcnt vmcnt(3)
	v_dot4c_i32_i8 v49, v41, v53
	v_mul_lo_u32 v37, v32, v37
	s_waitcnt vmcnt(1)
	v_dot4c_i32_i8 v51, v33, v36
	v_mul_lo_u32 v36, v31, v48
	v_mov_b32_e32 v48, 0
	v_cvt_f32_i32_e32 v35, v35
	v_cvt_f32_i32_e32 v37, v37
	;; [unrolled: 1-line block ×3, first 2 shown]
	v_fma_mix_f32 v35, v50, v35, 0 op_sel_hi:[1,0,0]
	v_fma_mix_f32 v36, v42, v36, 0 op_sel_hi:[1,0,0]
	;; [unrolled: 1-line block ×3, first 2 shown]
	v_mul_lo_u32 v37, v29, v43
	v_fma_mix_f32 v36, v44, v38, v36 op_sel_hi:[1,0,0]
	v_mul_lo_u32 v38, v29, v49
	v_cvt_f32_i32_e32 v37, v37
	v_cvt_f32_i32_e32 v38, v38
	v_fma_mix_f32 v36, v46, v37, v36 op_sel_hi:[1,0,0]
	v_mul_lo_u32 v37, v30, v51
	v_fma_mix_f32 v35, v54, v38, v35 op_sel_hi:[1,0,0]
	v_mul_lo_u32 v38, v30, v45
	v_cvt_f32_i32_e32 v37, v37
	v_cvt_f32_i32_e32 v38, v38
	s_waitcnt vmcnt(0)
	v_fma_mix_f32 v34, v34, v37, v35 op_sel_hi:[1,0,0]
	v_fma_mix_f32 v35, v47, v38, v36 op_sel_hi:[1,0,0]
	;; [unrolled: 1-line block ×4, first 2 shown]
	v_mad_u64_u32 v[34:35], null, v6, 36, v[2:3]
	v_add_nc_u32_e32 v6, 16, v6
	v_add_co_u32 v36, vcc_lo, v34, v27
	v_add_co_ci_u32_e64 v37, null, 0, v35, vcc_lo
	s_clause 0x7
	global_load_dword v38, v[36:37], off offset:4
	global_load_dword v42, v[34:35], off
	global_load_dword v43, v[36:37], off offset:40
	global_load_dword v44, v[34:35], off offset:36
	;; [unrolled: 1-line block ×6, first 2 shown]
	v_mad_u64_u32 v[34:35], null, v24, 36, v[2:3]
	v_add_nc_u32_e32 v24, 16, v24
	s_waitcnt vmcnt(7)
	v_dot4c_i32_i8 v48, v39, v38
	v_mov_b32_e32 v38, 0
	s_waitcnt vmcnt(5)
	v_dot4c_i32_i8 v38, v40, v43
	v_mov_b32_e32 v43, 0
	;; [unrolled: 3-line block ×3, first 2 shown]
	s_waitcnt vmcnt(1)
	v_dot4c_i32_i8 v45, v33, v36
	v_add_co_u32 v36, vcc_lo, v34, v27
	v_add_co_ci_u32_e64 v37, null, 0, v35, vcc_lo
	s_clause 0x7
	global_load_dword v49, v[36:37], off offset:4
	global_load_dword v50, v[34:35], off
	global_load_dword v51, v[36:37], off offset:40
	global_load_dword v52, v[34:35], off offset:36
	;; [unrolled: 1-line block ×6, first 2 shown]
	v_mov_b32_e32 v37, 0
	v_mov_b32_e32 v35, 0
	v_add_co_u32 v4, vcc_lo, 0x240, v4
	v_add_co_ci_u32_e64 v5, null, 0, v5, vcc_lo
	v_cmp_le_u32_e32 vcc_lo, s10, v11
	s_or_b32 s0, vcc_lo, s0
	s_waitcnt vmcnt(7)
	v_dot4c_i32_i8 v35, v39, v49
	v_mov_b32_e32 v39, 0
	s_waitcnt vmcnt(5)
	v_dot4c_i32_i8 v37, v40, v51
	v_mov_b32_e32 v40, 0
	s_waitcnt vmcnt(3)
	v_dot4c_i32_i8 v39, v41, v53
	s_waitcnt vmcnt(1)
	v_dot4c_i32_i8 v40, v33, v36
	v_mul_lo_u32 v33, v31, v48
	v_mul_lo_u32 v31, v31, v35
	;; [unrolled: 1-line block ×4, first 2 shown]
	v_cvt_f32_i32_e32 v33, v33
	v_cvt_f32_i32_e32 v31, v31
	;; [unrolled: 1-line block ×4, first 2 shown]
	v_fma_mix_f32 v33, v42, v33, 0 op_sel_hi:[1,0,0]
	v_fma_mix_f32 v31, v50, v31, 0 op_sel_hi:[1,0,0]
	;; [unrolled: 1-line block ×3, first 2 shown]
	v_mul_lo_u32 v33, v29, v43
	v_mul_lo_u32 v29, v29, v39
	v_fma_mix_f32 v31, v52, v35, v31 op_sel_hi:[1,0,0]
	v_cvt_f32_i32_e32 v33, v33
	v_cvt_f32_i32_e32 v29, v29
	v_fma_mix_f32 v32, v46, v33, v32 op_sel_hi:[1,0,0]
	v_fma_mix_f32 v29, v54, v29, v31 op_sel_hi:[1,0,0]
	v_mul_lo_u32 v31, v30, v40
	v_mul_lo_u32 v30, v30, v45
	v_cvt_f32_i32_e32 v31, v31
	v_cvt_f32_i32_e32 v30, v30
	s_waitcnt vmcnt(0)
	v_fma_mix_f32 v29, v34, v31, v29 op_sel_hi:[1,0,0]
	v_fma_mix_f32 v30, v47, v30, v32 op_sel_hi:[1,0,0]
	;; [unrolled: 1-line block ×4, first 2 shown]
	s_andn2_b32 exec_lo, exec_lo, s0
	s_cbranch_execnz .LBB116_2
; %bb.3:
	s_or_b32 exec_lo, exec_lo, s0
.LBB116_4:
	s_or_b32 exec_lo, exec_lo, s9
	s_mov_b32 s1, 0
	; wave barrier
	buffer_gl0_inv
	s_mov_b32 s0, exec_lo
	v_cmpx_eq_u32_e32 0, v1
	s_cbranch_execz .LBB116_15
; %bb.5:
	v_mbcnt_lo_u32_b32 v5, -1, 0
	s_load_dwordx2 s[4:5], s[4:5], 0x38
	s_mul_i32 s0, s14, s7
	s_mul_i32 s3, s18, s8
	s_add_i32 s0, s0, s6
	v_xor_b32_e32 v1, 16, v5
	v_xor_b32_e32 v2, 8, v5
	;; [unrolled: 1-line block ×3, first 2 shown]
	s_add_i32 s0, s0, s3
	s_lshl_b64 s[0:1], s[0:1], 2
	v_cmp_gt_i32_e32 vcc_lo, 32, v1
	v_cndmask_b32_e32 v1, v5, v1, vcc_lo
	v_cmp_gt_i32_e32 vcc_lo, 32, v2
	v_lshlrev_b32_e32 v1, 2, v1
	v_cndmask_b32_e32 v2, v5, v2, vcc_lo
	s_waitcnt lgkmcnt(0)
	s_add_u32 s0, s4, s0
	s_addc_u32 s1, s5, s1
	ds_bpermute_b32 v3, v1, v10
	v_lshlrev_b32_e32 v2, 2, v2
	s_waitcnt lgkmcnt(0)
	v_add_f32_e32 v4, v10, v3
	v_xor_b32_e32 v3, 4, v5
	ds_bpermute_b32 v6, v2, v4
	v_cmp_gt_i32_e32 vcc_lo, 32, v3
	v_cndmask_b32_e32 v3, v5, v3, vcc_lo
	v_lshlrev_b32_e32 v3, 2, v3
	s_waitcnt lgkmcnt(0)
	v_add_f32_e32 v6, v4, v6
	v_xor_b32_e32 v4, 2, v5
	ds_bpermute_b32 v10, v3, v6
	v_cmp_gt_i32_e32 vcc_lo, 32, v4
	v_cndmask_b32_e32 v4, v5, v4, vcc_lo
	v_cmp_gt_i32_e32 vcc_lo, 32, v11
	v_lshlrev_b32_e32 v4, 2, v4
	v_cndmask_b32_e32 v5, v5, v11, vcc_lo
	v_cmp_eq_u32_e32 vcc_lo, 0, v0
	v_lshlrev_b32_e32 v5, 2, v5
	s_waitcnt lgkmcnt(0)
	v_add_f32_e32 v6, v6, v10
	ds_bpermute_b32 v10, v4, v6
	s_waitcnt lgkmcnt(0)
	v_add_f32_e32 v6, v6, v10
	ds_bpermute_b32 v10, v5, v6
	s_and_saveexec_b32 s3, vcc_lo
	s_cbranch_execz .LBB116_7
; %bb.6:
	s_waitcnt lgkmcnt(0)
	v_add_f32_e32 v0, v6, v10
	v_mov_b32_e32 v6, 0
	global_store_dword v6, v0, s[0:1]
.LBB116_7:
	s_or_b32 exec_lo, exec_lo, s3
	ds_bpermute_b32 v0, v1, v12
	s_waitcnt lgkmcnt(0)
	v_add_f32_e32 v0, v12, v0
	ds_bpermute_b32 v6, v2, v0
	s_waitcnt lgkmcnt(0)
	v_add_f32_e32 v0, v0, v6
	;; [unrolled: 3-line block ×4, first 2 shown]
	ds_bpermute_b32 v6, v5, v0
	s_and_saveexec_b32 s4, vcc_lo
	s_cbranch_execz .LBB116_9
; %bb.8:
	s_mov_b32 s3, 0
	s_waitcnt lgkmcnt(0)
	v_add_f32_e32 v0, v0, v6
	s_lshl_b64 s[6:7], s[2:3], 2
	v_mov_b32_e32 v6, 0
	s_add_u32 s6, s0, s6
	s_addc_u32 s7, s1, s7
	global_store_dword v6, v0, s[6:7]
.LBB116_9:
	s_or_b32 exec_lo, exec_lo, s4
	ds_bpermute_b32 v0, v1, v9
	s_waitcnt lgkmcnt(0)
	v_add_f32_e32 v0, v9, v0
	ds_bpermute_b32 v6, v2, v0
	s_waitcnt lgkmcnt(0)
	v_add_f32_e32 v0, v0, v6
	;; [unrolled: 3-line block ×4, first 2 shown]
	ds_bpermute_b32 v6, v5, v0
	s_and_saveexec_b32 s3, vcc_lo
	s_cbranch_execz .LBB116_11
; %bb.10:
	s_lshl_b32 s4, s2, 1
	s_mov_b32 s5, 0
	s_waitcnt lgkmcnt(0)
	v_add_f32_e32 v0, v0, v6
	s_lshl_b64 s[4:5], s[4:5], 2
	v_mov_b32_e32 v6, 0
	s_add_u32 s4, s0, s4
	s_addc_u32 s5, s1, s5
	global_store_dword v6, v0, s[4:5]
.LBB116_11:
	s_or_b32 exec_lo, exec_lo, s3
	ds_bpermute_b32 v0, v1, v8
	s_waitcnt lgkmcnt(0)
	v_add_f32_e32 v0, v8, v0
	ds_bpermute_b32 v6, v2, v0
	s_waitcnt lgkmcnt(0)
	v_add_f32_e32 v0, v0, v6
	;; [unrolled: 3-line block ×4, first 2 shown]
	ds_bpermute_b32 v6, v5, v0
	s_and_saveexec_b32 s3, vcc_lo
	s_cbranch_execz .LBB116_13
; %bb.12:
	s_mul_i32 s4, s2, 3
	s_mov_b32 s5, 0
	s_waitcnt lgkmcnt(0)
	v_add_f32_e32 v0, v0, v6
	s_lshl_b64 s[4:5], s[4:5], 2
	v_mov_b32_e32 v6, 0
	s_add_u32 s4, s0, s4
	s_addc_u32 s5, s1, s5
	global_store_dword v6, v0, s[4:5]
.LBB116_13:
	s_or_b32 exec_lo, exec_lo, s3
	ds_bpermute_b32 v0, v1, v7
	s_waitcnt lgkmcnt(0)
	v_add_f32_e32 v0, v7, v0
	ds_bpermute_b32 v1, v2, v0
	s_waitcnt lgkmcnt(0)
	v_add_f32_e32 v0, v0, v1
	;; [unrolled: 3-line block ×4, first 2 shown]
	ds_bpermute_b32 v1, v5, v0
	s_and_b32 exec_lo, exec_lo, vcc_lo
	s_cbranch_execz .LBB116_15
; %bb.14:
	s_lshl_b32 s2, s2, 2
	s_mov_b32 s3, 0
	s_waitcnt lgkmcnt(0)
	v_add_f32_e32 v0, v0, v1
	s_lshl_b64 s[2:3], s[2:3], 2
	v_mov_b32_e32 v1, 0
	s_add_u32 s0, s0, s2
	s_addc_u32 s1, s1, s3
	global_store_dword v1, v0, s[0:1]
.LBB116_15:
	s_endpgm
	.section	.rodata,"a",@progbits
	.p2align	6, 0x0
	.amdhsa_kernel _ZL13mul_mat_vec_qIL9ggml_type11ELi5ELb0ELb0EEvPKvS2_PKi31ggml_cuda_mm_fusion_args_devicePfj15HIP_vector_typeIjLj3EEjjjS8_jjjS8_jjjj
		.amdhsa_group_segment_fixed_size 0
		.amdhsa_private_segment_fixed_size 0
		.amdhsa_kernarg_size 144
		.amdhsa_user_sgpr_count 6
		.amdhsa_user_sgpr_private_segment_buffer 1
		.amdhsa_user_sgpr_dispatch_ptr 0
		.amdhsa_user_sgpr_queue_ptr 0
		.amdhsa_user_sgpr_kernarg_segment_ptr 1
		.amdhsa_user_sgpr_dispatch_id 0
		.amdhsa_user_sgpr_flat_scratch_init 0
		.amdhsa_user_sgpr_private_segment_size 0
		.amdhsa_wavefront_size32 1
		.amdhsa_uses_dynamic_stack 0
		.amdhsa_system_sgpr_private_segment_wavefront_offset 0
		.amdhsa_system_sgpr_workgroup_id_x 1
		.amdhsa_system_sgpr_workgroup_id_y 1
		.amdhsa_system_sgpr_workgroup_id_z 1
		.amdhsa_system_sgpr_workgroup_info 0
		.amdhsa_system_vgpr_workitem_id 1
		.amdhsa_next_free_vgpr 55
		.amdhsa_next_free_sgpr 26
		.amdhsa_reserve_vcc 1
		.amdhsa_reserve_flat_scratch 0
		.amdhsa_float_round_mode_32 0
		.amdhsa_float_round_mode_16_64 0
		.amdhsa_float_denorm_mode_32 3
		.amdhsa_float_denorm_mode_16_64 3
		.amdhsa_dx10_clamp 1
		.amdhsa_ieee_mode 1
		.amdhsa_fp16_overflow 0
		.amdhsa_workgroup_processor_mode 1
		.amdhsa_memory_ordered 1
		.amdhsa_forward_progress 1
		.amdhsa_shared_vgpr_count 0
		.amdhsa_exception_fp_ieee_invalid_op 0
		.amdhsa_exception_fp_denorm_src 0
		.amdhsa_exception_fp_ieee_div_zero 0
		.amdhsa_exception_fp_ieee_overflow 0
		.amdhsa_exception_fp_ieee_underflow 0
		.amdhsa_exception_fp_ieee_inexact 0
		.amdhsa_exception_int_div_zero 0
	.end_amdhsa_kernel
	.section	.text._ZL13mul_mat_vec_qIL9ggml_type11ELi5ELb0ELb0EEvPKvS2_PKi31ggml_cuda_mm_fusion_args_devicePfj15HIP_vector_typeIjLj3EEjjjS8_jjjS8_jjjj,"axG",@progbits,_ZL13mul_mat_vec_qIL9ggml_type11ELi5ELb0ELb0EEvPKvS2_PKi31ggml_cuda_mm_fusion_args_devicePfj15HIP_vector_typeIjLj3EEjjjS8_jjjS8_jjjj,comdat
.Lfunc_end116:
	.size	_ZL13mul_mat_vec_qIL9ggml_type11ELi5ELb0ELb0EEvPKvS2_PKi31ggml_cuda_mm_fusion_args_devicePfj15HIP_vector_typeIjLj3EEjjjS8_jjjS8_jjjj, .Lfunc_end116-_ZL13mul_mat_vec_qIL9ggml_type11ELi5ELb0ELb0EEvPKvS2_PKi31ggml_cuda_mm_fusion_args_devicePfj15HIP_vector_typeIjLj3EEjjjS8_jjjS8_jjjj
                                        ; -- End function
	.set _ZL13mul_mat_vec_qIL9ggml_type11ELi5ELb0ELb0EEvPKvS2_PKi31ggml_cuda_mm_fusion_args_devicePfj15HIP_vector_typeIjLj3EEjjjS8_jjjS8_jjjj.num_vgpr, 55
	.set _ZL13mul_mat_vec_qIL9ggml_type11ELi5ELb0ELb0EEvPKvS2_PKi31ggml_cuda_mm_fusion_args_devicePfj15HIP_vector_typeIjLj3EEjjjS8_jjjS8_jjjj.num_agpr, 0
	.set _ZL13mul_mat_vec_qIL9ggml_type11ELi5ELb0ELb0EEvPKvS2_PKi31ggml_cuda_mm_fusion_args_devicePfj15HIP_vector_typeIjLj3EEjjjS8_jjjS8_jjjj.numbered_sgpr, 26
	.set _ZL13mul_mat_vec_qIL9ggml_type11ELi5ELb0ELb0EEvPKvS2_PKi31ggml_cuda_mm_fusion_args_devicePfj15HIP_vector_typeIjLj3EEjjjS8_jjjS8_jjjj.num_named_barrier, 0
	.set _ZL13mul_mat_vec_qIL9ggml_type11ELi5ELb0ELb0EEvPKvS2_PKi31ggml_cuda_mm_fusion_args_devicePfj15HIP_vector_typeIjLj3EEjjjS8_jjjS8_jjjj.private_seg_size, 0
	.set _ZL13mul_mat_vec_qIL9ggml_type11ELi5ELb0ELb0EEvPKvS2_PKi31ggml_cuda_mm_fusion_args_devicePfj15HIP_vector_typeIjLj3EEjjjS8_jjjS8_jjjj.uses_vcc, 1
	.set _ZL13mul_mat_vec_qIL9ggml_type11ELi5ELb0ELb0EEvPKvS2_PKi31ggml_cuda_mm_fusion_args_devicePfj15HIP_vector_typeIjLj3EEjjjS8_jjjS8_jjjj.uses_flat_scratch, 0
	.set _ZL13mul_mat_vec_qIL9ggml_type11ELi5ELb0ELb0EEvPKvS2_PKi31ggml_cuda_mm_fusion_args_devicePfj15HIP_vector_typeIjLj3EEjjjS8_jjjS8_jjjj.has_dyn_sized_stack, 0
	.set _ZL13mul_mat_vec_qIL9ggml_type11ELi5ELb0ELb0EEvPKvS2_PKi31ggml_cuda_mm_fusion_args_devicePfj15HIP_vector_typeIjLj3EEjjjS8_jjjS8_jjjj.has_recursion, 0
	.set _ZL13mul_mat_vec_qIL9ggml_type11ELi5ELb0ELb0EEvPKvS2_PKi31ggml_cuda_mm_fusion_args_devicePfj15HIP_vector_typeIjLj3EEjjjS8_jjjS8_jjjj.has_indirect_call, 0
	.section	.AMDGPU.csdata,"",@progbits
; Kernel info:
; codeLenInByte = 3264
; TotalNumSgprs: 28
; NumVgprs: 55
; ScratchSize: 0
; MemoryBound: 0
; FloatMode: 240
; IeeeMode: 1
; LDSByteSize: 0 bytes/workgroup (compile time only)
; SGPRBlocks: 0
; VGPRBlocks: 6
; NumSGPRsForWavesPerEU: 28
; NumVGPRsForWavesPerEU: 55
; Occupancy: 16
; WaveLimiterHint : 0
; COMPUTE_PGM_RSRC2:SCRATCH_EN: 0
; COMPUTE_PGM_RSRC2:USER_SGPR: 6
; COMPUTE_PGM_RSRC2:TRAP_HANDLER: 0
; COMPUTE_PGM_RSRC2:TGID_X_EN: 1
; COMPUTE_PGM_RSRC2:TGID_Y_EN: 1
; COMPUTE_PGM_RSRC2:TGID_Z_EN: 1
; COMPUTE_PGM_RSRC2:TIDIG_COMP_CNT: 1
	.section	.text._ZL13mul_mat_vec_qIL9ggml_type11ELi6ELb0ELb0EEvPKvS2_PKi31ggml_cuda_mm_fusion_args_devicePfj15HIP_vector_typeIjLj3EEjjjS8_jjjS8_jjjj,"axG",@progbits,_ZL13mul_mat_vec_qIL9ggml_type11ELi6ELb0ELb0EEvPKvS2_PKi31ggml_cuda_mm_fusion_args_devicePfj15HIP_vector_typeIjLj3EEjjjS8_jjjS8_jjjj,comdat
	.globl	_ZL13mul_mat_vec_qIL9ggml_type11ELi6ELb0ELb0EEvPKvS2_PKi31ggml_cuda_mm_fusion_args_devicePfj15HIP_vector_typeIjLj3EEjjjS8_jjjS8_jjjj ; -- Begin function _ZL13mul_mat_vec_qIL9ggml_type11ELi6ELb0ELb0EEvPKvS2_PKi31ggml_cuda_mm_fusion_args_devicePfj15HIP_vector_typeIjLj3EEjjjS8_jjjS8_jjjj
	.p2align	8
	.type	_ZL13mul_mat_vec_qIL9ggml_type11ELi6ELb0ELb0EEvPKvS2_PKi31ggml_cuda_mm_fusion_args_devicePfj15HIP_vector_typeIjLj3EEjjjS8_jjjS8_jjjj,@function
_ZL13mul_mat_vec_qIL9ggml_type11ELi6ELb0ELb0EEvPKvS2_PKi31ggml_cuda_mm_fusion_args_devicePfj15HIP_vector_typeIjLj3EEjjjS8_jjjS8_jjjj: ; @_ZL13mul_mat_vec_qIL9ggml_type11ELi6ELb0ELb0EEvPKvS2_PKi31ggml_cuda_mm_fusion_args_devicePfj15HIP_vector_typeIjLj3EEjjjS8_jjjS8_jjjj
; %bb.0:
	s_clause 0x5
	s_load_dword s9, s[4:5], 0x40
	s_load_dwordx4 s[0:3], s[4:5], 0x50
	s_load_dword s11, s[4:5], 0x60
	s_load_dwordx4 s[12:15], s[4:5], 0x68
	;; [unrolled: 2-line block ×3, first 2 shown]
	v_lshl_or_b32 v2, v1, 5, v0
	v_mov_b32_e32 v8, 0
	v_mov_b32_e32 v9, 0
	;; [unrolled: 1-line block ×4, first 2 shown]
	v_lshrrev_b32_e32 v12, 4, v2
	v_mov_b32_e32 v13, 0
	v_mov_b32_e32 v14, 0
	s_waitcnt lgkmcnt(0)
	s_lshr_b32 s10, s9, 8
	s_mov_b32 s9, exec_lo
	v_cmpx_gt_u32_e64 s10, v12
	s_cbranch_execz .LBB117_4
; %bb.1:
	s_load_dwordx4 s[20:23], s[4:5], 0x0
	v_and_b32_e32 v6, 8, v0
	v_bfe_u32 v15, v0, 2, 1
	v_bfe_u32 v7, v0, 3, 1
	s_mul_hi_u32 s3, s3, s7
	s_mul_hi_u32 s15, s15, s8
	v_lshrrev_b32_e32 v2, 1, v0
	v_or_b32_e32 v4, v15, v6
	v_mul_hi_u32_u24_e32 v5, 0x90, v7
	s_mul_i32 s17, s17, s8
	s_add_i32 s3, s7, s3
	s_add_i32 s15, s8, s15
	v_or_b32_e32 v8, 4, v4
	v_or_b32_e32 v14, 6, v4
	v_mul_u32_u24_e32 v4, 0x90, v7
	s_mul_i32 s13, s13, s7
	v_lshlrev_b32_e32 v3, 1, v0
	s_mul_hi_u32 s19, s17, 36
	s_mul_i32 s17, s17, 36
	s_lshr_b32 s3, s3, s11
	v_and_b32_e32 v10, 7, v0
	v_mad_u64_u32 v[4:5], null, 0x120, v12, v[4:5]
	s_lshr_b32 s11, s15, s24
	v_mov_b32_e32 v9, 0
	v_lshrrev_b32_e32 v17, 1, v6
	v_and_b32_e32 v18, 5, v8
	v_lshrrev_b32_e32 v6, 1, v14
	v_lshrrev_b32_e32 v19, 1, v8
	v_lshlrev_b32_e32 v8, 3, v12
	s_mul_hi_u32 s25, s13, 36
	s_mul_i32 s13, s13, 36
	s_mul_i32 s3, s3, s12
	s_waitcnt lgkmcnt(0)
	s_add_u32 s12, s22, s17
	v_and_b32_e32 v16, 4, v2
	s_addc_u32 s15, s23, s19
	s_add_u32 s12, s12, s13
	s_addc_u32 s13, s15, s25
	v_and_b32_e32 v11, 30, v3
	v_lshlrev_b32_e32 v13, 1, v10
	v_and_b32_e32 v22, 6, v6
	v_mad_u64_u32 v[6:7], null, s1, 3, v[8:9]
	v_mad_u64_u32 v[2:3], null, v16, 36, s[12:13]
	v_add_nc_u32_e32 v24, s1, v8
	v_lshl_add_u32 v25, s1, 1, v8
	v_lshl_add_u32 v26, s1, 2, v8
	v_mad_u64_u32 v[7:8], null, s1, 5, v[8:9]
	v_add_co_u32 v4, vcc_lo, s12, v4
	s_mul_i32 s0, s0, s6
	v_and_b32_e32 v20, 7, v14
	v_and_b32_e32 v21, 3, v14
	v_lshlrev_b32_e32 v23, 2, v10
	v_add_co_ci_u32_e64 v5, null, s13, v5, vcc_lo
	v_lshlrev_b32_e32 v27, 1, v11
	v_lshlrev_b32_e32 v28, 1, v13
	;; [unrolled: 1-line block ×3, first 2 shown]
	v_mov_b32_e32 v8, 0
	v_mov_b32_e32 v11, 0
	;; [unrolled: 1-line block ×5, first 2 shown]
	s_mul_i32 s11, s11, s16
	s_add_i32 s3, s3, s0
	s_mov_b32 s0, 0
	s_add_i32 s1, s11, s3
.LBB117_2:                              ; =>This Inner Loop Header: Depth=1
	v_add_nc_u32_e32 v30, s1, v12
	v_mov_b32_e32 v50, 0
	v_mov_b32_e32 v48, 0
	;; [unrolled: 1-line block ×3, first 2 shown]
	v_add_nc_u32_e32 v12, 2, v12
	v_mad_i64_i32 v[34:35], null, 0x6e, v30, s[20:21]
	v_add_co_u32 v31, vcc_lo, v34, v27
	v_add_co_ci_u32_e64 v32, null, 0, v35, vcc_lo
	s_clause 0x1
	global_load_ushort v30, v[34:35], off offset:108
	global_load_dword v41, v[31:32], off offset:32
	v_add_co_u32 v31, vcc_lo, v34, v28
	v_add_co_ci_u32_e64 v32, null, 0, v35, vcc_lo
	global_load_dword v31, v[31:32], off
	v_add_co_u32 v32, vcc_lo, v34, v15
	v_add_co_ci_u32_e64 v33, null, 0, v35, vcc_lo
	global_load_ubyte v40, v[32:33], off offset:104
	s_waitcnt vmcnt(2)
	v_bfe_u32 v38, v41, 24, 2
	s_waitcnt vmcnt(1)
	v_ashrrev_i32_e32 v31, v16, v31
	v_not_b32_e32 v42, v31
	global_load_ubyte v31, v[32:33], off offset:96
	s_waitcnt vmcnt(1)
	v_lshrrev_b32_e32 v36, v17, v40
	v_lshlrev_b32_e32 v43, 2, v42
	v_lshlrev_b32_e32 v36, 4, v36
	v_and_b32_e32 v43, 0x4040404, v43
	v_lshrrev_b32_e32 v45, 24, v43
	v_lshrrev_b16 v46, 8, v43
	v_lshrrev_b32_e32 v44, 16, v43
	v_sub_nc_u16 v38, v38, v45
	v_lshlrev_b16 v38, 8, v38
	s_waitcnt vmcnt(0)
	v_bfe_u32 v31, v31, v17, 4
	v_and_or_b32 v31, v36, 48, v31
	v_and_b32_e32 v36, 0x3030303, v41
	v_subrev_nc_u32_e32 v31, 32, v31
	v_lshrrev_b16 v39, 8, v36
	v_lshrrev_b32_e32 v37, 16, v36
	v_sub_nc_u16 v36, v36, v43
	v_lshlrev_b32_e32 v43, 1, v42
	v_sub_nc_u16 v39, v39, v46
	v_sub_nc_u16 v37, v37, v44
	v_and_b32_e32 v43, 0x4040404, v43
	v_lshlrev_b16 v39, 8, v39
	v_or_b32_sdwa v37, v37, v38 dst_sel:WORD_1 dst_unused:UNUSED_PAD src0_sel:BYTE_0 src1_sel:DWORD
	v_lshrrev_b32_e32 v45, 24, v43
	v_lshrrev_b16 v46, 8, v43
	v_lshrrev_b32_e32 v44, 16, v43
	v_or_b32_sdwa v36, v36, v39 dst_sel:DWORD dst_unused:UNUSED_PAD src0_sel:BYTE_0 src1_sel:DWORD
	v_or_b32_sdwa v36, v36, v37 dst_sel:DWORD dst_unused:UNUSED_PAD src0_sel:WORD_0 src1_sel:DWORD
	s_clause 0x1
	global_load_ubyte v37, v[32:33], off offset:98
	global_load_ubyte v32, v[32:33], off offset:106
	s_waitcnt vmcnt(1)
	v_bfe_u32 v37, v37, v17, 4
	s_waitcnt vmcnt(0)
	v_lshrrev_b32_e32 v32, v17, v32
	v_lshlrev_b32_e32 v32, 4, v32
	v_and_or_b32 v32, v32, 48, v37
	v_subrev_nc_u32_e32 v33, 32, v32
	v_lshrrev_b32_e32 v32, 2, v41
	v_and_b32_e32 v37, 0x3030303, v32
	v_bfe_u32 v32, v32, 24, 2
	v_lshrrev_b16 v39, 8, v37
	v_lshrrev_b32_e32 v38, 16, v37
	v_sub_nc_u16 v32, v32, v45
	v_sub_nc_u16 v37, v37, v43
	v_sub_nc_u16 v39, v39, v46
	v_sub_nc_u16 v38, v38, v44
	v_lshlrev_b16 v32, 8, v32
	v_and_b32_e32 v44, 0x4040404, v42
	v_lshrrev_b32_e32 v42, 1, v42
	v_lshlrev_b16 v39, 8, v39
	v_or_b32_sdwa v32, v38, v32 dst_sel:WORD_1 dst_unused:UNUSED_PAD src0_sel:BYTE_0 src1_sel:DWORD
	v_add_co_u32 v38, vcc_lo, v34, v18
	v_or_b32_sdwa v37, v37, v39 dst_sel:DWORD dst_unused:UNUSED_PAD src0_sel:BYTE_0 src1_sel:DWORD
	v_add_co_ci_u32_e64 v39, null, 0, v35, vcc_lo
	v_lshrrev_b32_e32 v46, 24, v44
	v_lshrrev_b16 v47, 8, v44
	v_or_b32_sdwa v37, v37, v32 dst_sel:DWORD dst_unused:UNUSED_PAD src0_sel:WORD_0 src1_sel:DWORD
	global_load_ubyte v32, v[38:39], off offset:96
	v_lshrrev_b32_e32 v38, v19, v40
	v_lshrrev_b32_e32 v45, 16, v44
	v_and_b32_e32 v42, 0x4040404, v42
	v_lshlrev_b32_e32 v38, 4, v38
	s_waitcnt vmcnt(0)
	v_bfe_u32 v32, v32, v17, 4
	v_and_or_b32 v32, v38, 48, v32
	v_lshrrev_b32_e32 v38, 4, v41
	v_subrev_nc_u32_e32 v32, 32, v32
	v_and_b32_e32 v39, 0x3030303, v38
	v_bfe_u32 v38, v38, 24, 2
	v_lshrrev_b16 v43, 8, v39
	v_lshrrev_b32_e32 v40, 16, v39
	v_sub_nc_u16 v38, v38, v46
	v_sub_nc_u16 v39, v39, v44
	v_lshrrev_b32_e32 v44, 24, v42
	v_sub_nc_u16 v43, v43, v47
	v_sub_nc_u16 v40, v40, v45
	v_lshlrev_b16 v38, 8, v38
	v_lshrrev_b16 v45, 8, v42
	v_lshlrev_b16 v43, 8, v43
	v_or_b32_sdwa v38, v40, v38 dst_sel:WORD_1 dst_unused:UNUSED_PAD src0_sel:BYTE_0 src1_sel:DWORD
	v_or_b32_sdwa v39, v39, v43 dst_sel:DWORD dst_unused:UNUSED_PAD src0_sel:BYTE_0 src1_sel:DWORD
	v_lshrrev_b32_e32 v43, 16, v42
	v_or_b32_sdwa v38, v39, v38 dst_sel:DWORD dst_unused:UNUSED_PAD src0_sel:WORD_0 src1_sel:DWORD
	v_add_co_u32 v39, vcc_lo, v34, v20
	v_add_co_ci_u32_e64 v40, null, 0, v35, vcc_lo
	v_add_co_u32 v34, vcc_lo, v34, v21
	v_add_co_ci_u32_e64 v35, null, 0, v35, vcc_lo
	s_clause 0x1
	global_load_ubyte v39, v[39:40], off offset:96
	global_load_ubyte v34, v[34:35], off offset:104
	v_lshrrev_b32_e32 v35, 6, v41
	v_lshrrev_b32_e32 v40, 30, v41
	v_and_b32_e32 v35, 0x3030303, v35
	v_sub_nc_u16 v40, v40, v44
	v_lshrrev_b16 v41, 8, v35
	v_lshlrev_b16 v40, 8, v40
	v_sub_nc_u16 v41, v41, v45
	v_lshlrev_b16 v41, 8, v41
	s_waitcnt vmcnt(1)
	v_bfe_u32 v39, v39, v17, 4
	s_waitcnt vmcnt(0)
	v_lshrrev_b32_e32 v34, v22, v34
	v_lshlrev_b32_e32 v34, 4, v34
	v_and_or_b32 v34, v34, 48, v39
	v_lshrrev_b32_e32 v39, 16, v35
	v_sub_nc_u16 v35, v35, v42
	v_subrev_nc_u32_e32 v34, 32, v34
	v_sub_nc_u16 v39, v39, v43
	v_or_b32_sdwa v35, v35, v41 dst_sel:DWORD dst_unused:UNUSED_PAD src0_sel:BYTE_0 src1_sel:DWORD
	v_or_b32_sdwa v39, v39, v40 dst_sel:WORD_1 dst_unused:UNUSED_PAD src0_sel:BYTE_0 src1_sel:DWORD
	v_or_b32_sdwa v35, v35, v39 dst_sel:DWORD dst_unused:UNUSED_PAD src0_sel:WORD_0 src1_sel:DWORD
	v_add_co_u32 v39, vcc_lo, v4, v23
	v_add_co_ci_u32_e64 v40, null, 0, v5, vcc_lo
	s_clause 0x7
	global_load_dword v41, v[39:40], off offset:4
	global_load_dword v43, v[4:5], off
	global_load_dword v42, v[39:40], off offset:40
	global_load_dword v44, v[4:5], off offset:36
	;; [unrolled: 1-line block ×6, first 2 shown]
	s_waitcnt vmcnt(7)
	v_dot4c_i32_i8 v48, v36, v41
	s_waitcnt vmcnt(5)
	v_dot4c_i32_i8 v49, v37, v42
	;; [unrolled: 2-line block ×3, first 2 shown]
	v_mov_b32_e32 v45, 0
	s_waitcnt vmcnt(1)
	v_dot4c_i32_i8 v45, v35, v39
	v_mad_u64_u32 v[39:40], null, v24, 36, v[2:3]
	v_add_nc_u32_e32 v24, 16, v24
	v_add_co_u32 v41, vcc_lo, v39, v29
	v_add_co_ci_u32_e64 v42, null, 0, v40, vcc_lo
	s_clause 0x7
	global_load_dword v51, v[41:42], off offset:4
	global_load_dword v52, v[39:40], off
	global_load_dword v53, v[41:42], off offset:40
	global_load_dword v54, v[39:40], off offset:36
	;; [unrolled: 1-line block ×6, first 2 shown]
	v_mov_b32_e32 v42, 0
	v_mov_b32_e32 v40, 0
	s_waitcnt vmcnt(7)
	v_dot4c_i32_i8 v40, v36, v51
	v_mov_b32_e32 v51, 0
	s_waitcnt vmcnt(5)
	v_dot4c_i32_i8 v42, v37, v53
	v_mov_b32_e32 v53, 0
	v_mul_lo_u32 v40, v31, v40
	s_waitcnt vmcnt(3)
	v_dot4c_i32_i8 v51, v38, v55
	v_mul_lo_u32 v42, v33, v42
	s_waitcnt vmcnt(1)
	v_dot4c_i32_i8 v53, v35, v41
	v_mul_lo_u32 v41, v31, v48
	v_cvt_f32_i32_e32 v40, v40
	v_cvt_f32_i32_e32 v42, v42
	;; [unrolled: 1-line block ×3, first 2 shown]
	v_fma_mix_f32 v40, v52, v40, 0 op_sel_hi:[1,0,0]
	v_fma_mix_f32 v41, v43, v41, 0 op_sel_hi:[1,0,0]
	v_mul_lo_u32 v43, v33, v49
	v_fma_mix_f32 v40, v54, v42, v40 op_sel_hi:[1,0,0]
	v_mul_lo_u32 v42, v32, v50
	v_mov_b32_e32 v50, 0
	v_cvt_f32_i32_e32 v43, v43
	v_cvt_f32_i32_e32 v42, v42
	v_fma_mix_f32 v41, v44, v43, v41 op_sel_hi:[1,0,0]
	v_mul_lo_u32 v43, v32, v51
	v_fma_mix_f32 v41, v46, v42, v41 op_sel_hi:[1,0,0]
	v_mul_lo_u32 v42, v34, v53
	v_cvt_f32_i32_e32 v43, v43
	v_fma_mix_f32 v40, v56, v43, v40 op_sel_hi:[1,0,0]
	v_mul_lo_u32 v43, v34, v45
	v_cvt_f32_i32_e32 v42, v42
	s_waitcnt vmcnt(0)
	v_fma_mix_f32 v39, v39, v42, v40 op_sel_hi:[1,0,0]
	v_cvt_f32_i32_e32 v43, v43
	v_fma_mix_f32 v13, v39, v30, v13 op_sel_hi:[0,1,0]
	v_fma_mix_f32 v40, v47, v43, v41 op_sel_hi:[1,0,0]
	;; [unrolled: 1-line block ×3, first 2 shown]
	v_mad_u64_u32 v[39:40], null, v25, 36, v[2:3]
	v_add_nc_u32_e32 v25, 16, v25
	v_add_co_u32 v41, vcc_lo, v39, v29
	v_add_co_ci_u32_e64 v42, null, 0, v40, vcc_lo
	s_clause 0x7
	global_load_dword v43, v[41:42], off offset:4
	global_load_dword v44, v[39:40], off
	global_load_dword v45, v[41:42], off offset:40
	global_load_dword v46, v[39:40], off offset:36
	;; [unrolled: 1-line block ×6, first 2 shown]
	v_mad_u64_u32 v[39:40], null, v6, 36, v[2:3]
	v_add_nc_u32_e32 v6, 16, v6
	s_waitcnt vmcnt(7)
	v_dot4c_i32_i8 v50, v36, v43
	v_mov_b32_e32 v43, 0
	s_waitcnt vmcnt(5)
	v_dot4c_i32_i8 v43, v37, v45
	v_mov_b32_e32 v45, 0
	v_mul_lo_u32 v43, v33, v43
	s_waitcnt vmcnt(3)
	v_dot4c_i32_i8 v45, v38, v47
	v_mov_b32_e32 v47, 0
	s_waitcnt vmcnt(1)
	v_dot4c_i32_i8 v47, v35, v41
	v_add_co_u32 v41, vcc_lo, v39, v29
	v_add_co_ci_u32_e64 v42, null, 0, v40, vcc_lo
	s_clause 0x7
	global_load_dword v51, v[41:42], off offset:4
	global_load_dword v52, v[39:40], off
	global_load_dword v53, v[41:42], off offset:40
	global_load_dword v54, v[39:40], off offset:36
	;; [unrolled: 1-line block ×6, first 2 shown]
	v_mov_b32_e32 v40, 0
	v_mov_b32_e32 v42, 0
	v_cvt_f32_i32_e32 v43, v43
	s_waitcnt vmcnt(7)
	v_dot4c_i32_i8 v40, v36, v51
	v_mov_b32_e32 v51, 0
	s_waitcnt vmcnt(5)
	v_dot4c_i32_i8 v42, v37, v53
	v_mov_b32_e32 v53, 0
	v_mul_lo_u32 v40, v31, v40
	s_waitcnt vmcnt(3)
	v_dot4c_i32_i8 v51, v38, v55
	v_mul_lo_u32 v42, v33, v42
	s_waitcnt vmcnt(1)
	v_dot4c_i32_i8 v53, v35, v41
	v_mul_lo_u32 v41, v31, v50
	v_mov_b32_e32 v50, 0
	v_cvt_f32_i32_e32 v40, v40
	v_cvt_f32_i32_e32 v42, v42
	;; [unrolled: 1-line block ×3, first 2 shown]
	v_fma_mix_f32 v40, v52, v40, 0 op_sel_hi:[1,0,0]
	v_fma_mix_f32 v41, v44, v41, 0 op_sel_hi:[1,0,0]
	;; [unrolled: 1-line block ×3, first 2 shown]
	v_mul_lo_u32 v42, v32, v45
	v_fma_mix_f32 v41, v46, v43, v41 op_sel_hi:[1,0,0]
	v_mul_lo_u32 v43, v32, v51
	v_cvt_f32_i32_e32 v42, v42
	v_cvt_f32_i32_e32 v43, v43
	v_fma_mix_f32 v41, v48, v42, v41 op_sel_hi:[1,0,0]
	v_mul_lo_u32 v42, v34, v53
	v_fma_mix_f32 v40, v56, v43, v40 op_sel_hi:[1,0,0]
	v_mul_lo_u32 v43, v34, v47
	v_cvt_f32_i32_e32 v42, v42
	v_cvt_f32_i32_e32 v43, v43
	s_waitcnt vmcnt(0)
	v_fma_mix_f32 v39, v39, v42, v40 op_sel_hi:[1,0,0]
	v_fma_mix_f32 v40, v49, v43, v41 op_sel_hi:[1,0,0]
	;; [unrolled: 1-line block ×4, first 2 shown]
	v_mad_u64_u32 v[39:40], null, v26, 36, v[2:3]
	v_add_nc_u32_e32 v26, 16, v26
	v_add_co_u32 v41, vcc_lo, v39, v29
	v_add_co_ci_u32_e64 v42, null, 0, v40, vcc_lo
	s_clause 0x7
	global_load_dword v43, v[41:42], off offset:4
	global_load_dword v44, v[39:40], off
	global_load_dword v45, v[41:42], off offset:40
	global_load_dword v46, v[39:40], off offset:36
	;; [unrolled: 1-line block ×6, first 2 shown]
	v_mad_u64_u32 v[39:40], null, v7, 36, v[2:3]
	v_add_nc_u32_e32 v7, 16, v7
	s_waitcnt vmcnt(7)
	v_dot4c_i32_i8 v50, v36, v43
	v_mov_b32_e32 v43, 0
	s_waitcnt vmcnt(5)
	v_dot4c_i32_i8 v43, v37, v45
	v_mov_b32_e32 v45, 0
	;; [unrolled: 3-line block ×3, first 2 shown]
	s_waitcnt vmcnt(1)
	v_dot4c_i32_i8 v47, v35, v41
	v_add_co_u32 v41, vcc_lo, v39, v29
	v_add_co_ci_u32_e64 v42, null, 0, v40, vcc_lo
	s_clause 0x7
	global_load_dword v51, v[41:42], off offset:4
	global_load_dword v52, v[39:40], off
	global_load_dword v53, v[41:42], off offset:40
	global_load_dword v54, v[39:40], off offset:36
	;; [unrolled: 1-line block ×6, first 2 shown]
	v_mov_b32_e32 v40, 0
	v_add_co_u32 v4, vcc_lo, 0x240, v4
	v_add_co_ci_u32_e64 v5, null, 0, v5, vcc_lo
	v_cmp_le_u32_e32 vcc_lo, s10, v12
	s_or_b32 s0, vcc_lo, s0
	s_waitcnt vmcnt(7)
	v_dot4c_i32_i8 v40, v36, v51
	v_mov_b32_e32 v36, 0
	s_waitcnt vmcnt(5)
	v_dot4c_i32_i8 v36, v37, v53
	v_mov_b32_e32 v37, 0
	v_mul_lo_u32 v36, v33, v36
	s_waitcnt vmcnt(3)
	v_dot4c_i32_i8 v37, v38, v55
	v_mov_b32_e32 v38, 0
	v_mul_lo_u32 v33, v33, v43
	s_waitcnt vmcnt(1)
	v_dot4c_i32_i8 v38, v35, v41
	v_mul_lo_u32 v35, v31, v50
	v_mul_lo_u32 v31, v31, v40
	v_cvt_f32_i32_e32 v36, v36
	v_cvt_f32_i32_e32 v33, v33
	;; [unrolled: 1-line block ×4, first 2 shown]
	v_fma_mix_f32 v35, v44, v35, 0 op_sel_hi:[1,0,0]
	v_fma_mix_f32 v31, v52, v31, 0 op_sel_hi:[1,0,0]
	;; [unrolled: 1-line block ×3, first 2 shown]
	v_mul_lo_u32 v35, v32, v45
	v_mul_lo_u32 v32, v32, v37
	v_fma_mix_f32 v31, v54, v36, v31 op_sel_hi:[1,0,0]
	v_cvt_f32_i32_e32 v35, v35
	v_cvt_f32_i32_e32 v32, v32
	v_fma_mix_f32 v33, v48, v35, v33 op_sel_hi:[1,0,0]
	v_fma_mix_f32 v31, v56, v32, v31 op_sel_hi:[1,0,0]
	v_mul_lo_u32 v32, v34, v38
	v_mul_lo_u32 v34, v34, v47
	v_cvt_f32_i32_e32 v32, v32
	v_cvt_f32_i32_e32 v34, v34
	s_waitcnt vmcnt(0)
	v_fma_mix_f32 v31, v39, v32, v31 op_sel_hi:[1,0,0]
	v_fma_mix_f32 v32, v49, v34, v33 op_sel_hi:[1,0,0]
	;; [unrolled: 1-line block ×4, first 2 shown]
	s_andn2_b32 exec_lo, exec_lo, s0
	s_cbranch_execnz .LBB117_2
; %bb.3:
	s_or_b32 exec_lo, exec_lo, s0
.LBB117_4:
	s_or_b32 exec_lo, exec_lo, s9
	s_mov_b32 s1, 0
	; wave barrier
	buffer_gl0_inv
	s_mov_b32 s0, exec_lo
	v_cmpx_eq_u32_e32 0, v1
	s_cbranch_execz .LBB117_17
; %bb.5:
	v_mbcnt_lo_u32_b32 v5, -1, 0
	s_load_dwordx2 s[4:5], s[4:5], 0x38
	s_mul_i32 s0, s14, s7
	s_mul_i32 s3, s18, s8
	s_add_i32 s0, s0, s6
	v_xor_b32_e32 v1, 16, v5
	v_xor_b32_e32 v2, 8, v5
	;; [unrolled: 1-line block ×3, first 2 shown]
	s_add_i32 s0, s0, s3
	s_lshl_b64 s[0:1], s[0:1], 2
	v_cmp_gt_i32_e32 vcc_lo, 32, v1
	v_cndmask_b32_e32 v1, v5, v1, vcc_lo
	v_cmp_gt_i32_e32 vcc_lo, 32, v2
	v_lshlrev_b32_e32 v1, 2, v1
	v_cndmask_b32_e32 v2, v5, v2, vcc_lo
	s_waitcnt lgkmcnt(0)
	s_add_u32 s0, s4, s0
	s_addc_u32 s1, s5, s1
	ds_bpermute_b32 v3, v1, v14
	v_lshlrev_b32_e32 v2, 2, v2
	s_waitcnt lgkmcnt(0)
	v_add_f32_e32 v4, v14, v3
	v_xor_b32_e32 v3, 4, v5
	ds_bpermute_b32 v6, v2, v4
	v_cmp_gt_i32_e32 vcc_lo, 32, v3
	v_cndmask_b32_e32 v3, v5, v3, vcc_lo
	v_lshlrev_b32_e32 v3, 2, v3
	s_waitcnt lgkmcnt(0)
	v_add_f32_e32 v6, v4, v6
	v_xor_b32_e32 v4, 2, v5
	ds_bpermute_b32 v7, v3, v6
	v_cmp_gt_i32_e32 vcc_lo, 32, v4
	v_cndmask_b32_e32 v4, v5, v4, vcc_lo
	v_cmp_gt_i32_e32 vcc_lo, 32, v12
	v_lshlrev_b32_e32 v4, 2, v4
	v_cndmask_b32_e32 v5, v5, v12, vcc_lo
	v_cmp_eq_u32_e32 vcc_lo, 0, v0
	v_lshlrev_b32_e32 v5, 2, v5
	s_waitcnt lgkmcnt(0)
	v_add_f32_e32 v6, v6, v7
	ds_bpermute_b32 v7, v4, v6
	s_waitcnt lgkmcnt(0)
	v_add_f32_e32 v6, v6, v7
	ds_bpermute_b32 v7, v5, v6
	s_and_saveexec_b32 s3, vcc_lo
	s_cbranch_execz .LBB117_7
; %bb.6:
	s_waitcnt lgkmcnt(0)
	v_add_f32_e32 v0, v6, v7
	v_mov_b32_e32 v6, 0
	global_store_dword v6, v0, s[0:1]
.LBB117_7:
	s_or_b32 exec_lo, exec_lo, s3
	ds_bpermute_b32 v0, v1, v13
	s_waitcnt lgkmcnt(0)
	v_add_f32_e32 v0, v13, v0
	ds_bpermute_b32 v6, v2, v0
	s_waitcnt lgkmcnt(0)
	v_add_f32_e32 v0, v0, v6
	;; [unrolled: 3-line block ×4, first 2 shown]
	ds_bpermute_b32 v6, v5, v0
	s_and_saveexec_b32 s4, vcc_lo
	s_cbranch_execz .LBB117_9
; %bb.8:
	s_mov_b32 s3, 0
	s_waitcnt lgkmcnt(0)
	v_add_f32_e32 v0, v0, v6
	s_lshl_b64 s[6:7], s[2:3], 2
	v_mov_b32_e32 v6, 0
	s_add_u32 s6, s0, s6
	s_addc_u32 s7, s1, s7
	global_store_dword v6, v0, s[6:7]
.LBB117_9:
	s_or_b32 exec_lo, exec_lo, s4
	ds_bpermute_b32 v0, v1, v11
	s_waitcnt lgkmcnt(0)
	v_add_f32_e32 v0, v11, v0
	ds_bpermute_b32 v6, v2, v0
	s_waitcnt lgkmcnt(0)
	v_add_f32_e32 v0, v0, v6
	;; [unrolled: 3-line block ×4, first 2 shown]
	ds_bpermute_b32 v6, v5, v0
	s_and_saveexec_b32 s3, vcc_lo
	s_cbranch_execz .LBB117_11
; %bb.10:
	s_lshl_b32 s4, s2, 1
	s_mov_b32 s5, 0
	s_waitcnt lgkmcnt(0)
	v_add_f32_e32 v0, v0, v6
	s_lshl_b64 s[4:5], s[4:5], 2
	v_mov_b32_e32 v6, 0
	s_add_u32 s4, s0, s4
	s_addc_u32 s5, s1, s5
	global_store_dword v6, v0, s[4:5]
.LBB117_11:
	s_or_b32 exec_lo, exec_lo, s3
	ds_bpermute_b32 v0, v1, v10
	s_waitcnt lgkmcnt(0)
	v_add_f32_e32 v0, v10, v0
	ds_bpermute_b32 v6, v2, v0
	s_waitcnt lgkmcnt(0)
	v_add_f32_e32 v0, v0, v6
	;; [unrolled: 3-line block ×4, first 2 shown]
	ds_bpermute_b32 v6, v5, v0
	s_and_saveexec_b32 s3, vcc_lo
	s_cbranch_execz .LBB117_13
; %bb.12:
	s_mul_i32 s4, s2, 3
	s_mov_b32 s5, 0
	s_waitcnt lgkmcnt(0)
	v_add_f32_e32 v0, v0, v6
	s_lshl_b64 s[4:5], s[4:5], 2
	v_mov_b32_e32 v6, 0
	s_add_u32 s4, s0, s4
	s_addc_u32 s5, s1, s5
	global_store_dword v6, v0, s[4:5]
.LBB117_13:
	s_or_b32 exec_lo, exec_lo, s3
	ds_bpermute_b32 v0, v1, v9
	s_waitcnt lgkmcnt(0)
	v_add_f32_e32 v0, v9, v0
	ds_bpermute_b32 v6, v2, v0
	s_waitcnt lgkmcnt(0)
	v_add_f32_e32 v0, v0, v6
	ds_bpermute_b32 v6, v3, v0
	s_waitcnt lgkmcnt(0)
	v_add_f32_e32 v0, v0, v6
	ds_bpermute_b32 v6, v4, v0
	s_waitcnt lgkmcnt(0)
	v_add_f32_e32 v0, v0, v6
	ds_bpermute_b32 v6, v5, v0
	s_and_saveexec_b32 s3, vcc_lo
	s_cbranch_execz .LBB117_15
; %bb.14:
	s_lshl_b32 s4, s2, 2
	s_mov_b32 s5, 0
	s_waitcnt lgkmcnt(0)
	v_add_f32_e32 v0, v0, v6
	s_lshl_b64 s[4:5], s[4:5], 2
	v_mov_b32_e32 v6, 0
	s_add_u32 s4, s0, s4
	s_addc_u32 s5, s1, s5
	global_store_dword v6, v0, s[4:5]
.LBB117_15:
	s_or_b32 exec_lo, exec_lo, s3
	ds_bpermute_b32 v0, v1, v8
	s_waitcnt lgkmcnt(0)
	v_add_f32_e32 v0, v8, v0
	ds_bpermute_b32 v1, v2, v0
	s_waitcnt lgkmcnt(0)
	v_add_f32_e32 v0, v0, v1
	;; [unrolled: 3-line block ×4, first 2 shown]
	ds_bpermute_b32 v1, v5, v0
	s_and_b32 exec_lo, exec_lo, vcc_lo
	s_cbranch_execz .LBB117_17
; %bb.16:
	s_mul_i32 s2, s2, 5
	s_mov_b32 s3, 0
	s_waitcnt lgkmcnt(0)
	v_add_f32_e32 v0, v0, v1
	s_lshl_b64 s[2:3], s[2:3], 2
	v_mov_b32_e32 v1, 0
	s_add_u32 s0, s0, s2
	s_addc_u32 s1, s1, s3
	global_store_dword v1, v0, s[0:1]
.LBB117_17:
	s_endpgm
	.section	.rodata,"a",@progbits
	.p2align	6, 0x0
	.amdhsa_kernel _ZL13mul_mat_vec_qIL9ggml_type11ELi6ELb0ELb0EEvPKvS2_PKi31ggml_cuda_mm_fusion_args_devicePfj15HIP_vector_typeIjLj3EEjjjS8_jjjS8_jjjj
		.amdhsa_group_segment_fixed_size 0
		.amdhsa_private_segment_fixed_size 0
		.amdhsa_kernarg_size 144
		.amdhsa_user_sgpr_count 6
		.amdhsa_user_sgpr_private_segment_buffer 1
		.amdhsa_user_sgpr_dispatch_ptr 0
		.amdhsa_user_sgpr_queue_ptr 0
		.amdhsa_user_sgpr_kernarg_segment_ptr 1
		.amdhsa_user_sgpr_dispatch_id 0
		.amdhsa_user_sgpr_flat_scratch_init 0
		.amdhsa_user_sgpr_private_segment_size 0
		.amdhsa_wavefront_size32 1
		.amdhsa_uses_dynamic_stack 0
		.amdhsa_system_sgpr_private_segment_wavefront_offset 0
		.amdhsa_system_sgpr_workgroup_id_x 1
		.amdhsa_system_sgpr_workgroup_id_y 1
		.amdhsa_system_sgpr_workgroup_id_z 1
		.amdhsa_system_sgpr_workgroup_info 0
		.amdhsa_system_vgpr_workitem_id 1
		.amdhsa_next_free_vgpr 57
		.amdhsa_next_free_sgpr 26
		.amdhsa_reserve_vcc 1
		.amdhsa_reserve_flat_scratch 0
		.amdhsa_float_round_mode_32 0
		.amdhsa_float_round_mode_16_64 0
		.amdhsa_float_denorm_mode_32 3
		.amdhsa_float_denorm_mode_16_64 3
		.amdhsa_dx10_clamp 1
		.amdhsa_ieee_mode 1
		.amdhsa_fp16_overflow 0
		.amdhsa_workgroup_processor_mode 1
		.amdhsa_memory_ordered 1
		.amdhsa_forward_progress 1
		.amdhsa_shared_vgpr_count 0
		.amdhsa_exception_fp_ieee_invalid_op 0
		.amdhsa_exception_fp_denorm_src 0
		.amdhsa_exception_fp_ieee_div_zero 0
		.amdhsa_exception_fp_ieee_overflow 0
		.amdhsa_exception_fp_ieee_underflow 0
		.amdhsa_exception_fp_ieee_inexact 0
		.amdhsa_exception_int_div_zero 0
	.end_amdhsa_kernel
	.section	.text._ZL13mul_mat_vec_qIL9ggml_type11ELi6ELb0ELb0EEvPKvS2_PKi31ggml_cuda_mm_fusion_args_devicePfj15HIP_vector_typeIjLj3EEjjjS8_jjjS8_jjjj,"axG",@progbits,_ZL13mul_mat_vec_qIL9ggml_type11ELi6ELb0ELb0EEvPKvS2_PKi31ggml_cuda_mm_fusion_args_devicePfj15HIP_vector_typeIjLj3EEjjjS8_jjjS8_jjjj,comdat
.Lfunc_end117:
	.size	_ZL13mul_mat_vec_qIL9ggml_type11ELi6ELb0ELb0EEvPKvS2_PKi31ggml_cuda_mm_fusion_args_devicePfj15HIP_vector_typeIjLj3EEjjjS8_jjjS8_jjjj, .Lfunc_end117-_ZL13mul_mat_vec_qIL9ggml_type11ELi6ELb0ELb0EEvPKvS2_PKi31ggml_cuda_mm_fusion_args_devicePfj15HIP_vector_typeIjLj3EEjjjS8_jjjS8_jjjj
                                        ; -- End function
	.set _ZL13mul_mat_vec_qIL9ggml_type11ELi6ELb0ELb0EEvPKvS2_PKi31ggml_cuda_mm_fusion_args_devicePfj15HIP_vector_typeIjLj3EEjjjS8_jjjS8_jjjj.num_vgpr, 57
	.set _ZL13mul_mat_vec_qIL9ggml_type11ELi6ELb0ELb0EEvPKvS2_PKi31ggml_cuda_mm_fusion_args_devicePfj15HIP_vector_typeIjLj3EEjjjS8_jjjS8_jjjj.num_agpr, 0
	.set _ZL13mul_mat_vec_qIL9ggml_type11ELi6ELb0ELb0EEvPKvS2_PKi31ggml_cuda_mm_fusion_args_devicePfj15HIP_vector_typeIjLj3EEjjjS8_jjjS8_jjjj.numbered_sgpr, 26
	.set _ZL13mul_mat_vec_qIL9ggml_type11ELi6ELb0ELb0EEvPKvS2_PKi31ggml_cuda_mm_fusion_args_devicePfj15HIP_vector_typeIjLj3EEjjjS8_jjjS8_jjjj.num_named_barrier, 0
	.set _ZL13mul_mat_vec_qIL9ggml_type11ELi6ELb0ELb0EEvPKvS2_PKi31ggml_cuda_mm_fusion_args_devicePfj15HIP_vector_typeIjLj3EEjjjS8_jjjS8_jjjj.private_seg_size, 0
	.set _ZL13mul_mat_vec_qIL9ggml_type11ELi6ELb0ELb0EEvPKvS2_PKi31ggml_cuda_mm_fusion_args_devicePfj15HIP_vector_typeIjLj3EEjjjS8_jjjS8_jjjj.uses_vcc, 1
	.set _ZL13mul_mat_vec_qIL9ggml_type11ELi6ELb0ELb0EEvPKvS2_PKi31ggml_cuda_mm_fusion_args_devicePfj15HIP_vector_typeIjLj3EEjjjS8_jjjS8_jjjj.uses_flat_scratch, 0
	.set _ZL13mul_mat_vec_qIL9ggml_type11ELi6ELb0ELb0EEvPKvS2_PKi31ggml_cuda_mm_fusion_args_devicePfj15HIP_vector_typeIjLj3EEjjjS8_jjjS8_jjjj.has_dyn_sized_stack, 0
	.set _ZL13mul_mat_vec_qIL9ggml_type11ELi6ELb0ELb0EEvPKvS2_PKi31ggml_cuda_mm_fusion_args_devicePfj15HIP_vector_typeIjLj3EEjjjS8_jjjS8_jjjj.has_recursion, 0
	.set _ZL13mul_mat_vec_qIL9ggml_type11ELi6ELb0ELb0EEvPKvS2_PKi31ggml_cuda_mm_fusion_args_devicePfj15HIP_vector_typeIjLj3EEjjjS8_jjjS8_jjjj.has_indirect_call, 0
	.section	.AMDGPU.csdata,"",@progbits
; Kernel info:
; codeLenInByte = 3620
; TotalNumSgprs: 28
; NumVgprs: 57
; ScratchSize: 0
; MemoryBound: 0
; FloatMode: 240
; IeeeMode: 1
; LDSByteSize: 0 bytes/workgroup (compile time only)
; SGPRBlocks: 0
; VGPRBlocks: 7
; NumSGPRsForWavesPerEU: 28
; NumVGPRsForWavesPerEU: 57
; Occupancy: 16
; WaveLimiterHint : 0
; COMPUTE_PGM_RSRC2:SCRATCH_EN: 0
; COMPUTE_PGM_RSRC2:USER_SGPR: 6
; COMPUTE_PGM_RSRC2:TRAP_HANDLER: 0
; COMPUTE_PGM_RSRC2:TGID_X_EN: 1
; COMPUTE_PGM_RSRC2:TGID_Y_EN: 1
; COMPUTE_PGM_RSRC2:TGID_Z_EN: 1
; COMPUTE_PGM_RSRC2:TIDIG_COMP_CNT: 1
	.section	.text._ZL13mul_mat_vec_qIL9ggml_type11ELi7ELb0ELb0EEvPKvS2_PKi31ggml_cuda_mm_fusion_args_devicePfj15HIP_vector_typeIjLj3EEjjjS8_jjjS8_jjjj,"axG",@progbits,_ZL13mul_mat_vec_qIL9ggml_type11ELi7ELb0ELb0EEvPKvS2_PKi31ggml_cuda_mm_fusion_args_devicePfj15HIP_vector_typeIjLj3EEjjjS8_jjjS8_jjjj,comdat
	.globl	_ZL13mul_mat_vec_qIL9ggml_type11ELi7ELb0ELb0EEvPKvS2_PKi31ggml_cuda_mm_fusion_args_devicePfj15HIP_vector_typeIjLj3EEjjjS8_jjjS8_jjjj ; -- Begin function _ZL13mul_mat_vec_qIL9ggml_type11ELi7ELb0ELb0EEvPKvS2_PKi31ggml_cuda_mm_fusion_args_devicePfj15HIP_vector_typeIjLj3EEjjjS8_jjjS8_jjjj
	.p2align	8
	.type	_ZL13mul_mat_vec_qIL9ggml_type11ELi7ELb0ELb0EEvPKvS2_PKi31ggml_cuda_mm_fusion_args_devicePfj15HIP_vector_typeIjLj3EEjjjS8_jjjS8_jjjj,@function
_ZL13mul_mat_vec_qIL9ggml_type11ELi7ELb0ELb0EEvPKvS2_PKi31ggml_cuda_mm_fusion_args_devicePfj15HIP_vector_typeIjLj3EEjjjS8_jjjS8_jjjj: ; @_ZL13mul_mat_vec_qIL9ggml_type11ELi7ELb0ELb0EEvPKvS2_PKi31ggml_cuda_mm_fusion_args_devicePfj15HIP_vector_typeIjLj3EEjjjS8_jjjS8_jjjj
; %bb.0:
	s_clause 0x5
	s_load_dword s9, s[4:5], 0x40
	s_load_dwordx4 s[0:3], s[4:5], 0x50
	s_load_dword s11, s[4:5], 0x60
	s_load_dwordx4 s[12:15], s[4:5], 0x68
	;; [unrolled: 2-line block ×3, first 2 shown]
	v_lshl_or_b32 v2, v1, 5, v0
	v_mov_b32_e32 v6, 0
	v_mov_b32_e32 v7, 0
	;; [unrolled: 1-line block ×4, first 2 shown]
	v_lshrrev_b32_e32 v12, 4, v2
	v_mov_b32_e32 v10, 0
	v_mov_b32_e32 v13, 0
	;; [unrolled: 1-line block ×3, first 2 shown]
	s_waitcnt lgkmcnt(0)
	s_lshr_b32 s10, s9, 8
	s_mov_b32 s9, exec_lo
	v_cmpx_gt_u32_e64 s10, v12
	s_cbranch_execz .LBB118_4
; %bb.1:
	s_load_dwordx4 s[20:23], s[4:5], 0x0
	v_and_b32_e32 v6, 8, v0
	v_bfe_u32 v14, v0, 2, 1
	v_bfe_u32 v4, v0, 3, 1
	s_mul_hi_u32 s3, s3, s7
	s_mul_hi_u32 s15, s15, s8
	v_lshrrev_b32_e32 v2, 1, v0
	v_or_b32_e32 v9, v14, v6
	v_mul_hi_u32_u24_e32 v5, 0x90, v4
	v_mul_u32_u24_e32 v4, 0x90, v4
	s_mul_i32 s17, s17, s8
	s_add_i32 s3, s7, s3
	s_add_i32 s15, s8, s15
	s_mul_i32 s13, s13, s7
	v_lshlrev_b32_e32 v3, 1, v0
	s_mul_hi_u32 s19, s17, 36
	s_mul_i32 s17, s17, 36
	s_lshr_b32 s3, s3, s11
	v_and_b32_e32 v7, 7, v0
	v_or_b32_e32 v13, 6, v9
	v_mad_u64_u32 v[4:5], null, 0x120, v12, v[4:5]
	s_lshr_b32 s11, s15, s24
	s_mul_hi_u32 s25, s13, 36
	s_mul_i32 s13, s13, 36
	s_mul_i32 s3, s3, s12
	s_waitcnt lgkmcnt(0)
	s_add_u32 s12, s22, s17
	v_and_b32_e32 v15, 4, v2
	s_addc_u32 s15, s23, s19
	s_add_u32 s12, s12, s13
	s_addc_u32 s13, s15, s25
	v_and_b32_e32 v8, 30, v3
	v_lshlrev_b32_e32 v10, 1, v7
	v_or_b32_e32 v9, 4, v9
	v_lshrrev_b32_e32 v16, 1, v6
	v_lshrrev_b32_e32 v6, 1, v13
	v_mad_u64_u32 v[2:3], null, v15, 36, s[12:13]
	v_add_co_u32 v4, vcc_lo, s12, v4
	s_mul_i32 s0, s0, s6
	v_mov_b32_e32 v11, 0
	v_and_b32_e32 v17, 5, v9
	v_lshrrev_b32_e32 v18, 1, v9
	v_and_b32_e32 v19, 7, v13
	v_and_b32_e32 v20, 3, v13
	;; [unrolled: 1-line block ×3, first 2 shown]
	v_lshlrev_b32_e32 v22, 2, v7
	v_add_co_ci_u32_e64 v5, null, s13, v5, vcc_lo
	v_lshlrev_b32_e32 v23, 3, v12
	v_lshlrev_b32_e32 v24, 1, v8
	;; [unrolled: 1-line block ×4, first 2 shown]
	v_mov_b32_e32 v7, 0
	v_mov_b32_e32 v6, 0
	;; [unrolled: 1-line block ×6, first 2 shown]
	s_mul_i32 s11, s11, s16
	s_add_i32 s3, s3, s0
	s_lshl_b32 s12, s1, 2
	s_add_i32 s0, s11, s3
	s_lshl_b32 s3, s1, 1
	s_mul_i32 s11, s1, 3
	s_mul_i32 s13, s1, 5
	;; [unrolled: 1-line block ×3, first 2 shown]
	s_mov_b32 s15, 0
.LBB118_2:                              ; =>This Inner Loop Header: Depth=1
	v_add_nc_u32_e32 v27, s0, v12
	v_mov_b32_e32 v47, 0
	v_add_nc_u32_e32 v12, 2, v12
	v_mad_i64_i32 v[31:32], null, 0x6e, v27, s[20:21]
	v_add_co_u32 v28, vcc_lo, v31, v24
	v_add_co_ci_u32_e64 v29, null, 0, v32, vcc_lo
	s_clause 0x1
	global_load_ushort v27, v[31:32], off offset:108
	global_load_dword v38, v[28:29], off offset:32
	v_add_co_u32 v28, vcc_lo, v31, v25
	v_add_co_ci_u32_e64 v29, null, 0, v32, vcc_lo
	global_load_dword v28, v[28:29], off
	v_add_co_u32 v29, vcc_lo, v31, v14
	v_add_co_ci_u32_e64 v30, null, 0, v32, vcc_lo
	global_load_ubyte v37, v[29:30], off offset:104
	s_waitcnt vmcnt(2)
	v_bfe_u32 v35, v38, 24, 2
	s_waitcnt vmcnt(1)
	v_ashrrev_i32_e32 v28, v15, v28
	v_not_b32_e32 v39, v28
	global_load_ubyte v28, v[29:30], off offset:96
	s_waitcnt vmcnt(1)
	v_lshrrev_b32_e32 v33, v16, v37
	v_lshlrev_b32_e32 v40, 2, v39
	v_lshlrev_b32_e32 v33, 4, v33
	v_and_b32_e32 v40, 0x4040404, v40
	v_lshrrev_b32_e32 v42, 24, v40
	v_lshrrev_b16 v43, 8, v40
	v_lshrrev_b32_e32 v41, 16, v40
	v_sub_nc_u16 v35, v35, v42
	v_lshlrev_b16 v35, 8, v35
	s_waitcnt vmcnt(0)
	v_bfe_u32 v28, v28, v16, 4
	v_and_or_b32 v28, v33, 48, v28
	v_and_b32_e32 v33, 0x3030303, v38
	v_subrev_nc_u32_e32 v28, 32, v28
	v_lshrrev_b16 v36, 8, v33
	v_lshrrev_b32_e32 v34, 16, v33
	v_sub_nc_u16 v33, v33, v40
	v_lshlrev_b32_e32 v40, 1, v39
	v_sub_nc_u16 v36, v36, v43
	v_sub_nc_u16 v34, v34, v41
	v_and_b32_e32 v40, 0x4040404, v40
	v_lshlrev_b16 v36, 8, v36
	v_or_b32_sdwa v34, v34, v35 dst_sel:WORD_1 dst_unused:UNUSED_PAD src0_sel:BYTE_0 src1_sel:DWORD
	v_lshrrev_b32_e32 v42, 24, v40
	v_lshrrev_b16 v43, 8, v40
	v_lshrrev_b32_e32 v41, 16, v40
	v_or_b32_sdwa v33, v33, v36 dst_sel:DWORD dst_unused:UNUSED_PAD src0_sel:BYTE_0 src1_sel:DWORD
	v_or_b32_sdwa v33, v33, v34 dst_sel:DWORD dst_unused:UNUSED_PAD src0_sel:WORD_0 src1_sel:DWORD
	s_clause 0x1
	global_load_ubyte v34, v[29:30], off offset:98
	global_load_ubyte v29, v[29:30], off offset:106
	s_waitcnt vmcnt(1)
	v_bfe_u32 v34, v34, v16, 4
	s_waitcnt vmcnt(0)
	v_lshrrev_b32_e32 v29, v16, v29
	v_lshlrev_b32_e32 v29, 4, v29
	v_and_or_b32 v29, v29, 48, v34
	v_subrev_nc_u32_e32 v30, 32, v29
	v_lshrrev_b32_e32 v29, 2, v38
	v_and_b32_e32 v34, 0x3030303, v29
	v_bfe_u32 v29, v29, 24, 2
	v_lshrrev_b16 v36, 8, v34
	v_lshrrev_b32_e32 v35, 16, v34
	v_sub_nc_u16 v29, v29, v42
	v_sub_nc_u16 v34, v34, v40
	v_sub_nc_u16 v36, v36, v43
	v_sub_nc_u16 v35, v35, v41
	v_lshlrev_b16 v29, 8, v29
	v_and_b32_e32 v41, 0x4040404, v39
	v_lshrrev_b32_e32 v39, 1, v39
	v_lshlrev_b16 v36, 8, v36
	v_or_b32_sdwa v29, v35, v29 dst_sel:WORD_1 dst_unused:UNUSED_PAD src0_sel:BYTE_0 src1_sel:DWORD
	v_add_co_u32 v35, vcc_lo, v31, v17
	v_or_b32_sdwa v34, v34, v36 dst_sel:DWORD dst_unused:UNUSED_PAD src0_sel:BYTE_0 src1_sel:DWORD
	v_add_co_ci_u32_e64 v36, null, 0, v32, vcc_lo
	v_lshrrev_b32_e32 v43, 24, v41
	v_lshrrev_b16 v44, 8, v41
	v_or_b32_sdwa v34, v34, v29 dst_sel:DWORD dst_unused:UNUSED_PAD src0_sel:WORD_0 src1_sel:DWORD
	global_load_ubyte v29, v[35:36], off offset:96
	v_lshrrev_b32_e32 v35, v18, v37
	v_lshrrev_b32_e32 v42, 16, v41
	v_and_b32_e32 v39, 0x4040404, v39
	v_lshlrev_b32_e32 v35, 4, v35
	s_waitcnt vmcnt(0)
	v_bfe_u32 v29, v29, v16, 4
	v_and_or_b32 v29, v35, 48, v29
	v_lshrrev_b32_e32 v35, 4, v38
	v_subrev_nc_u32_e32 v29, 32, v29
	v_and_b32_e32 v36, 0x3030303, v35
	v_bfe_u32 v35, v35, 24, 2
	v_lshrrev_b16 v40, 8, v36
	v_lshrrev_b32_e32 v37, 16, v36
	v_sub_nc_u16 v35, v35, v43
	v_sub_nc_u16 v36, v36, v41
	v_lshrrev_b32_e32 v41, 24, v39
	v_sub_nc_u16 v40, v40, v44
	v_sub_nc_u16 v37, v37, v42
	v_lshlrev_b16 v35, 8, v35
	v_lshrrev_b16 v42, 8, v39
	v_mov_b32_e32 v44, 0
	v_lshlrev_b16 v40, 8, v40
	v_or_b32_sdwa v35, v37, v35 dst_sel:WORD_1 dst_unused:UNUSED_PAD src0_sel:BYTE_0 src1_sel:DWORD
	v_or_b32_sdwa v36, v36, v40 dst_sel:DWORD dst_unused:UNUSED_PAD src0_sel:BYTE_0 src1_sel:DWORD
	v_lshrrev_b32_e32 v40, 16, v39
	v_or_b32_sdwa v35, v36, v35 dst_sel:DWORD dst_unused:UNUSED_PAD src0_sel:WORD_0 src1_sel:DWORD
	v_add_co_u32 v36, vcc_lo, v31, v19
	v_add_co_ci_u32_e64 v37, null, 0, v32, vcc_lo
	v_add_co_u32 v31, vcc_lo, v31, v20
	v_add_co_ci_u32_e64 v32, null, 0, v32, vcc_lo
	s_clause 0x1
	global_load_ubyte v36, v[36:37], off offset:96
	global_load_ubyte v31, v[31:32], off offset:104
	v_lshrrev_b32_e32 v32, 6, v38
	v_lshrrev_b32_e32 v37, 30, v38
	v_and_b32_e32 v32, 0x3030303, v32
	v_sub_nc_u16 v37, v37, v41
	v_lshrrev_b16 v38, 8, v32
	v_lshlrev_b16 v37, 8, v37
	v_sub_nc_u16 v38, v38, v42
	v_lshlrev_b16 v38, 8, v38
	s_waitcnt vmcnt(1)
	v_bfe_u32 v36, v36, v16, 4
	s_waitcnt vmcnt(0)
	v_lshrrev_b32_e32 v31, v21, v31
	v_lshlrev_b32_e32 v31, 4, v31
	v_and_or_b32 v31, v31, 48, v36
	v_lshrrev_b32_e32 v36, 16, v32
	v_sub_nc_u16 v32, v32, v39
	v_subrev_nc_u32_e32 v31, 32, v31
	v_sub_nc_u16 v36, v36, v40
	v_or_b32_sdwa v32, v32, v38 dst_sel:DWORD dst_unused:UNUSED_PAD src0_sel:BYTE_0 src1_sel:DWORD
	v_or_b32_sdwa v36, v36, v37 dst_sel:WORD_1 dst_unused:UNUSED_PAD src0_sel:BYTE_0 src1_sel:DWORD
	v_or_b32_sdwa v32, v32, v36 dst_sel:DWORD dst_unused:UNUSED_PAD src0_sel:WORD_0 src1_sel:DWORD
	v_add_co_u32 v36, vcc_lo, v4, v22
	v_add_co_ci_u32_e64 v37, null, 0, v5, vcc_lo
	s_clause 0x7
	global_load_dword v38, v[36:37], off offset:4
	global_load_dword v39, v[4:5], off
	global_load_dword v40, v[36:37], off offset:40
	global_load_dword v41, v[4:5], off offset:36
	;; [unrolled: 1-line block ×6, first 2 shown]
	s_waitcnt vmcnt(7)
	v_dot4c_i32_i8 v44, v33, v38
	v_mul_lo_u32 v38, v28, v44
	v_cvt_f32_i32_e32 v38, v38
	s_waitcnt vmcnt(6)
	v_fma_mix_f32 v38, v39, v38, 0 op_sel_hi:[1,0,0]
	v_mov_b32_e32 v39, 0
	s_waitcnt vmcnt(5)
	v_dot4c_i32_i8 v39, v34, v40
	v_mul_lo_u32 v39, v30, v39
	v_cvt_f32_i32_e32 v39, v39
	s_waitcnt vmcnt(4)
	v_fma_mix_f32 v38, v41, v39, v38 op_sel_hi:[1,0,0]
	v_mov_b32_e32 v39, 0
	;; [unrolled: 7-line block ×3, first 2 shown]
	s_waitcnt vmcnt(1)
	v_dot4c_i32_i8 v39, v32, v36
	v_mul_lo_u32 v36, v31, v39
	v_cvt_f32_i32_e32 v36, v36
	s_waitcnt vmcnt(0)
	v_fma_mix_f32 v36, v37, v36, v38 op_sel_hi:[1,0,0]
	v_fma_mix_f32 v11, v36, v27, v11 op_sel_hi:[0,1,0]
	v_add_nc_u32_e32 v36, s1, v23
	v_mad_u64_u32 v[36:37], null, v36, 36, v[2:3]
	v_add_co_u32 v38, vcc_lo, v36, v26
	v_add_co_ci_u32_e64 v39, null, 0, v37, vcc_lo
	s_clause 0x7
	global_load_dword v40, v[38:39], off offset:4
	global_load_dword v41, v[36:37], off
	global_load_dword v42, v[38:39], off offset:40
	global_load_dword v43, v[36:37], off offset:36
	;; [unrolled: 1-line block ×6, first 2 shown]
	v_add_nc_u32_e32 v36, s3, v23
	v_mad_u64_u32 v[36:37], null, v36, 36, v[2:3]
	s_waitcnt vmcnt(7)
	v_dot4c_i32_i8 v47, v33, v40
	v_mov_b32_e32 v40, 0
	s_waitcnt vmcnt(5)
	v_dot4c_i32_i8 v40, v34, v42
	v_mov_b32_e32 v42, 0
	v_mul_lo_u32 v40, v30, v40
	s_waitcnt vmcnt(3)
	v_dot4c_i32_i8 v42, v35, v44
	v_mov_b32_e32 v44, 0
	s_waitcnt vmcnt(1)
	v_dot4c_i32_i8 v44, v32, v38
	v_add_co_u32 v38, vcc_lo, v36, v26
	v_add_co_ci_u32_e64 v39, null, 0, v37, vcc_lo
	s_clause 0x7
	global_load_dword v48, v[38:39], off offset:4
	global_load_dword v49, v[36:37], off
	global_load_dword v50, v[38:39], off offset:40
	global_load_dword v51, v[36:37], off offset:36
	;; [unrolled: 1-line block ×6, first 2 shown]
	v_mov_b32_e32 v37, 0
	v_mov_b32_e32 v39, 0
	v_cvt_f32_i32_e32 v40, v40
	s_waitcnt vmcnt(7)
	v_dot4c_i32_i8 v37, v33, v48
	v_mov_b32_e32 v48, 0
	s_waitcnt vmcnt(5)
	v_dot4c_i32_i8 v39, v34, v50
	v_mov_b32_e32 v50, 0
	v_mul_lo_u32 v37, v28, v37
	s_waitcnt vmcnt(3)
	v_dot4c_i32_i8 v48, v35, v52
	v_mul_lo_u32 v39, v30, v39
	s_waitcnt vmcnt(1)
	v_dot4c_i32_i8 v50, v32, v38
	v_mul_lo_u32 v38, v28, v47
	v_mov_b32_e32 v47, 0
	v_cvt_f32_i32_e32 v37, v37
	v_cvt_f32_i32_e32 v39, v39
	v_cvt_f32_i32_e32 v38, v38
	v_fma_mix_f32 v37, v49, v37, 0 op_sel_hi:[1,0,0]
	v_fma_mix_f32 v38, v41, v38, 0 op_sel_hi:[1,0,0]
	;; [unrolled: 1-line block ×3, first 2 shown]
	v_mul_lo_u32 v39, v29, v42
	v_fma_mix_f32 v38, v43, v40, v38 op_sel_hi:[1,0,0]
	v_mul_lo_u32 v40, v29, v48
	v_cvt_f32_i32_e32 v39, v39
	v_cvt_f32_i32_e32 v40, v40
	v_fma_mix_f32 v38, v45, v39, v38 op_sel_hi:[1,0,0]
	v_mul_lo_u32 v39, v31, v50
	v_fma_mix_f32 v37, v53, v40, v37 op_sel_hi:[1,0,0]
	v_mul_lo_u32 v40, v31, v44
	v_cvt_f32_i32_e32 v39, v39
	v_cvt_f32_i32_e32 v40, v40
	s_waitcnt vmcnt(0)
	v_fma_mix_f32 v36, v36, v39, v37 op_sel_hi:[1,0,0]
	v_fma_mix_f32 v37, v46, v40, v38 op_sel_hi:[1,0,0]
	;; [unrolled: 1-line block ×3, first 2 shown]
	v_add_nc_u32_e32 v36, s11, v23
	v_fma_mix_f32 v13, v37, v27, v13 op_sel_hi:[0,1,0]
	v_mad_u64_u32 v[36:37], null, v36, 36, v[2:3]
	v_add_co_u32 v38, vcc_lo, v36, v26
	v_add_co_ci_u32_e64 v39, null, 0, v37, vcc_lo
	s_clause 0x7
	global_load_dword v40, v[38:39], off offset:4
	global_load_dword v41, v[36:37], off
	global_load_dword v42, v[38:39], off offset:40
	global_load_dword v43, v[36:37], off offset:36
	;; [unrolled: 1-line block ×6, first 2 shown]
	v_add_nc_u32_e32 v36, s12, v23
	v_mad_u64_u32 v[36:37], null, v36, 36, v[2:3]
	s_waitcnt vmcnt(7)
	v_dot4c_i32_i8 v47, v33, v40
	v_mov_b32_e32 v40, 0
	s_waitcnt vmcnt(5)
	v_dot4c_i32_i8 v40, v34, v42
	v_mov_b32_e32 v42, 0
	v_mul_lo_u32 v40, v30, v40
	s_waitcnt vmcnt(3)
	v_dot4c_i32_i8 v42, v35, v44
	v_mov_b32_e32 v44, 0
	s_waitcnt vmcnt(1)
	v_dot4c_i32_i8 v44, v32, v38
	v_add_co_u32 v38, vcc_lo, v36, v26
	v_add_co_ci_u32_e64 v39, null, 0, v37, vcc_lo
	s_clause 0x7
	global_load_dword v48, v[38:39], off offset:4
	global_load_dword v49, v[36:37], off
	global_load_dword v50, v[38:39], off offset:40
	global_load_dword v51, v[36:37], off offset:36
	;; [unrolled: 1-line block ×6, first 2 shown]
	v_mov_b32_e32 v37, 0
	v_mov_b32_e32 v39, 0
	v_cvt_f32_i32_e32 v40, v40
	s_waitcnt vmcnt(7)
	v_dot4c_i32_i8 v37, v33, v48
	v_mov_b32_e32 v48, 0
	s_waitcnt vmcnt(5)
	v_dot4c_i32_i8 v39, v34, v50
	v_mov_b32_e32 v50, 0
	v_mul_lo_u32 v37, v28, v37
	s_waitcnt vmcnt(3)
	v_dot4c_i32_i8 v48, v35, v52
	v_mul_lo_u32 v39, v30, v39
	s_waitcnt vmcnt(1)
	v_dot4c_i32_i8 v50, v32, v38
	v_mul_lo_u32 v38, v28, v47
	v_mov_b32_e32 v47, 0
	v_cvt_f32_i32_e32 v37, v37
	v_cvt_f32_i32_e32 v39, v39
	;; [unrolled: 1-line block ×3, first 2 shown]
	v_fma_mix_f32 v37, v49, v37, 0 op_sel_hi:[1,0,0]
	v_fma_mix_f32 v38, v41, v38, 0 op_sel_hi:[1,0,0]
	v_fma_mix_f32 v37, v51, v39, v37 op_sel_hi:[1,0,0]
	v_mul_lo_u32 v39, v29, v42
	v_fma_mix_f32 v38, v43, v40, v38 op_sel_hi:[1,0,0]
	v_mul_lo_u32 v40, v29, v48
	v_cvt_f32_i32_e32 v39, v39
	v_cvt_f32_i32_e32 v40, v40
	v_fma_mix_f32 v38, v45, v39, v38 op_sel_hi:[1,0,0]
	v_mul_lo_u32 v39, v31, v50
	v_fma_mix_f32 v37, v53, v40, v37 op_sel_hi:[1,0,0]
	v_mul_lo_u32 v40, v31, v44
	v_cvt_f32_i32_e32 v39, v39
	v_cvt_f32_i32_e32 v40, v40
	s_waitcnt vmcnt(0)
	v_fma_mix_f32 v36, v36, v39, v37 op_sel_hi:[1,0,0]
	v_fma_mix_f32 v37, v46, v40, v38 op_sel_hi:[1,0,0]
	;; [unrolled: 1-line block ×3, first 2 shown]
	v_add_nc_u32_e32 v36, s13, v23
	v_fma_mix_f32 v9, v37, v27, v9 op_sel_hi:[0,1,0]
	v_mad_u64_u32 v[36:37], null, v36, 36, v[2:3]
	v_add_co_u32 v38, vcc_lo, v36, v26
	v_add_co_ci_u32_e64 v39, null, 0, v37, vcc_lo
	s_clause 0x7
	global_load_dword v40, v[38:39], off offset:4
	global_load_dword v41, v[36:37], off
	global_load_dword v42, v[38:39], off offset:40
	global_load_dword v43, v[36:37], off offset:36
	global_load_dword v44, v[38:39], off offset:76
	global_load_dword v45, v[36:37], off offset:72
	global_load_dword v38, v[38:39], off offset:112
	global_load_dword v46, v[36:37], off offset:108
	v_add_nc_u32_e32 v36, s16, v23
	v_add_nc_u32_e32 v23, 16, v23
	v_mad_u64_u32 v[36:37], null, v36, 36, v[2:3]
	s_waitcnt vmcnt(7)
	v_dot4c_i32_i8 v47, v33, v40
	v_mov_b32_e32 v40, 0
	s_waitcnt vmcnt(5)
	v_dot4c_i32_i8 v40, v34, v42
	v_mov_b32_e32 v42, 0
	s_waitcnt vmcnt(3)
	v_dot4c_i32_i8 v42, v35, v44
	v_mov_b32_e32 v44, 0
	s_waitcnt vmcnt(1)
	v_dot4c_i32_i8 v44, v32, v38
	v_add_co_u32 v38, vcc_lo, v36, v26
	v_add_co_ci_u32_e64 v39, null, 0, v37, vcc_lo
	s_clause 0x7
	global_load_dword v48, v[38:39], off offset:4
	global_load_dword v49, v[36:37], off
	global_load_dword v50, v[38:39], off offset:40
	global_load_dword v51, v[36:37], off offset:36
	;; [unrolled: 1-line block ×6, first 2 shown]
	v_mov_b32_e32 v37, 0
	v_add_co_u32 v4, vcc_lo, 0x240, v4
	v_add_co_ci_u32_e64 v5, null, 0, v5, vcc_lo
	v_cmp_le_u32_e32 vcc_lo, s10, v12
	s_or_b32 s15, vcc_lo, s15
	s_waitcnt vmcnt(7)
	v_dot4c_i32_i8 v37, v33, v48
	v_mov_b32_e32 v33, 0
	s_waitcnt vmcnt(5)
	v_dot4c_i32_i8 v33, v34, v50
	v_mov_b32_e32 v34, 0
	v_mul_lo_u32 v33, v30, v33
	s_waitcnt vmcnt(3)
	v_dot4c_i32_i8 v34, v35, v52
	v_mov_b32_e32 v35, 0
	v_mul_lo_u32 v30, v30, v40
	s_waitcnt vmcnt(1)
	v_dot4c_i32_i8 v35, v32, v38
	v_mul_lo_u32 v32, v28, v47
	v_mul_lo_u32 v28, v28, v37
	v_cvt_f32_i32_e32 v33, v33
	v_cvt_f32_i32_e32 v30, v30
	;; [unrolled: 1-line block ×4, first 2 shown]
	v_fma_mix_f32 v32, v41, v32, 0 op_sel_hi:[1,0,0]
	v_fma_mix_f32 v28, v49, v28, 0 op_sel_hi:[1,0,0]
	v_fma_mix_f32 v30, v43, v30, v32 op_sel_hi:[1,0,0]
	v_mul_lo_u32 v32, v29, v42
	v_mul_lo_u32 v29, v29, v34
	v_fma_mix_f32 v28, v51, v33, v28 op_sel_hi:[1,0,0]
	v_cvt_f32_i32_e32 v32, v32
	v_cvt_f32_i32_e32 v29, v29
	v_fma_mix_f32 v30, v45, v32, v30 op_sel_hi:[1,0,0]
	v_fma_mix_f32 v28, v53, v29, v28 op_sel_hi:[1,0,0]
	v_mul_lo_u32 v29, v31, v35
	v_mul_lo_u32 v31, v31, v44
	v_cvt_f32_i32_e32 v29, v29
	v_cvt_f32_i32_e32 v31, v31
	s_waitcnt vmcnt(0)
	v_fma_mix_f32 v28, v36, v29, v28 op_sel_hi:[1,0,0]
	v_fma_mix_f32 v29, v46, v31, v30 op_sel_hi:[1,0,0]
	;; [unrolled: 1-line block ×4, first 2 shown]
	s_andn2_b32 exec_lo, exec_lo, s15
	s_cbranch_execnz .LBB118_2
; %bb.3:
	s_or_b32 exec_lo, exec_lo, s15
.LBB118_4:
	s_or_b32 exec_lo, exec_lo, s9
	s_mov_b32 s1, 0
	; wave barrier
	buffer_gl0_inv
	s_mov_b32 s0, exec_lo
	v_cmpx_eq_u32_e32 0, v1
	s_cbranch_execz .LBB118_19
; %bb.5:
	v_mbcnt_lo_u32_b32 v5, -1, 0
	s_load_dwordx2 s[4:5], s[4:5], 0x38
	s_mul_i32 s0, s14, s7
	s_mul_i32 s3, s18, s8
	s_add_i32 s0, s0, s6
	v_xor_b32_e32 v1, 16, v5
	v_xor_b32_e32 v2, 8, v5
	;; [unrolled: 1-line block ×3, first 2 shown]
	s_add_i32 s0, s0, s3
	s_lshl_b64 s[0:1], s[0:1], 2
	v_cmp_gt_i32_e32 vcc_lo, 32, v1
	v_cndmask_b32_e32 v1, v5, v1, vcc_lo
	v_cmp_gt_i32_e32 vcc_lo, 32, v2
	v_lshlrev_b32_e32 v1, 2, v1
	v_cndmask_b32_e32 v2, v5, v2, vcc_lo
	s_waitcnt lgkmcnt(0)
	s_add_u32 s0, s4, s0
	s_addc_u32 s1, s5, s1
	ds_bpermute_b32 v3, v1, v11
	v_lshlrev_b32_e32 v2, 2, v2
	s_waitcnt lgkmcnt(0)
	v_add_f32_e32 v4, v11, v3
	v_xor_b32_e32 v3, 4, v5
	ds_bpermute_b32 v11, v2, v4
	v_cmp_gt_i32_e32 vcc_lo, 32, v3
	v_cndmask_b32_e32 v3, v5, v3, vcc_lo
	v_lshlrev_b32_e32 v3, 2, v3
	s_waitcnt lgkmcnt(0)
	v_add_f32_e32 v11, v4, v11
	v_xor_b32_e32 v4, 2, v5
	ds_bpermute_b32 v12, v3, v11
	v_cmp_gt_i32_e32 vcc_lo, 32, v4
	v_cndmask_b32_e32 v4, v5, v4, vcc_lo
	v_cmp_gt_i32_e32 vcc_lo, 32, v14
	v_lshlrev_b32_e32 v4, 2, v4
	v_cndmask_b32_e32 v5, v5, v14, vcc_lo
	v_cmp_eq_u32_e32 vcc_lo, 0, v0
	v_lshlrev_b32_e32 v5, 2, v5
	s_waitcnt lgkmcnt(0)
	v_add_f32_e32 v11, v11, v12
	ds_bpermute_b32 v12, v4, v11
	s_waitcnt lgkmcnt(0)
	v_add_f32_e32 v11, v11, v12
	ds_bpermute_b32 v12, v5, v11
	s_and_saveexec_b32 s3, vcc_lo
	s_cbranch_execz .LBB118_7
; %bb.6:
	s_waitcnt lgkmcnt(0)
	v_add_f32_e32 v0, v11, v12
	v_mov_b32_e32 v11, 0
	global_store_dword v11, v0, s[0:1]
.LBB118_7:
	s_or_b32 exec_lo, exec_lo, s3
	ds_bpermute_b32 v0, v1, v13
	s_waitcnt lgkmcnt(0)
	v_add_f32_e32 v0, v13, v0
	ds_bpermute_b32 v11, v2, v0
	s_waitcnt lgkmcnt(0)
	v_add_f32_e32 v0, v0, v11
	;; [unrolled: 3-line block ×4, first 2 shown]
	ds_bpermute_b32 v11, v5, v0
	s_and_saveexec_b32 s4, vcc_lo
	s_cbranch_execz .LBB118_9
; %bb.8:
	s_mov_b32 s3, 0
	s_waitcnt lgkmcnt(0)
	v_add_f32_e32 v0, v0, v11
	s_lshl_b64 s[6:7], s[2:3], 2
	v_mov_b32_e32 v11, 0
	s_add_u32 s6, s0, s6
	s_addc_u32 s7, s1, s7
	global_store_dword v11, v0, s[6:7]
.LBB118_9:
	s_or_b32 exec_lo, exec_lo, s4
	ds_bpermute_b32 v0, v1, v10
	s_waitcnt lgkmcnt(0)
	v_add_f32_e32 v0, v10, v0
	ds_bpermute_b32 v10, v2, v0
	s_waitcnt lgkmcnt(0)
	v_add_f32_e32 v0, v0, v10
	ds_bpermute_b32 v10, v3, v0
	s_waitcnt lgkmcnt(0)
	v_add_f32_e32 v0, v0, v10
	ds_bpermute_b32 v10, v4, v0
	s_waitcnt lgkmcnt(0)
	v_add_f32_e32 v0, v0, v10
	ds_bpermute_b32 v10, v5, v0
	s_and_saveexec_b32 s3, vcc_lo
	s_cbranch_execz .LBB118_11
; %bb.10:
	s_lshl_b32 s4, s2, 1
	s_mov_b32 s5, 0
	s_waitcnt lgkmcnt(0)
	v_add_f32_e32 v0, v0, v10
	s_lshl_b64 s[4:5], s[4:5], 2
	v_mov_b32_e32 v10, 0
	s_add_u32 s4, s0, s4
	s_addc_u32 s5, s1, s5
	global_store_dword v10, v0, s[4:5]
.LBB118_11:
	s_or_b32 exec_lo, exec_lo, s3
	ds_bpermute_b32 v0, v1, v9
	s_waitcnt lgkmcnt(0)
	v_add_f32_e32 v0, v9, v0
	ds_bpermute_b32 v9, v2, v0
	s_waitcnt lgkmcnt(0)
	v_add_f32_e32 v0, v0, v9
	;; [unrolled: 3-line block ×4, first 2 shown]
	ds_bpermute_b32 v9, v5, v0
	s_and_saveexec_b32 s3, vcc_lo
	s_cbranch_execz .LBB118_13
; %bb.12:
	s_mul_i32 s4, s2, 3
	s_mov_b32 s5, 0
	s_waitcnt lgkmcnt(0)
	v_add_f32_e32 v0, v0, v9
	s_lshl_b64 s[4:5], s[4:5], 2
	v_mov_b32_e32 v9, 0
	s_add_u32 s4, s0, s4
	s_addc_u32 s5, s1, s5
	global_store_dword v9, v0, s[4:5]
.LBB118_13:
	s_or_b32 exec_lo, exec_lo, s3
	ds_bpermute_b32 v0, v1, v8
	s_waitcnt lgkmcnt(0)
	v_add_f32_e32 v0, v8, v0
	ds_bpermute_b32 v8, v2, v0
	s_waitcnt lgkmcnt(0)
	v_add_f32_e32 v0, v0, v8
	ds_bpermute_b32 v8, v3, v0
	s_waitcnt lgkmcnt(0)
	v_add_f32_e32 v0, v0, v8
	ds_bpermute_b32 v8, v4, v0
	s_waitcnt lgkmcnt(0)
	v_add_f32_e32 v0, v0, v8
	ds_bpermute_b32 v8, v5, v0
	s_and_saveexec_b32 s3, vcc_lo
	s_cbranch_execz .LBB118_15
; %bb.14:
	s_lshl_b32 s4, s2, 2
	s_mov_b32 s5, 0
	s_waitcnt lgkmcnt(0)
	v_add_f32_e32 v0, v0, v8
	s_lshl_b64 s[4:5], s[4:5], 2
	v_mov_b32_e32 v8, 0
	s_add_u32 s4, s0, s4
	s_addc_u32 s5, s1, s5
	global_store_dword v8, v0, s[4:5]
.LBB118_15:
	s_or_b32 exec_lo, exec_lo, s3
	ds_bpermute_b32 v0, v1, v7
	s_waitcnt lgkmcnt(0)
	v_add_f32_e32 v0, v7, v0
	ds_bpermute_b32 v7, v2, v0
	s_waitcnt lgkmcnt(0)
	v_add_f32_e32 v0, v0, v7
	;; [unrolled: 3-line block ×4, first 2 shown]
	ds_bpermute_b32 v7, v5, v0
	s_and_saveexec_b32 s3, vcc_lo
	s_cbranch_execz .LBB118_17
; %bb.16:
	s_mul_i32 s4, s2, 5
	s_mov_b32 s5, 0
	s_waitcnt lgkmcnt(0)
	v_add_f32_e32 v0, v0, v7
	s_lshl_b64 s[4:5], s[4:5], 2
	v_mov_b32_e32 v7, 0
	s_add_u32 s4, s0, s4
	s_addc_u32 s5, s1, s5
	global_store_dword v7, v0, s[4:5]
.LBB118_17:
	s_or_b32 exec_lo, exec_lo, s3
	ds_bpermute_b32 v0, v1, v6
	s_waitcnt lgkmcnt(0)
	v_add_f32_e32 v0, v6, v0
	ds_bpermute_b32 v1, v2, v0
	s_waitcnt lgkmcnt(0)
	v_add_f32_e32 v0, v0, v1
	;; [unrolled: 3-line block ×4, first 2 shown]
	ds_bpermute_b32 v1, v5, v0
	s_and_b32 exec_lo, exec_lo, vcc_lo
	s_cbranch_execz .LBB118_19
; %bb.18:
	s_mul_i32 s2, s2, 6
	s_mov_b32 s3, 0
	s_waitcnt lgkmcnt(0)
	v_add_f32_e32 v0, v0, v1
	s_lshl_b64 s[2:3], s[2:3], 2
	v_mov_b32_e32 v1, 0
	s_add_u32 s0, s0, s2
	s_addc_u32 s1, s1, s3
	global_store_dword v1, v0, s[0:1]
.LBB118_19:
	s_endpgm
	.section	.rodata,"a",@progbits
	.p2align	6, 0x0
	.amdhsa_kernel _ZL13mul_mat_vec_qIL9ggml_type11ELi7ELb0ELb0EEvPKvS2_PKi31ggml_cuda_mm_fusion_args_devicePfj15HIP_vector_typeIjLj3EEjjjS8_jjjS8_jjjj
		.amdhsa_group_segment_fixed_size 0
		.amdhsa_private_segment_fixed_size 0
		.amdhsa_kernarg_size 144
		.amdhsa_user_sgpr_count 6
		.amdhsa_user_sgpr_private_segment_buffer 1
		.amdhsa_user_sgpr_dispatch_ptr 0
		.amdhsa_user_sgpr_queue_ptr 0
		.amdhsa_user_sgpr_kernarg_segment_ptr 1
		.amdhsa_user_sgpr_dispatch_id 0
		.amdhsa_user_sgpr_flat_scratch_init 0
		.amdhsa_user_sgpr_private_segment_size 0
		.amdhsa_wavefront_size32 1
		.amdhsa_uses_dynamic_stack 0
		.amdhsa_system_sgpr_private_segment_wavefront_offset 0
		.amdhsa_system_sgpr_workgroup_id_x 1
		.amdhsa_system_sgpr_workgroup_id_y 1
		.amdhsa_system_sgpr_workgroup_id_z 1
		.amdhsa_system_sgpr_workgroup_info 0
		.amdhsa_system_vgpr_workitem_id 1
		.amdhsa_next_free_vgpr 54
		.amdhsa_next_free_sgpr 26
		.amdhsa_reserve_vcc 1
		.amdhsa_reserve_flat_scratch 0
		.amdhsa_float_round_mode_32 0
		.amdhsa_float_round_mode_16_64 0
		.amdhsa_float_denorm_mode_32 3
		.amdhsa_float_denorm_mode_16_64 3
		.amdhsa_dx10_clamp 1
		.amdhsa_ieee_mode 1
		.amdhsa_fp16_overflow 0
		.amdhsa_workgroup_processor_mode 1
		.amdhsa_memory_ordered 1
		.amdhsa_forward_progress 1
		.amdhsa_shared_vgpr_count 0
		.amdhsa_exception_fp_ieee_invalid_op 0
		.amdhsa_exception_fp_denorm_src 0
		.amdhsa_exception_fp_ieee_div_zero 0
		.amdhsa_exception_fp_ieee_overflow 0
		.amdhsa_exception_fp_ieee_underflow 0
		.amdhsa_exception_fp_ieee_inexact 0
		.amdhsa_exception_int_div_zero 0
	.end_amdhsa_kernel
	.section	.text._ZL13mul_mat_vec_qIL9ggml_type11ELi7ELb0ELb0EEvPKvS2_PKi31ggml_cuda_mm_fusion_args_devicePfj15HIP_vector_typeIjLj3EEjjjS8_jjjS8_jjjj,"axG",@progbits,_ZL13mul_mat_vec_qIL9ggml_type11ELi7ELb0ELb0EEvPKvS2_PKi31ggml_cuda_mm_fusion_args_devicePfj15HIP_vector_typeIjLj3EEjjjS8_jjjS8_jjjj,comdat
.Lfunc_end118:
	.size	_ZL13mul_mat_vec_qIL9ggml_type11ELi7ELb0ELb0EEvPKvS2_PKi31ggml_cuda_mm_fusion_args_devicePfj15HIP_vector_typeIjLj3EEjjjS8_jjjS8_jjjj, .Lfunc_end118-_ZL13mul_mat_vec_qIL9ggml_type11ELi7ELb0ELb0EEvPKvS2_PKi31ggml_cuda_mm_fusion_args_devicePfj15HIP_vector_typeIjLj3EEjjjS8_jjjS8_jjjj
                                        ; -- End function
	.set _ZL13mul_mat_vec_qIL9ggml_type11ELi7ELb0ELb0EEvPKvS2_PKi31ggml_cuda_mm_fusion_args_devicePfj15HIP_vector_typeIjLj3EEjjjS8_jjjS8_jjjj.num_vgpr, 54
	.set _ZL13mul_mat_vec_qIL9ggml_type11ELi7ELb0ELb0EEvPKvS2_PKi31ggml_cuda_mm_fusion_args_devicePfj15HIP_vector_typeIjLj3EEjjjS8_jjjS8_jjjj.num_agpr, 0
	.set _ZL13mul_mat_vec_qIL9ggml_type11ELi7ELb0ELb0EEvPKvS2_PKi31ggml_cuda_mm_fusion_args_devicePfj15HIP_vector_typeIjLj3EEjjjS8_jjjS8_jjjj.numbered_sgpr, 26
	.set _ZL13mul_mat_vec_qIL9ggml_type11ELi7ELb0ELb0EEvPKvS2_PKi31ggml_cuda_mm_fusion_args_devicePfj15HIP_vector_typeIjLj3EEjjjS8_jjjS8_jjjj.num_named_barrier, 0
	.set _ZL13mul_mat_vec_qIL9ggml_type11ELi7ELb0ELb0EEvPKvS2_PKi31ggml_cuda_mm_fusion_args_devicePfj15HIP_vector_typeIjLj3EEjjjS8_jjjS8_jjjj.private_seg_size, 0
	.set _ZL13mul_mat_vec_qIL9ggml_type11ELi7ELb0ELb0EEvPKvS2_PKi31ggml_cuda_mm_fusion_args_devicePfj15HIP_vector_typeIjLj3EEjjjS8_jjjS8_jjjj.uses_vcc, 1
	.set _ZL13mul_mat_vec_qIL9ggml_type11ELi7ELb0ELb0EEvPKvS2_PKi31ggml_cuda_mm_fusion_args_devicePfj15HIP_vector_typeIjLj3EEjjjS8_jjjS8_jjjj.uses_flat_scratch, 0
	.set _ZL13mul_mat_vec_qIL9ggml_type11ELi7ELb0ELb0EEvPKvS2_PKi31ggml_cuda_mm_fusion_args_devicePfj15HIP_vector_typeIjLj3EEjjjS8_jjjS8_jjjj.has_dyn_sized_stack, 0
	.set _ZL13mul_mat_vec_qIL9ggml_type11ELi7ELb0ELb0EEvPKvS2_PKi31ggml_cuda_mm_fusion_args_devicePfj15HIP_vector_typeIjLj3EEjjjS8_jjjS8_jjjj.has_recursion, 0
	.set _ZL13mul_mat_vec_qIL9ggml_type11ELi7ELb0ELb0EEvPKvS2_PKi31ggml_cuda_mm_fusion_args_devicePfj15HIP_vector_typeIjLj3EEjjjS8_jjjS8_jjjj.has_indirect_call, 0
	.section	.AMDGPU.csdata,"",@progbits
; Kernel info:
; codeLenInByte = 3988
; TotalNumSgprs: 28
; NumVgprs: 54
; ScratchSize: 0
; MemoryBound: 0
; FloatMode: 240
; IeeeMode: 1
; LDSByteSize: 0 bytes/workgroup (compile time only)
; SGPRBlocks: 0
; VGPRBlocks: 6
; NumSGPRsForWavesPerEU: 28
; NumVGPRsForWavesPerEU: 54
; Occupancy: 16
; WaveLimiterHint : 0
; COMPUTE_PGM_RSRC2:SCRATCH_EN: 0
; COMPUTE_PGM_RSRC2:USER_SGPR: 6
; COMPUTE_PGM_RSRC2:TRAP_HANDLER: 0
; COMPUTE_PGM_RSRC2:TGID_X_EN: 1
; COMPUTE_PGM_RSRC2:TGID_Y_EN: 1
; COMPUTE_PGM_RSRC2:TGID_Z_EN: 1
; COMPUTE_PGM_RSRC2:TIDIG_COMP_CNT: 1
	.section	.text._ZL13mul_mat_vec_qIL9ggml_type11ELi8ELb0ELb0EEvPKvS2_PKi31ggml_cuda_mm_fusion_args_devicePfj15HIP_vector_typeIjLj3EEjjjS8_jjjS8_jjjj,"axG",@progbits,_ZL13mul_mat_vec_qIL9ggml_type11ELi8ELb0ELb0EEvPKvS2_PKi31ggml_cuda_mm_fusion_args_devicePfj15HIP_vector_typeIjLj3EEjjjS8_jjjS8_jjjj,comdat
	.globl	_ZL13mul_mat_vec_qIL9ggml_type11ELi8ELb0ELb0EEvPKvS2_PKi31ggml_cuda_mm_fusion_args_devicePfj15HIP_vector_typeIjLj3EEjjjS8_jjjS8_jjjj ; -- Begin function _ZL13mul_mat_vec_qIL9ggml_type11ELi8ELb0ELb0EEvPKvS2_PKi31ggml_cuda_mm_fusion_args_devicePfj15HIP_vector_typeIjLj3EEjjjS8_jjjS8_jjjj
	.p2align	8
	.type	_ZL13mul_mat_vec_qIL9ggml_type11ELi8ELb0ELb0EEvPKvS2_PKi31ggml_cuda_mm_fusion_args_devicePfj15HIP_vector_typeIjLj3EEjjjS8_jjjS8_jjjj,@function
_ZL13mul_mat_vec_qIL9ggml_type11ELi8ELb0ELb0EEvPKvS2_PKi31ggml_cuda_mm_fusion_args_devicePfj15HIP_vector_typeIjLj3EEjjjS8_jjjS8_jjjj: ; @_ZL13mul_mat_vec_qIL9ggml_type11ELi8ELb0ELb0EEvPKvS2_PKi31ggml_cuda_mm_fusion_args_devicePfj15HIP_vector_typeIjLj3EEjjjS8_jjjS8_jjjj
; %bb.0:
	s_clause 0x5
	s_load_dword s9, s[4:5], 0x40
	s_load_dwordx4 s[0:3], s[4:5], 0x50
	s_load_dword s11, s[4:5], 0x60
	s_load_dwordx4 s[12:15], s[4:5], 0x68
	;; [unrolled: 2-line block ×3, first 2 shown]
	v_lshl_or_b32 v2, v1, 5, v0
	v_mov_b32_e32 v7, 0
	v_mov_b32_e32 v6, 0
	;; [unrolled: 1-line block ×4, first 2 shown]
	v_lshrrev_b32_e32 v12, 4, v2
	v_mov_b32_e32 v10, 0
	v_mov_b32_e32 v11, 0
	;; [unrolled: 1-line block ×4, first 2 shown]
	s_waitcnt lgkmcnt(0)
	s_lshr_b32 s10, s9, 8
	s_mov_b32 s9, exec_lo
	v_cmpx_gt_u32_e64 s10, v12
	s_cbranch_execz .LBB119_4
; %bb.1:
	s_load_dwordx4 s[20:23], s[4:5], 0x0
	v_and_b32_e32 v7, 8, v0
	v_bfe_u32 v15, v0, 2, 1
	v_bfe_u32 v4, v0, 3, 1
	s_mul_hi_u32 s3, s3, s7
	s_mul_hi_u32 s15, s15, s8
	v_lshrrev_b32_e32 v2, 1, v0
	v_or_b32_e32 v10, v15, v7
	v_mul_hi_u32_u24_e32 v5, 0x90, v4
	v_mul_u32_u24_e32 v4, 0x90, v4
	s_mul_i32 s17, s17, s8
	s_add_i32 s3, s7, s3
	s_add_i32 s15, s8, s15
	s_mul_i32 s13, s13, s7
	v_lshlrev_b32_e32 v3, 1, v0
	s_mul_hi_u32 s19, s17, 36
	s_mul_i32 s17, s17, 36
	s_lshr_b32 s3, s3, s11
	v_and_b32_e32 v8, 7, v0
	v_or_b32_e32 v13, 6, v10
	v_mad_u64_u32 v[4:5], null, 0x120, v12, v[4:5]
	s_lshr_b32 s11, s15, s24
	s_mul_hi_u32 s25, s13, 36
	s_mul_i32 s13, s13, 36
	s_mul_i32 s3, s3, s12
	s_waitcnt lgkmcnt(0)
	s_add_u32 s12, s22, s17
	v_and_b32_e32 v16, 4, v2
	s_addc_u32 s15, s23, s19
	s_add_u32 s12, s12, s13
	s_addc_u32 s13, s15, s25
	v_and_b32_e32 v9, 30, v3
	v_lshlrev_b32_e32 v11, 1, v8
	v_or_b32_e32 v10, 4, v10
	v_lshrrev_b32_e32 v17, 1, v7
	v_lshrrev_b32_e32 v7, 1, v13
	v_mad_u64_u32 v[2:3], null, v16, 36, s[12:13]
	v_add_co_u32 v4, vcc_lo, s12, v4
	s_mul_i32 s0, s0, s6
	v_mov_b32_e32 v6, 0
	v_and_b32_e32 v18, 5, v10
	v_lshrrev_b32_e32 v19, 1, v10
	v_and_b32_e32 v20, 7, v13
	v_and_b32_e32 v21, 3, v13
	;; [unrolled: 1-line block ×3, first 2 shown]
	v_lshlrev_b32_e32 v23, 2, v8
	v_add_co_ci_u32_e64 v5, null, s13, v5, vcc_lo
	v_lshlrev_b32_e32 v24, 3, v12
	v_lshlrev_b32_e32 v25, 1, v9
	;; [unrolled: 1-line block ×4, first 2 shown]
	v_mov_b32_e32 v7, 0
	v_mov_b32_e32 v9, 0
	;; [unrolled: 1-line block ×7, first 2 shown]
	s_mul_i32 s11, s11, s16
	s_add_i32 s3, s3, s0
	s_lshl_b32 s12, s1, 2
	s_add_i32 s0, s11, s3
	s_lshl_b32 s3, s1, 1
	s_mul_i32 s11, s1, 3
	s_mul_i32 s13, s1, 5
	;; [unrolled: 1-line block ×4, first 2 shown]
	s_mov_b32 s16, 0
.LBB119_2:                              ; =>This Inner Loop Header: Depth=1
	v_add_nc_u32_e32 v28, s0, v12
	v_mov_b32_e32 v48, 0
	v_mov_b32_e32 v46, 0
	;; [unrolled: 1-line block ×3, first 2 shown]
	v_add_nc_u32_e32 v12, 2, v12
	v_mad_i64_i32 v[32:33], null, 0x6e, v28, s[20:21]
	v_add_co_u32 v29, vcc_lo, v32, v25
	v_add_co_ci_u32_e64 v30, null, 0, v33, vcc_lo
	s_clause 0x1
	global_load_ushort v28, v[32:33], off offset:108
	global_load_dword v39, v[29:30], off offset:32
	v_add_co_u32 v29, vcc_lo, v32, v26
	v_add_co_ci_u32_e64 v30, null, 0, v33, vcc_lo
	v_add_co_u32 v35, vcc_lo, v32, v15
	v_add_co_ci_u32_e64 v36, null, 0, v33, vcc_lo
	s_clause 0x1
	global_load_ubyte v38, v[35:36], off offset:104
	global_load_dword v29, v[29:30], off
	s_waitcnt vmcnt(2)
	v_bfe_u32 v34, v39, 24, 2
	s_waitcnt vmcnt(1)
	v_lshrrev_b32_e32 v30, v17, v38
	s_waitcnt vmcnt(0)
	v_ashrrev_i32_e32 v29, v16, v29
	v_lshlrev_b32_e32 v30, 4, v30
	v_not_b32_e32 v40, v29
	global_load_ubyte v29, v[35:36], off offset:96
	v_lshlrev_b32_e32 v41, 2, v40
	v_and_b32_e32 v41, 0x4040404, v41
	v_lshrrev_b32_e32 v43, 24, v41
	v_lshrrev_b16 v44, 8, v41
	v_lshrrev_b32_e32 v42, 16, v41
	v_sub_nc_u16 v34, v34, v43
	v_lshlrev_b16 v34, 8, v34
	s_waitcnt vmcnt(0)
	v_bfe_u32 v29, v29, v17, 4
	v_and_or_b32 v29, v30, 48, v29
	v_subrev_nc_u32_e32 v30, 32, v29
	v_and_b32_e32 v29, 0x3030303, v39
	v_lshrrev_b16 v37, 8, v29
	v_lshrrev_b32_e32 v31, 16, v29
	v_sub_nc_u16 v29, v29, v41
	v_lshlrev_b32_e32 v41, 1, v40
	v_sub_nc_u16 v37, v37, v44
	v_sub_nc_u16 v31, v31, v42
	v_and_b32_e32 v41, 0x4040404, v41
	v_lshlrev_b16 v37, 8, v37
	v_or_b32_sdwa v31, v31, v34 dst_sel:WORD_1 dst_unused:UNUSED_PAD src0_sel:BYTE_0 src1_sel:DWORD
	v_lshrrev_b32_e32 v43, 24, v41
	v_lshrrev_b16 v44, 8, v41
	v_or_b32_sdwa v29, v29, v37 dst_sel:DWORD dst_unused:UNUSED_PAD src0_sel:BYTE_0 src1_sel:DWORD
	v_lshrrev_b32_e32 v42, 16, v41
	v_or_b32_sdwa v34, v29, v31 dst_sel:DWORD dst_unused:UNUSED_PAD src0_sel:WORD_0 src1_sel:DWORD
	s_clause 0x1
	global_load_ubyte v29, v[35:36], off offset:98
	global_load_ubyte v31, v[35:36], off offset:106
	s_waitcnt vmcnt(1)
	v_bfe_u32 v29, v29, v17, 4
	s_waitcnt vmcnt(0)
	v_lshrrev_b32_e32 v31, v17, v31
	v_lshlrev_b32_e32 v31, 4, v31
	v_and_or_b32 v29, v31, 48, v29
	v_subrev_nc_u32_e32 v31, 32, v29
	v_lshrrev_b32_e32 v29, 2, v39
	v_and_b32_e32 v35, 0x3030303, v29
	v_bfe_u32 v29, v29, 24, 2
	v_lshrrev_b16 v37, 8, v35
	v_lshrrev_b32_e32 v36, 16, v35
	v_sub_nc_u16 v29, v29, v43
	v_sub_nc_u16 v35, v35, v41
	;; [unrolled: 1-line block ×4, first 2 shown]
	v_lshlrev_b16 v29, 8, v29
	v_and_b32_e32 v42, 0x4040404, v40
	v_lshrrev_b32_e32 v40, 1, v40
	v_lshlrev_b16 v37, 8, v37
	v_or_b32_sdwa v29, v36, v29 dst_sel:WORD_1 dst_unused:UNUSED_PAD src0_sel:BYTE_0 src1_sel:DWORD
	v_add_co_u32 v36, vcc_lo, v32, v18
	v_or_b32_sdwa v35, v35, v37 dst_sel:DWORD dst_unused:UNUSED_PAD src0_sel:BYTE_0 src1_sel:DWORD
	v_add_co_ci_u32_e64 v37, null, 0, v33, vcc_lo
	v_lshrrev_b32_e32 v44, 24, v42
	v_lshrrev_b16 v45, 8, v42
	v_or_b32_sdwa v35, v35, v29 dst_sel:DWORD dst_unused:UNUSED_PAD src0_sel:WORD_0 src1_sel:DWORD
	global_load_ubyte v29, v[36:37], off offset:96
	v_lshrrev_b32_e32 v36, v19, v38
	v_lshrrev_b32_e32 v43, 16, v42
	v_and_b32_e32 v40, 0x4040404, v40
	v_lshlrev_b32_e32 v36, 4, v36
	s_waitcnt vmcnt(0)
	v_bfe_u32 v29, v29, v17, 4
	v_and_or_b32 v29, v36, 48, v29
	v_lshrrev_b32_e32 v36, 4, v39
	v_subrev_nc_u32_e32 v29, 32, v29
	v_and_b32_e32 v37, 0x3030303, v36
	v_bfe_u32 v36, v36, 24, 2
	v_lshrrev_b16 v41, 8, v37
	v_lshrrev_b32_e32 v38, 16, v37
	v_sub_nc_u16 v36, v36, v44
	v_sub_nc_u16 v37, v37, v42
	v_lshrrev_b32_e32 v42, 24, v40
	v_sub_nc_u16 v41, v41, v45
	v_sub_nc_u16 v38, v38, v43
	v_lshlrev_b16 v36, 8, v36
	v_lshrrev_b16 v43, 8, v40
	v_lshlrev_b16 v41, 8, v41
	v_or_b32_sdwa v36, v38, v36 dst_sel:WORD_1 dst_unused:UNUSED_PAD src0_sel:BYTE_0 src1_sel:DWORD
	v_or_b32_sdwa v37, v37, v41 dst_sel:DWORD dst_unused:UNUSED_PAD src0_sel:BYTE_0 src1_sel:DWORD
	v_lshrrev_b32_e32 v41, 16, v40
	v_or_b32_sdwa v36, v37, v36 dst_sel:DWORD dst_unused:UNUSED_PAD src0_sel:WORD_0 src1_sel:DWORD
	v_add_co_u32 v37, vcc_lo, v32, v20
	v_add_co_ci_u32_e64 v38, null, 0, v33, vcc_lo
	v_add_co_u32 v32, vcc_lo, v32, v21
	v_add_co_ci_u32_e64 v33, null, 0, v33, vcc_lo
	s_clause 0x1
	global_load_ubyte v37, v[37:38], off offset:96
	global_load_ubyte v32, v[32:33], off offset:104
	v_lshrrev_b32_e32 v33, 6, v39
	v_lshrrev_b32_e32 v38, 30, v39
	v_and_b32_e32 v33, 0x3030303, v33
	v_sub_nc_u16 v38, v38, v42
	v_lshrrev_b16 v39, 8, v33
	v_lshlrev_b16 v38, 8, v38
	v_sub_nc_u16 v39, v39, v43
	v_lshlrev_b16 v39, 8, v39
	s_waitcnt vmcnt(1)
	v_bfe_u32 v37, v37, v17, 4
	s_waitcnt vmcnt(0)
	v_lshrrev_b32_e32 v32, v22, v32
	v_lshlrev_b32_e32 v32, 4, v32
	v_and_or_b32 v32, v32, 48, v37
	v_lshrrev_b32_e32 v37, 16, v33
	v_sub_nc_u16 v33, v33, v40
	v_subrev_nc_u32_e32 v32, 32, v32
	v_sub_nc_u16 v37, v37, v41
	v_or_b32_sdwa v33, v33, v39 dst_sel:DWORD dst_unused:UNUSED_PAD src0_sel:BYTE_0 src1_sel:DWORD
	v_or_b32_sdwa v37, v37, v38 dst_sel:WORD_1 dst_unused:UNUSED_PAD src0_sel:BYTE_0 src1_sel:DWORD
	v_or_b32_sdwa v33, v33, v37 dst_sel:DWORD dst_unused:UNUSED_PAD src0_sel:WORD_0 src1_sel:DWORD
	v_add_co_u32 v37, vcc_lo, v4, v23
	v_add_co_ci_u32_e64 v38, null, 0, v5, vcc_lo
	s_clause 0x7
	global_load_dword v39, v[37:38], off offset:4
	global_load_dword v41, v[4:5], off
	global_load_dword v40, v[37:38], off offset:40
	global_load_dword v42, v[4:5], off offset:36
	global_load_dword v43, v[37:38], off offset:76
	global_load_dword v44, v[4:5], off offset:72
	global_load_dword v37, v[37:38], off offset:112
	global_load_dword v45, v[4:5], off offset:108
	s_waitcnt vmcnt(7)
	v_dot4c_i32_i8 v46, v34, v39
	s_waitcnt vmcnt(5)
	v_dot4c_i32_i8 v47, v35, v40
	;; [unrolled: 2-line block ×3, first 2 shown]
	v_mov_b32_e32 v43, 0
	s_waitcnt vmcnt(1)
	v_dot4c_i32_i8 v43, v33, v37
	v_add_nc_u32_e32 v37, s1, v24
	v_mad_u64_u32 v[37:38], null, v37, 36, v[2:3]
	v_add_co_u32 v39, vcc_lo, v37, v27
	v_add_co_ci_u32_e64 v40, null, 0, v38, vcc_lo
	s_clause 0x7
	global_load_dword v49, v[39:40], off offset:4
	global_load_dword v50, v[37:38], off
	global_load_dword v51, v[39:40], off offset:40
	global_load_dword v52, v[37:38], off offset:36
	;; [unrolled: 1-line block ×6, first 2 shown]
	v_mov_b32_e32 v40, 0
	v_mov_b32_e32 v38, 0
	s_waitcnt vmcnt(7)
	v_dot4c_i32_i8 v38, v34, v49
	v_mov_b32_e32 v49, 0
	s_waitcnt vmcnt(5)
	v_dot4c_i32_i8 v40, v35, v51
	v_mov_b32_e32 v51, 0
	v_mul_lo_u32 v38, v30, v38
	s_waitcnt vmcnt(3)
	v_dot4c_i32_i8 v49, v36, v53
	v_mul_lo_u32 v40, v31, v40
	s_waitcnt vmcnt(1)
	v_dot4c_i32_i8 v51, v33, v39
	v_mul_lo_u32 v39, v30, v46
	v_cvt_f32_i32_e32 v38, v38
	v_cvt_f32_i32_e32 v40, v40
	;; [unrolled: 1-line block ×3, first 2 shown]
	v_fma_mix_f32 v38, v50, v38, 0 op_sel_hi:[1,0,0]
	v_fma_mix_f32 v39, v41, v39, 0 op_sel_hi:[1,0,0]
	v_mul_lo_u32 v41, v31, v47
	v_fma_mix_f32 v38, v52, v40, v38 op_sel_hi:[1,0,0]
	v_mul_lo_u32 v40, v29, v48
	v_mov_b32_e32 v48, 0
	v_cvt_f32_i32_e32 v41, v41
	v_cvt_f32_i32_e32 v40, v40
	v_fma_mix_f32 v39, v42, v41, v39 op_sel_hi:[1,0,0]
	v_mul_lo_u32 v41, v29, v49
	v_fma_mix_f32 v39, v44, v40, v39 op_sel_hi:[1,0,0]
	v_mul_lo_u32 v40, v32, v51
	v_cvt_f32_i32_e32 v41, v41
	v_fma_mix_f32 v38, v54, v41, v38 op_sel_hi:[1,0,0]
	v_mul_lo_u32 v41, v32, v43
	v_cvt_f32_i32_e32 v40, v40
	s_waitcnt vmcnt(0)
	v_fma_mix_f32 v37, v37, v40, v38 op_sel_hi:[1,0,0]
	v_cvt_f32_i32_e32 v41, v41
	v_fma_mix_f32 v13, v37, v28, v13 op_sel_hi:[0,1,0]
	v_add_nc_u32_e32 v37, s3, v24
	v_fma_mix_f32 v38, v45, v41, v39 op_sel_hi:[1,0,0]
	v_fma_mix_f32 v14, v38, v28, v14 op_sel_hi:[0,1,0]
	v_mad_u64_u32 v[37:38], null, v37, 36, v[2:3]
	v_add_co_u32 v39, vcc_lo, v37, v27
	v_add_co_ci_u32_e64 v40, null, 0, v38, vcc_lo
	s_clause 0x7
	global_load_dword v41, v[39:40], off offset:4
	global_load_dword v42, v[37:38], off
	global_load_dword v43, v[39:40], off offset:40
	global_load_dword v44, v[37:38], off offset:36
	;; [unrolled: 1-line block ×6, first 2 shown]
	v_add_nc_u32_e32 v37, s11, v24
	v_mad_u64_u32 v[37:38], null, v37, 36, v[2:3]
	s_waitcnt vmcnt(7)
	v_dot4c_i32_i8 v48, v34, v41
	v_mov_b32_e32 v41, 0
	s_waitcnt vmcnt(5)
	v_dot4c_i32_i8 v41, v35, v43
	v_mov_b32_e32 v43, 0
	v_mul_lo_u32 v41, v31, v41
	s_waitcnt vmcnt(3)
	v_dot4c_i32_i8 v43, v36, v45
	v_mov_b32_e32 v45, 0
	s_waitcnt vmcnt(1)
	v_dot4c_i32_i8 v45, v33, v39
	v_add_co_u32 v39, vcc_lo, v37, v27
	v_add_co_ci_u32_e64 v40, null, 0, v38, vcc_lo
	s_clause 0x7
	global_load_dword v49, v[39:40], off offset:4
	global_load_dword v50, v[37:38], off
	global_load_dword v51, v[39:40], off offset:40
	global_load_dword v52, v[37:38], off offset:36
	;; [unrolled: 1-line block ×6, first 2 shown]
	v_mov_b32_e32 v38, 0
	v_mov_b32_e32 v40, 0
	v_cvt_f32_i32_e32 v41, v41
	s_waitcnt vmcnt(7)
	v_dot4c_i32_i8 v38, v34, v49
	v_mov_b32_e32 v49, 0
	s_waitcnt vmcnt(5)
	v_dot4c_i32_i8 v40, v35, v51
	v_mov_b32_e32 v51, 0
	v_mul_lo_u32 v38, v30, v38
	s_waitcnt vmcnt(3)
	v_dot4c_i32_i8 v49, v36, v53
	v_mul_lo_u32 v40, v31, v40
	s_waitcnt vmcnt(1)
	v_dot4c_i32_i8 v51, v33, v39
	v_mul_lo_u32 v39, v30, v48
	v_mov_b32_e32 v48, 0
	v_cvt_f32_i32_e32 v38, v38
	v_cvt_f32_i32_e32 v40, v40
	;; [unrolled: 1-line block ×3, first 2 shown]
	v_fma_mix_f32 v38, v50, v38, 0 op_sel_hi:[1,0,0]
	v_fma_mix_f32 v39, v42, v39, 0 op_sel_hi:[1,0,0]
	;; [unrolled: 1-line block ×3, first 2 shown]
	v_mul_lo_u32 v40, v29, v43
	v_fma_mix_f32 v39, v44, v41, v39 op_sel_hi:[1,0,0]
	v_mul_lo_u32 v41, v29, v49
	v_cvt_f32_i32_e32 v40, v40
	v_cvt_f32_i32_e32 v41, v41
	v_fma_mix_f32 v39, v46, v40, v39 op_sel_hi:[1,0,0]
	v_mul_lo_u32 v40, v32, v51
	v_fma_mix_f32 v38, v54, v41, v38 op_sel_hi:[1,0,0]
	v_mul_lo_u32 v41, v32, v45
	v_cvt_f32_i32_e32 v40, v40
	v_cvt_f32_i32_e32 v41, v41
	s_waitcnt vmcnt(0)
	v_fma_mix_f32 v37, v37, v40, v38 op_sel_hi:[1,0,0]
	v_fma_mix_f32 v38, v47, v41, v39 op_sel_hi:[1,0,0]
	;; [unrolled: 1-line block ×3, first 2 shown]
	v_add_nc_u32_e32 v37, s12, v24
	v_fma_mix_f32 v11, v38, v28, v11 op_sel_hi:[0,1,0]
	v_mad_u64_u32 v[37:38], null, v37, 36, v[2:3]
	v_add_co_u32 v39, vcc_lo, v37, v27
	v_add_co_ci_u32_e64 v40, null, 0, v38, vcc_lo
	s_clause 0x7
	global_load_dword v41, v[39:40], off offset:4
	global_load_dword v42, v[37:38], off
	global_load_dword v43, v[39:40], off offset:40
	global_load_dword v44, v[37:38], off offset:36
	;; [unrolled: 1-line block ×6, first 2 shown]
	v_add_nc_u32_e32 v37, s13, v24
	v_mad_u64_u32 v[37:38], null, v37, 36, v[2:3]
	s_waitcnt vmcnt(7)
	v_dot4c_i32_i8 v48, v34, v41
	v_mov_b32_e32 v41, 0
	s_waitcnt vmcnt(5)
	v_dot4c_i32_i8 v41, v35, v43
	v_mov_b32_e32 v43, 0
	v_mul_lo_u32 v41, v31, v41
	s_waitcnt vmcnt(3)
	v_dot4c_i32_i8 v43, v36, v45
	v_mov_b32_e32 v45, 0
	s_waitcnt vmcnt(1)
	v_dot4c_i32_i8 v45, v33, v39
	v_add_co_u32 v39, vcc_lo, v37, v27
	v_add_co_ci_u32_e64 v40, null, 0, v38, vcc_lo
	s_clause 0x7
	global_load_dword v49, v[39:40], off offset:4
	global_load_dword v50, v[37:38], off
	global_load_dword v51, v[39:40], off offset:40
	global_load_dword v52, v[37:38], off offset:36
	;; [unrolled: 1-line block ×6, first 2 shown]
	v_mov_b32_e32 v38, 0
	v_mov_b32_e32 v40, 0
	v_cvt_f32_i32_e32 v41, v41
	s_waitcnt vmcnt(7)
	v_dot4c_i32_i8 v38, v34, v49
	v_mov_b32_e32 v49, 0
	s_waitcnt vmcnt(5)
	v_dot4c_i32_i8 v40, v35, v51
	v_mov_b32_e32 v51, 0
	v_mul_lo_u32 v38, v30, v38
	s_waitcnt vmcnt(3)
	v_dot4c_i32_i8 v49, v36, v53
	v_mul_lo_u32 v40, v31, v40
	s_waitcnt vmcnt(1)
	v_dot4c_i32_i8 v51, v33, v39
	v_mul_lo_u32 v39, v30, v48
	v_mov_b32_e32 v48, 0
	v_cvt_f32_i32_e32 v38, v38
	v_cvt_f32_i32_e32 v40, v40
	;; [unrolled: 1-line block ×3, first 2 shown]
	v_fma_mix_f32 v38, v50, v38, 0 op_sel_hi:[1,0,0]
	v_fma_mix_f32 v39, v42, v39, 0 op_sel_hi:[1,0,0]
	;; [unrolled: 1-line block ×3, first 2 shown]
	v_mul_lo_u32 v40, v29, v43
	v_fma_mix_f32 v39, v44, v41, v39 op_sel_hi:[1,0,0]
	v_mul_lo_u32 v41, v29, v49
	v_cvt_f32_i32_e32 v40, v40
	v_cvt_f32_i32_e32 v41, v41
	v_fma_mix_f32 v39, v46, v40, v39 op_sel_hi:[1,0,0]
	v_mul_lo_u32 v40, v32, v51
	v_fma_mix_f32 v38, v54, v41, v38 op_sel_hi:[1,0,0]
	v_mul_lo_u32 v41, v32, v45
	v_cvt_f32_i32_e32 v40, v40
	v_cvt_f32_i32_e32 v41, v41
	s_waitcnt vmcnt(0)
	v_fma_mix_f32 v37, v37, v40, v38 op_sel_hi:[1,0,0]
	v_fma_mix_f32 v38, v47, v41, v39 op_sel_hi:[1,0,0]
	;; [unrolled: 1-line block ×3, first 2 shown]
	v_add_nc_u32_e32 v37, s15, v24
	v_fma_mix_f32 v9, v38, v28, v9 op_sel_hi:[0,1,0]
	v_mad_u64_u32 v[37:38], null, v37, 36, v[2:3]
	v_add_co_u32 v39, vcc_lo, v37, v27
	v_add_co_ci_u32_e64 v40, null, 0, v38, vcc_lo
	s_clause 0x7
	global_load_dword v41, v[39:40], off offset:4
	global_load_dword v42, v[37:38], off
	global_load_dword v43, v[39:40], off offset:40
	global_load_dword v44, v[37:38], off offset:36
	;; [unrolled: 1-line block ×6, first 2 shown]
	v_add_nc_u32_e32 v37, s17, v24
	v_add_nc_u32_e32 v24, 16, v24
	v_mad_u64_u32 v[37:38], null, v37, 36, v[2:3]
	s_waitcnt vmcnt(7)
	v_dot4c_i32_i8 v48, v34, v41
	v_mov_b32_e32 v41, 0
	s_waitcnt vmcnt(5)
	v_dot4c_i32_i8 v41, v35, v43
	v_mov_b32_e32 v43, 0
	;; [unrolled: 3-line block ×3, first 2 shown]
	s_waitcnt vmcnt(1)
	v_dot4c_i32_i8 v45, v33, v39
	v_add_co_u32 v39, vcc_lo, v37, v27
	v_add_co_ci_u32_e64 v40, null, 0, v38, vcc_lo
	s_clause 0x7
	global_load_dword v49, v[39:40], off offset:4
	global_load_dword v50, v[37:38], off
	global_load_dword v51, v[39:40], off offset:40
	global_load_dword v52, v[37:38], off offset:36
	;; [unrolled: 1-line block ×6, first 2 shown]
	v_mov_b32_e32 v38, 0
	v_add_co_u32 v4, vcc_lo, 0x240, v4
	v_add_co_ci_u32_e64 v5, null, 0, v5, vcc_lo
	v_cmp_le_u32_e32 vcc_lo, s10, v12
	s_or_b32 s16, vcc_lo, s16
	s_waitcnt vmcnt(7)
	v_dot4c_i32_i8 v38, v34, v49
	v_mov_b32_e32 v34, 0
	s_waitcnt vmcnt(5)
	v_dot4c_i32_i8 v34, v35, v51
	v_mov_b32_e32 v35, 0
	v_mul_lo_u32 v34, v31, v34
	s_waitcnt vmcnt(3)
	v_dot4c_i32_i8 v35, v36, v53
	v_mov_b32_e32 v36, 0
	v_mul_lo_u32 v31, v31, v41
	s_waitcnt vmcnt(1)
	v_dot4c_i32_i8 v36, v33, v39
	v_mul_lo_u32 v33, v30, v48
	v_mul_lo_u32 v30, v30, v38
	v_cvt_f32_i32_e32 v34, v34
	v_cvt_f32_i32_e32 v31, v31
	;; [unrolled: 1-line block ×4, first 2 shown]
	v_fma_mix_f32 v33, v42, v33, 0 op_sel_hi:[1,0,0]
	v_fma_mix_f32 v30, v50, v30, 0 op_sel_hi:[1,0,0]
	;; [unrolled: 1-line block ×3, first 2 shown]
	v_mul_lo_u32 v33, v29, v43
	v_mul_lo_u32 v29, v29, v35
	v_fma_mix_f32 v30, v52, v34, v30 op_sel_hi:[1,0,0]
	v_cvt_f32_i32_e32 v33, v33
	v_cvt_f32_i32_e32 v29, v29
	v_fma_mix_f32 v31, v46, v33, v31 op_sel_hi:[1,0,0]
	v_fma_mix_f32 v29, v54, v29, v30 op_sel_hi:[1,0,0]
	v_mul_lo_u32 v30, v32, v36
	v_mul_lo_u32 v32, v32, v45
	v_cvt_f32_i32_e32 v30, v30
	v_cvt_f32_i32_e32 v32, v32
	s_waitcnt vmcnt(0)
	v_fma_mix_f32 v29, v37, v30, v29 op_sel_hi:[1,0,0]
	v_fma_mix_f32 v30, v47, v32, v31 op_sel_hi:[1,0,0]
	;; [unrolled: 1-line block ×4, first 2 shown]
	s_andn2_b32 exec_lo, exec_lo, s16
	s_cbranch_execnz .LBB119_2
; %bb.3:
	s_or_b32 exec_lo, exec_lo, s16
.LBB119_4:
	s_or_b32 exec_lo, exec_lo, s9
	s_mov_b32 s1, 0
	; wave barrier
	buffer_gl0_inv
	s_mov_b32 s0, exec_lo
	v_cmpx_eq_u32_e32 0, v1
	s_cbranch_execz .LBB119_21
; %bb.5:
	v_mbcnt_lo_u32_b32 v5, -1, 0
	s_load_dwordx2 s[4:5], s[4:5], 0x38
	s_mul_i32 s0, s14, s7
	s_mul_i32 s3, s18, s8
	s_add_i32 s0, s0, s6
	v_xor_b32_e32 v1, 16, v5
	v_xor_b32_e32 v2, 8, v5
	;; [unrolled: 1-line block ×3, first 2 shown]
	s_add_i32 s0, s0, s3
	s_lshl_b64 s[0:1], s[0:1], 2
	v_cmp_gt_i32_e32 vcc_lo, 32, v1
	v_cndmask_b32_e32 v1, v5, v1, vcc_lo
	v_cmp_gt_i32_e32 vcc_lo, 32, v2
	v_lshlrev_b32_e32 v1, 2, v1
	v_cndmask_b32_e32 v2, v5, v2, vcc_lo
	s_waitcnt lgkmcnt(0)
	s_add_u32 s0, s4, s0
	s_addc_u32 s1, s5, s1
	ds_bpermute_b32 v3, v1, v14
	v_lshlrev_b32_e32 v2, 2, v2
	s_waitcnt lgkmcnt(0)
	v_add_f32_e32 v4, v14, v3
	v_xor_b32_e32 v3, 4, v5
	ds_bpermute_b32 v12, v2, v4
	v_cmp_gt_i32_e32 vcc_lo, 32, v3
	v_cndmask_b32_e32 v3, v5, v3, vcc_lo
	v_lshlrev_b32_e32 v3, 2, v3
	s_waitcnt lgkmcnt(0)
	v_add_f32_e32 v12, v4, v12
	v_xor_b32_e32 v4, 2, v5
	ds_bpermute_b32 v14, v3, v12
	v_cmp_gt_i32_e32 vcc_lo, 32, v4
	v_cndmask_b32_e32 v4, v5, v4, vcc_lo
	v_cmp_gt_i32_e32 vcc_lo, 32, v15
	v_lshlrev_b32_e32 v4, 2, v4
	v_cndmask_b32_e32 v5, v5, v15, vcc_lo
	v_cmp_eq_u32_e32 vcc_lo, 0, v0
	v_lshlrev_b32_e32 v5, 2, v5
	s_waitcnt lgkmcnt(0)
	v_add_f32_e32 v12, v12, v14
	ds_bpermute_b32 v14, v4, v12
	s_waitcnt lgkmcnt(0)
	v_add_f32_e32 v12, v12, v14
	ds_bpermute_b32 v14, v5, v12
	s_and_saveexec_b32 s3, vcc_lo
	s_cbranch_execz .LBB119_7
; %bb.6:
	s_waitcnt lgkmcnt(0)
	v_add_f32_e32 v0, v12, v14
	v_mov_b32_e32 v12, 0
	global_store_dword v12, v0, s[0:1]
.LBB119_7:
	s_or_b32 exec_lo, exec_lo, s3
	ds_bpermute_b32 v0, v1, v13
	s_waitcnt lgkmcnt(0)
	v_add_f32_e32 v0, v13, v0
	ds_bpermute_b32 v12, v2, v0
	s_waitcnt lgkmcnt(0)
	v_add_f32_e32 v0, v0, v12
	;; [unrolled: 3-line block ×4, first 2 shown]
	ds_bpermute_b32 v12, v5, v0
	s_and_saveexec_b32 s4, vcc_lo
	s_cbranch_execz .LBB119_9
; %bb.8:
	s_mov_b32 s3, 0
	s_waitcnt lgkmcnt(0)
	v_add_f32_e32 v0, v0, v12
	s_lshl_b64 s[6:7], s[2:3], 2
	v_mov_b32_e32 v12, 0
	s_add_u32 s6, s0, s6
	s_addc_u32 s7, s1, s7
	global_store_dword v12, v0, s[6:7]
.LBB119_9:
	s_or_b32 exec_lo, exec_lo, s4
	ds_bpermute_b32 v0, v1, v11
	s_waitcnt lgkmcnt(0)
	v_add_f32_e32 v0, v11, v0
	ds_bpermute_b32 v11, v2, v0
	s_waitcnt lgkmcnt(0)
	v_add_f32_e32 v0, v0, v11
	;; [unrolled: 3-line block ×4, first 2 shown]
	ds_bpermute_b32 v11, v5, v0
	s_and_saveexec_b32 s3, vcc_lo
	s_cbranch_execz .LBB119_11
; %bb.10:
	s_lshl_b32 s4, s2, 1
	s_mov_b32 s5, 0
	s_waitcnt lgkmcnt(0)
	v_add_f32_e32 v0, v0, v11
	s_lshl_b64 s[4:5], s[4:5], 2
	v_mov_b32_e32 v11, 0
	s_add_u32 s4, s0, s4
	s_addc_u32 s5, s1, s5
	global_store_dword v11, v0, s[4:5]
.LBB119_11:
	s_or_b32 exec_lo, exec_lo, s3
	ds_bpermute_b32 v0, v1, v10
	s_waitcnt lgkmcnt(0)
	v_add_f32_e32 v0, v10, v0
	ds_bpermute_b32 v10, v2, v0
	s_waitcnt lgkmcnt(0)
	v_add_f32_e32 v0, v0, v10
	;; [unrolled: 3-line block ×4, first 2 shown]
	ds_bpermute_b32 v10, v5, v0
	s_and_saveexec_b32 s3, vcc_lo
	s_cbranch_execz .LBB119_13
; %bb.12:
	s_mul_i32 s4, s2, 3
	s_mov_b32 s5, 0
	s_waitcnt lgkmcnt(0)
	v_add_f32_e32 v0, v0, v10
	s_lshl_b64 s[4:5], s[4:5], 2
	v_mov_b32_e32 v10, 0
	s_add_u32 s4, s0, s4
	s_addc_u32 s5, s1, s5
	global_store_dword v10, v0, s[4:5]
.LBB119_13:
	s_or_b32 exec_lo, exec_lo, s3
	ds_bpermute_b32 v0, v1, v9
	s_waitcnt lgkmcnt(0)
	v_add_f32_e32 v0, v9, v0
	ds_bpermute_b32 v9, v2, v0
	s_waitcnt lgkmcnt(0)
	v_add_f32_e32 v0, v0, v9
	;; [unrolled: 3-line block ×4, first 2 shown]
	ds_bpermute_b32 v9, v5, v0
	s_and_saveexec_b32 s3, vcc_lo
	s_cbranch_execz .LBB119_15
; %bb.14:
	s_lshl_b32 s4, s2, 2
	s_mov_b32 s5, 0
	s_waitcnt lgkmcnt(0)
	v_add_f32_e32 v0, v0, v9
	s_lshl_b64 s[4:5], s[4:5], 2
	v_mov_b32_e32 v9, 0
	s_add_u32 s4, s0, s4
	s_addc_u32 s5, s1, s5
	global_store_dword v9, v0, s[4:5]
.LBB119_15:
	s_or_b32 exec_lo, exec_lo, s3
	ds_bpermute_b32 v0, v1, v8
	s_waitcnt lgkmcnt(0)
	v_add_f32_e32 v0, v8, v0
	ds_bpermute_b32 v8, v2, v0
	s_waitcnt lgkmcnt(0)
	v_add_f32_e32 v0, v0, v8
	;; [unrolled: 3-line block ×4, first 2 shown]
	ds_bpermute_b32 v8, v5, v0
	s_and_saveexec_b32 s3, vcc_lo
	s_cbranch_execz .LBB119_17
; %bb.16:
	s_mul_i32 s4, s2, 5
	s_mov_b32 s5, 0
	s_waitcnt lgkmcnt(0)
	v_add_f32_e32 v0, v0, v8
	s_lshl_b64 s[4:5], s[4:5], 2
	v_mov_b32_e32 v8, 0
	s_add_u32 s4, s0, s4
	s_addc_u32 s5, s1, s5
	global_store_dword v8, v0, s[4:5]
.LBB119_17:
	s_or_b32 exec_lo, exec_lo, s3
	ds_bpermute_b32 v0, v1, v6
	s_waitcnt lgkmcnt(0)
	v_add_f32_e32 v0, v6, v0
	ds_bpermute_b32 v6, v2, v0
	s_waitcnt lgkmcnt(0)
	v_add_f32_e32 v0, v0, v6
	;; [unrolled: 3-line block ×4, first 2 shown]
	ds_bpermute_b32 v6, v5, v0
	s_and_saveexec_b32 s3, vcc_lo
	s_cbranch_execz .LBB119_19
; %bb.18:
	s_mul_i32 s4, s2, 6
	s_mov_b32 s5, 0
	s_waitcnt lgkmcnt(0)
	v_add_f32_e32 v0, v0, v6
	s_lshl_b64 s[4:5], s[4:5], 2
	v_mov_b32_e32 v6, 0
	s_add_u32 s4, s0, s4
	s_addc_u32 s5, s1, s5
	global_store_dword v6, v0, s[4:5]
.LBB119_19:
	s_or_b32 exec_lo, exec_lo, s3
	ds_bpermute_b32 v0, v1, v7
	s_waitcnt lgkmcnt(0)
	v_add_f32_e32 v0, v7, v0
	ds_bpermute_b32 v1, v2, v0
	s_waitcnt lgkmcnt(0)
	v_add_f32_e32 v0, v0, v1
	;; [unrolled: 3-line block ×4, first 2 shown]
	ds_bpermute_b32 v1, v5, v0
	s_and_b32 exec_lo, exec_lo, vcc_lo
	s_cbranch_execz .LBB119_21
; %bb.20:
	s_mul_i32 s2, s2, 7
	s_mov_b32 s3, 0
	s_waitcnt lgkmcnt(0)
	v_add_f32_e32 v0, v0, v1
	s_lshl_b64 s[2:3], s[2:3], 2
	v_mov_b32_e32 v1, 0
	s_add_u32 s0, s0, s2
	s_addc_u32 s1, s1, s3
	global_store_dword v1, v0, s[0:1]
.LBB119_21:
	s_endpgm
	.section	.rodata,"a",@progbits
	.p2align	6, 0x0
	.amdhsa_kernel _ZL13mul_mat_vec_qIL9ggml_type11ELi8ELb0ELb0EEvPKvS2_PKi31ggml_cuda_mm_fusion_args_devicePfj15HIP_vector_typeIjLj3EEjjjS8_jjjS8_jjjj
		.amdhsa_group_segment_fixed_size 0
		.amdhsa_private_segment_fixed_size 0
		.amdhsa_kernarg_size 144
		.amdhsa_user_sgpr_count 6
		.amdhsa_user_sgpr_private_segment_buffer 1
		.amdhsa_user_sgpr_dispatch_ptr 0
		.amdhsa_user_sgpr_queue_ptr 0
		.amdhsa_user_sgpr_kernarg_segment_ptr 1
		.amdhsa_user_sgpr_dispatch_id 0
		.amdhsa_user_sgpr_flat_scratch_init 0
		.amdhsa_user_sgpr_private_segment_size 0
		.amdhsa_wavefront_size32 1
		.amdhsa_uses_dynamic_stack 0
		.amdhsa_system_sgpr_private_segment_wavefront_offset 0
		.amdhsa_system_sgpr_workgroup_id_x 1
		.amdhsa_system_sgpr_workgroup_id_y 1
		.amdhsa_system_sgpr_workgroup_id_z 1
		.amdhsa_system_sgpr_workgroup_info 0
		.amdhsa_system_vgpr_workitem_id 1
		.amdhsa_next_free_vgpr 55
		.amdhsa_next_free_sgpr 26
		.amdhsa_reserve_vcc 1
		.amdhsa_reserve_flat_scratch 0
		.amdhsa_float_round_mode_32 0
		.amdhsa_float_round_mode_16_64 0
		.amdhsa_float_denorm_mode_32 3
		.amdhsa_float_denorm_mode_16_64 3
		.amdhsa_dx10_clamp 1
		.amdhsa_ieee_mode 1
		.amdhsa_fp16_overflow 0
		.amdhsa_workgroup_processor_mode 1
		.amdhsa_memory_ordered 1
		.amdhsa_forward_progress 1
		.amdhsa_shared_vgpr_count 0
		.amdhsa_exception_fp_ieee_invalid_op 0
		.amdhsa_exception_fp_denorm_src 0
		.amdhsa_exception_fp_ieee_div_zero 0
		.amdhsa_exception_fp_ieee_overflow 0
		.amdhsa_exception_fp_ieee_underflow 0
		.amdhsa_exception_fp_ieee_inexact 0
		.amdhsa_exception_int_div_zero 0
	.end_amdhsa_kernel
	.section	.text._ZL13mul_mat_vec_qIL9ggml_type11ELi8ELb0ELb0EEvPKvS2_PKi31ggml_cuda_mm_fusion_args_devicePfj15HIP_vector_typeIjLj3EEjjjS8_jjjS8_jjjj,"axG",@progbits,_ZL13mul_mat_vec_qIL9ggml_type11ELi8ELb0ELb0EEvPKvS2_PKi31ggml_cuda_mm_fusion_args_devicePfj15HIP_vector_typeIjLj3EEjjjS8_jjjS8_jjjj,comdat
.Lfunc_end119:
	.size	_ZL13mul_mat_vec_qIL9ggml_type11ELi8ELb0ELb0EEvPKvS2_PKi31ggml_cuda_mm_fusion_args_devicePfj15HIP_vector_typeIjLj3EEjjjS8_jjjS8_jjjj, .Lfunc_end119-_ZL13mul_mat_vec_qIL9ggml_type11ELi8ELb0ELb0EEvPKvS2_PKi31ggml_cuda_mm_fusion_args_devicePfj15HIP_vector_typeIjLj3EEjjjS8_jjjS8_jjjj
                                        ; -- End function
	.set _ZL13mul_mat_vec_qIL9ggml_type11ELi8ELb0ELb0EEvPKvS2_PKi31ggml_cuda_mm_fusion_args_devicePfj15HIP_vector_typeIjLj3EEjjjS8_jjjS8_jjjj.num_vgpr, 55
	.set _ZL13mul_mat_vec_qIL9ggml_type11ELi8ELb0ELb0EEvPKvS2_PKi31ggml_cuda_mm_fusion_args_devicePfj15HIP_vector_typeIjLj3EEjjjS8_jjjS8_jjjj.num_agpr, 0
	.set _ZL13mul_mat_vec_qIL9ggml_type11ELi8ELb0ELb0EEvPKvS2_PKi31ggml_cuda_mm_fusion_args_devicePfj15HIP_vector_typeIjLj3EEjjjS8_jjjS8_jjjj.numbered_sgpr, 26
	.set _ZL13mul_mat_vec_qIL9ggml_type11ELi8ELb0ELb0EEvPKvS2_PKi31ggml_cuda_mm_fusion_args_devicePfj15HIP_vector_typeIjLj3EEjjjS8_jjjS8_jjjj.num_named_barrier, 0
	.set _ZL13mul_mat_vec_qIL9ggml_type11ELi8ELb0ELb0EEvPKvS2_PKi31ggml_cuda_mm_fusion_args_devicePfj15HIP_vector_typeIjLj3EEjjjS8_jjjS8_jjjj.private_seg_size, 0
	.set _ZL13mul_mat_vec_qIL9ggml_type11ELi8ELb0ELb0EEvPKvS2_PKi31ggml_cuda_mm_fusion_args_devicePfj15HIP_vector_typeIjLj3EEjjjS8_jjjS8_jjjj.uses_vcc, 1
	.set _ZL13mul_mat_vec_qIL9ggml_type11ELi8ELb0ELb0EEvPKvS2_PKi31ggml_cuda_mm_fusion_args_devicePfj15HIP_vector_typeIjLj3EEjjjS8_jjjS8_jjjj.uses_flat_scratch, 0
	.set _ZL13mul_mat_vec_qIL9ggml_type11ELi8ELb0ELb0EEvPKvS2_PKi31ggml_cuda_mm_fusion_args_devicePfj15HIP_vector_typeIjLj3EEjjjS8_jjjS8_jjjj.has_dyn_sized_stack, 0
	.set _ZL13mul_mat_vec_qIL9ggml_type11ELi8ELb0ELb0EEvPKvS2_PKi31ggml_cuda_mm_fusion_args_devicePfj15HIP_vector_typeIjLj3EEjjjS8_jjjS8_jjjj.has_recursion, 0
	.set _ZL13mul_mat_vec_qIL9ggml_type11ELi8ELb0ELb0EEvPKvS2_PKi31ggml_cuda_mm_fusion_args_devicePfj15HIP_vector_typeIjLj3EEjjjS8_jjjS8_jjjj.has_indirect_call, 0
	.section	.AMDGPU.csdata,"",@progbits
; Kernel info:
; codeLenInByte = 4348
; TotalNumSgprs: 28
; NumVgprs: 55
; ScratchSize: 0
; MemoryBound: 0
; FloatMode: 240
; IeeeMode: 1
; LDSByteSize: 0 bytes/workgroup (compile time only)
; SGPRBlocks: 0
; VGPRBlocks: 6
; NumSGPRsForWavesPerEU: 28
; NumVGPRsForWavesPerEU: 55
; Occupancy: 16
; WaveLimiterHint : 0
; COMPUTE_PGM_RSRC2:SCRATCH_EN: 0
; COMPUTE_PGM_RSRC2:USER_SGPR: 6
; COMPUTE_PGM_RSRC2:TRAP_HANDLER: 0
; COMPUTE_PGM_RSRC2:TGID_X_EN: 1
; COMPUTE_PGM_RSRC2:TGID_Y_EN: 1
; COMPUTE_PGM_RSRC2:TGID_Z_EN: 1
; COMPUTE_PGM_RSRC2:TIDIG_COMP_CNT: 1
	.section	.text._ZL17mul_mat_vec_q_moeIL9ggml_type12ELi2EEvPKvS2_PKiPfj15HIP_vector_typeIjLj3EEjjjjjjjjj,"axG",@progbits,_ZL17mul_mat_vec_q_moeIL9ggml_type12ELi2EEvPKvS2_PKiPfj15HIP_vector_typeIjLj3EEjjjjjjjjj,comdat
	.globl	_ZL17mul_mat_vec_q_moeIL9ggml_type12ELi2EEvPKvS2_PKiPfj15HIP_vector_typeIjLj3EEjjjjjjjjj ; -- Begin function _ZL17mul_mat_vec_q_moeIL9ggml_type12ELi2EEvPKvS2_PKiPfj15HIP_vector_typeIjLj3EEjjjjjjjjj
	.p2align	8
	.type	_ZL17mul_mat_vec_q_moeIL9ggml_type12ELi2EEvPKvS2_PKiPfj15HIP_vector_typeIjLj3EEjjjjjjjjj,@function
_ZL17mul_mat_vec_q_moeIL9ggml_type12ELi2EEvPKvS2_PKiPfj15HIP_vector_typeIjLj3EEjjjjjjjjj: ; @_ZL17mul_mat_vec_q_moeIL9ggml_type12ELi2EEvPKvS2_PKiPfj15HIP_vector_typeIjLj3EEjjjjjjjjj
; %bb.0:
	s_load_dwordx8 s[16:23], s[4:5], 0x30
	s_mov_b32 s0, exec_lo
	s_waitcnt lgkmcnt(0)
	v_cmpx_gt_u32_e64 s23, v1
	s_cbranch_execz .LBB120_15
; %bb.1:
	s_clause 0x2
	s_load_dword s1, s[4:5], 0x20
	s_load_dword s0, s[4:5], 0x50
	s_load_dwordx8 s[8:15], s[4:5], 0x0
	v_lshrrev_b32_e32 v12, 4, v0
	v_mov_b32_e32 v2, 0
	v_mov_b32_e32 v3, 0
	s_mov_b32 s2, s7
	s_lshl_b32 s3, s6, 1
	s_mov_b32 s6, exec_lo
	s_waitcnt lgkmcnt(0)
	s_lshr_b32 s7, s1, 8
	v_cmpx_gt_u32_e64 s7, v12
	s_cbranch_execz .LBB120_13
; %bb.2:
	v_mad_u64_u32 v[2:3], null, s0, v1, s[2:3]
	v_mov_b32_e32 v3, 0
	s_load_dwordx4 s[24:27], s[4:5], 0x24
	v_lshrrev_b32_e32 v9, 4, v0
	v_mul_lo_u32 v6, s18, v1
	v_lshlrev_b32_e32 v7, 1, v0
	v_and_b32_e32 v8, 3, v0
	v_lshlrev_b64 v[4:5], 2, v[2:3]
	s_add_i32 s1, s3, 1
	v_mov_b32_e32 v16, 0xffff
	v_bfe_u32 v10, v7, 3, 2
	v_and_b32_e32 v7, 30, v7
	v_lshlrev_b32_e32 v13, 2, v8
	v_add_co_u32 v4, vcc_lo, s12, v4
	v_add_co_ci_u32_e64 v5, null, s13, v5, vcc_lo
	v_cmp_lt_u32_e32 vcc_lo, 15, v7
	v_lshlrev_b32_e32 v14, 5, v10
	v_lshlrev_b32_e32 v15, 1, v10
	global_load_dword v2, v[4:5], off
	v_bfe_u32 v4, v0, 2, 2
	s_waitcnt lgkmcnt(0)
	s_mul_hi_u32 s0, s24, s2
	s_add_i32 s0, s2, s0
	v_mul_hi_u32_u24_e32 v5, 0x48, v4
	v_mul_u32_u24_e32 v4, 0x48, v4
	s_lshr_b32 s0, s0, s25
	s_mul_i32 s0, s0, s26
	v_mad_u64_u32 v[4:5], null, 0x120, v9, v[4:5]
	s_sub_i32 s0, s2, s0
	s_mul_i32 s0, s0, s21
	s_mul_hi_u32 s4, s0, 36
	s_mul_i32 s0, s0, 36
	v_mad_u64_u32 v[4:5], null, v6, 36, v[4:5]
	s_add_u32 s0, s10, s0
	s_addc_u32 s4, s11, s4
	v_add_co_u32 v7, s0, s0, v4
	v_add_co_ci_u32_e64 v8, null, s4, v5, s0
	s_mov_b32 s4, 0
	s_waitcnt vmcnt(0)
	v_mul_lo_u32 v2, v2, s20
	v_mad_u64_u32 v[4:5], null, s3, s17, v[2:3]
	v_mad_u64_u32 v[5:6], null, s17, s1, v[2:3]
	v_add_co_u32 v6, s0, v7, 36
	v_add_co_ci_u32_e64 v7, null, 0, v8, s0
	v_mov_b32_e32 v2, v3
	s_branch .LBB120_4
.LBB120_3:                              ;   in Loop: Header=BB120_4 Depth=1
	s_or_b32 exec_lo, exec_lo, s0
	global_load_dword v8, v[8:9], off
	v_mov_b32_e32 v9, 0
	v_mov_b32_e32 v10, 0
	s_waitcnt vmcnt(5)
	v_and_b32_e32 v32, 0xf0f0f0f, v24
	v_mov_b32_e32 v34, 0
	v_lshrrev_b32_e32 v24, 4, v24
	s_waitcnt vmcnt(2)
	v_and_b32_e32 v39, 0xf0f0f0f, v28
	v_mov_b32_e32 v41, 0
	v_lshrrev_b32_e32 v28, 4, v28
	v_dot4c_i32_i8 v9, 0x1010101, v22
	v_and_b32_sdwa v11, v16, v26 dst_sel:DWORD dst_unused:UNUSED_PAD src0_sel:DWORD src1_sel:BYTE_1
	v_lshrrev_b32_e32 v31, 24, v26
	v_and_b32_e32 v33, 0xf0f0f0f, v25
	v_bfe_u32 v35, v26, 16, 8
	v_and_b32_e32 v26, 0xff, v26
	v_lshrrev_b32_e32 v25, 4, v25
	v_mov_b32_e32 v36, 0
	v_and_b32_sdwa v38, v16, v30 dst_sel:DWORD dst_unused:UNUSED_PAD src0_sel:DWORD src1_sel:BYTE_1
	s_waitcnt vmcnt(1)
	v_and_b32_e32 v40, 0xf0f0f0f, v27
	v_and_b32_sdwa v30, v16, v30 dst_sel:DWORD dst_unused:UNUSED_PAD src0_sel:DWORD src1_sel:BYTE_0
	v_lshrrev_b32_e32 v27, 4, v27
	v_mov_b32_e32 v42, 0
	v_dot4c_i32_i8 v10, 0x1010101, v21
	v_dot4c_i32_i8 v34, v32, v22
	v_and_b32_e32 v24, 0xf0f0f0f, v24
	v_dot4c_i32_i8 v41, v39, v22
	v_and_b32_e32 v22, 0xf0f0f0f, v28
	v_dot4c_i32_i8 v9, 0x1010101, v20
	v_and_b32_sdwa v43, v16, v29 dst_sel:DWORD dst_unused:UNUSED_PAD src0_sel:DWORD src1_sel:BYTE_1
	v_and_b32_sdwa v29, v16, v29 dst_sel:DWORD dst_unused:UNUSED_PAD src0_sel:DWORD src1_sel:BYTE_0
	v_and_b32_e32 v25, 0xf0f0f0f, v25
	v_and_b32_e32 v27, 0xf0f0f0f, v27
	v_dot4c_i32_i8 v34, v33, v20
	v_dot4c_i32_i8 v10, 0x1010101, v19
	;; [unrolled: 1-line block ×5, first 2 shown]
	v_mul_lo_u32 v21, v9, v26
	v_mul_lo_u32 v9, v9, v30
	;; [unrolled: 1-line block ×3, first 2 shown]
	v_dot4c_i32_i8 v36, v25, v19
	v_mul_lo_u32 v11, v10, v11
	v_dot4c_i32_i8 v42, v27, v19
	v_mul_lo_u32 v19, v41, v29
	v_mul_lo_u32 v10, v10, v38
	v_cvt_f32_i32_e32 v21, v21
	v_cvt_f32_i32_e32 v9, v9
	v_mul_lo_u32 v22, v36, v31
	v_mul_lo_u32 v24, v42, v43
	v_cvt_f32_i32_e32 v20, v20
	v_cvt_f32_i32_e32 v11, v11
	;; [unrolled: 1-line block ×4, first 2 shown]
	v_fma_mix_f32 v21, v18, v21, 0 op_sel_hi:[1,0,0]
	v_fma_mix_f32 v9, v18, v9, 0 op_sel_hi:[1,0,0]
	v_cvt_f32_f16_sdwa v37, v23 dst_sel:DWORD dst_unused:UNUSED_PAD src0_sel:WORD_1
	v_fma_mix_f32 v20, v18, v20, 0 op_sel_hi:[1,0,0]
	v_cvt_f32_i32_e32 v22, v22
	v_cvt_f32_i32_e32 v24, v24
	v_fma_mix_f32 v18, v18, v19, 0 op_sel_hi:[1,0,0]
	v_fma_mix_f32 v11, v17, v11, v21 op_sel_hi:[1,0,0]
	;; [unrolled: 1-line block ×4, first 2 shown]
	v_add_nc_u32_e32 v12, 2, v12
	v_fma_mix_f32 v17, v17, v24, v18 op_sel_hi:[1,0,0]
	v_mul_f32_e32 v11, v11, v37
	v_add_co_u32 v6, s1, 0x240, v6
	v_cmp_le_u32_e64 s0, s7, v12
	v_add_co_ci_u32_e64 v7, null, 0, v7, s1
	s_or_b32 s4, s0, s4
	s_waitcnt vmcnt(0)
	v_cvt_f32_f16_sdwa v10, v8 dst_sel:DWORD dst_unused:UNUSED_PAD src0_sel:WORD_1
	v_mul_f32_e32 v9, v9, v10
	v_fma_mix_f32 v10, v19, v23, -v11 op_sel_hi:[0,1,0]
	v_fma_mix_f32 v8, v17, v8, -v9 op_sel_hi:[0,1,0]
	v_add_f32_e32 v3, v3, v10
	v_add_f32_e32 v2, v2, v8
	s_andn2_b32 exec_lo, exec_lo, s4
	s_cbranch_execz .LBB120_12
.LBB120_4:                              ; =>This Inner Loop Header: Depth=1
	v_add_nc_u32_e32 v8, v4, v12
	s_clause 0x1
	global_load_dword v18, v[6:7], off offset:-36
	global_load_dword v17, v[6:7], off
	v_mad_i64_i32 v[10:11], null, 0x90, v8, s[8:9]
	v_add_co_u32 v8, s0, v6, v13
	v_add_co_ci_u32_e64 v9, null, 0, v7, s0
	v_add_co_u32 v19, s0, v10, v14
	v_add_co_ci_u32_e64 v20, null, 0, v11, s0
	;; [unrolled: 2-line block ×3, first 2 shown]
	s_clause 0x3
	global_load_dword v22, v[8:9], off offset:-32
	global_load_dword v20, v[8:9], off offset:-16
	global_load_dword v21, v[8:9], off offset:4
	global_load_dword v19, v[8:9], off offset:20
	s_clause 0x1
	global_load_dword v24, v[25:26], off offset:16
	global_load_dword v25, v[25:26], off offset:32
	v_add_co_u32 v8, s0, v10, v15
	v_add_co_ci_u32_e64 v9, null, 0, v11, s0
                                        ; implicit-def: $vgpr26
	s_and_saveexec_b32 s0, vcc_lo
	s_xor_b32 s0, exec_lo, s0
	s_cbranch_execz .LBB120_6
; %bb.5:                                ;   in Loop: Header=BB120_4 Depth=1
	s_clause 0x1
	global_load_ushort v23, v[8:9], off offset:8
	global_load_ushort v26, v[8:9], off offset:4
	s_waitcnt vmcnt(1)
	v_mov_b32_e32 v27, v23
	global_load_short_d16_hi v27, v[8:9], off
	s_waitcnt vmcnt(1)
	v_perm_b32 v8, v23, v26, 0x5040100
	v_pk_lshrrev_b16 v8, 2, v8
	v_and_b32_e32 v8, 0xf0f3030, v8
	s_waitcnt vmcnt(0)
	v_pk_lshrrev_b16 v9, 0x20004, v27
	v_and_or_b32 v26, 0x30300f0f, v9, v8
                                        ; implicit-def: $vgpr8_vgpr9
.LBB120_6:                              ;   in Loop: Header=BB120_4 Depth=1
	s_andn2_saveexec_b32 s0, s0
	s_cbranch_execz .LBB120_8
; %bb.7:                                ;   in Loop: Header=BB120_4 Depth=1
	s_clause 0x1
	global_load_ushort v23, v[8:9], off offset:8
	global_load_short_d16_hi v23, v[8:9], off offset:4
	s_waitcnt vmcnt(0)
	v_and_b32_e32 v26, 0x3f3f3f3f, v23
.LBB120_8:                              ;   in Loop: Header=BB120_4 Depth=1
	s_or_b32 exec_lo, exec_lo, s0
	v_add_nc_u32_e32 v8, v5, v12
	v_mad_i64_i32 v[8:9], null, 0x90, v8, s[8:9]
	v_add_co_u32 v23, s0, v8, v14
	v_add_co_ci_u32_e64 v27, null, 0, v9, s0
	v_add_co_u32 v29, s0, v23, v13
	v_add_co_ci_u32_e64 v30, null, 0, v27, s0
	s_clause 0x2
	global_load_dword v23, v[10:11], off
	global_load_dword v28, v[29:30], off offset:16
	global_load_dword v27, v[29:30], off offset:32
	v_add_co_u32 v10, s0, v8, v15
	v_add_co_ci_u32_e64 v11, null, 0, v9, s0
                                        ; implicit-def: $vgpr29
                                        ; implicit-def: $vgpr30
	s_and_saveexec_b32 s0, vcc_lo
	s_xor_b32 s0, exec_lo, s0
	s_cbranch_execz .LBB120_10
; %bb.9:                                ;   in Loop: Header=BB120_4 Depth=1
	s_clause 0x2
	global_load_ushort v29, v[10:11], off
	global_load_ushort v30, v[10:11], off offset:8
	global_load_ushort v10, v[10:11], off offset:4
	s_waitcnt vmcnt(2)
	v_lshrrev_b16 v11, 2, v29
	s_waitcnt vmcnt(1)
	v_lshrrev_b16 v29, 4, v30
	;; [unrolled: 2-line block ×3, first 2 shown]
	v_and_b32_e32 v30, 0xf0f, v30
	v_and_b32_e32 v11, 0x3030, v11
	;; [unrolled: 1-line block ×4, first 2 shown]
	v_or_b32_e32 v29, v11, v30
	v_or_b32_e32 v30, v10, v31
                                        ; implicit-def: $vgpr10_vgpr11
.LBB120_10:                             ;   in Loop: Header=BB120_4 Depth=1
	s_andn2_saveexec_b32 s0, s0
	s_cbranch_execz .LBB120_3
; %bb.11:                               ;   in Loop: Header=BB120_4 Depth=1
	s_clause 0x1
	global_load_ushort v29, v[10:11], off offset:4
	global_load_ushort v10, v[10:11], off offset:8
	s_waitcnt vmcnt(1)
	v_and_b32_e32 v29, 0x3f3f, v29
	s_waitcnt vmcnt(0)
	v_and_b32_e32 v30, 0x3f3f, v10
	s_branch .LBB120_3
.LBB120_12:
	s_or_b32 exec_lo, exec_lo, s4
.LBB120_13:
	s_or_b32 exec_lo, exec_lo, s6
	v_mbcnt_lo_u32_b32 v4, -1, 0
	v_xor_b32_e32 v5, 16, v4
	v_xor_b32_e32 v7, 8, v4
	v_cmp_gt_i32_e32 vcc_lo, 32, v5
	v_cndmask_b32_e32 v5, v4, v5, vcc_lo
	v_cmp_gt_i32_e32 vcc_lo, 32, v7
	v_lshlrev_b32_e32 v5, 2, v5
	v_cndmask_b32_e32 v7, v4, v7, vcc_lo
	ds_bpermute_b32 v6, v5, v3
	ds_bpermute_b32 v5, v5, v2
	v_lshlrev_b32_e32 v7, 2, v7
	s_waitcnt lgkmcnt(1)
	v_add_f32_e32 v3, v3, v6
	s_waitcnt lgkmcnt(0)
	v_add_f32_e32 v2, v2, v5
	ds_bpermute_b32 v5, v7, v3
	ds_bpermute_b32 v6, v7, v2
	v_xor_b32_e32 v7, 4, v4
	v_cmp_gt_i32_e32 vcc_lo, 32, v7
	v_cndmask_b32_e32 v7, v4, v7, vcc_lo
	v_lshlrev_b32_e32 v7, 2, v7
	s_waitcnt lgkmcnt(1)
	v_add_f32_e32 v3, v3, v5
	s_waitcnt lgkmcnt(0)
	v_add_f32_e32 v2, v2, v6
	ds_bpermute_b32 v5, v7, v3
	ds_bpermute_b32 v6, v7, v2
	v_xor_b32_e32 v7, 2, v4
	v_cmp_gt_i32_e32 vcc_lo, 32, v7
	v_cndmask_b32_e32 v7, v4, v7, vcc_lo
	;; [unrolled: 10-line block ×3, first 2 shown]
	v_cmp_gt_u32_e32 vcc_lo, 2, v0
	v_lshlrev_b32_e32 v7, 2, v4
	s_waitcnt lgkmcnt(1)
	v_add_f32_e32 v2, v3, v2
	s_waitcnt lgkmcnt(0)
	v_add_f32_e32 v3, v5, v6
	v_add_nc_u32_e32 v6, s3, v0
	ds_bpermute_b32 v4, v7, v2
	ds_bpermute_b32 v5, v7, v3
	v_cmp_gt_u32_e64 s0, s16, v6
	s_and_b32 s0, vcc_lo, s0
	s_and_b32 exec_lo, exec_lo, s0
	s_cbranch_execz .LBB120_15
; %bb.14:
	v_mul_lo_u32 v1, s19, v1
	v_or_b32_e32 v6, s3, v0
	s_mul_i32 s0, s22, s2
	v_mov_b32_e32 v7, 0
	s_waitcnt lgkmcnt(1)
	v_add_f32_e32 v4, v2, v4
	s_waitcnt lgkmcnt(0)
	v_add_f32_e32 v3, v3, v5
	v_cmp_eq_u32_e32 vcc_lo, 1, v0
	v_add3_u32 v6, v6, v1, s0
	v_cndmask_b32_e32 v3, v4, v3, vcc_lo
	v_lshlrev_b64 v[1:2], 2, v[6:7]
	v_add_co_u32 v0, vcc_lo, s14, v1
	v_add_co_ci_u32_e64 v1, null, s15, v2, vcc_lo
	global_store_dword v[0:1], v3, off
.LBB120_15:
	s_endpgm
	.section	.rodata,"a",@progbits
	.p2align	6, 0x0
	.amdhsa_kernel _ZL17mul_mat_vec_q_moeIL9ggml_type12ELi2EEvPKvS2_PKiPfj15HIP_vector_typeIjLj3EEjjjjjjjjj
		.amdhsa_group_segment_fixed_size 0
		.amdhsa_private_segment_fixed_size 0
		.amdhsa_kernarg_size 84
		.amdhsa_user_sgpr_count 6
		.amdhsa_user_sgpr_private_segment_buffer 1
		.amdhsa_user_sgpr_dispatch_ptr 0
		.amdhsa_user_sgpr_queue_ptr 0
		.amdhsa_user_sgpr_kernarg_segment_ptr 1
		.amdhsa_user_sgpr_dispatch_id 0
		.amdhsa_user_sgpr_flat_scratch_init 0
		.amdhsa_user_sgpr_private_segment_size 0
		.amdhsa_wavefront_size32 1
		.amdhsa_uses_dynamic_stack 0
		.amdhsa_system_sgpr_private_segment_wavefront_offset 0
		.amdhsa_system_sgpr_workgroup_id_x 1
		.amdhsa_system_sgpr_workgroup_id_y 1
		.amdhsa_system_sgpr_workgroup_id_z 0
		.amdhsa_system_sgpr_workgroup_info 0
		.amdhsa_system_vgpr_workitem_id 1
		.amdhsa_next_free_vgpr 44
		.amdhsa_next_free_sgpr 28
		.amdhsa_reserve_vcc 1
		.amdhsa_reserve_flat_scratch 0
		.amdhsa_float_round_mode_32 0
		.amdhsa_float_round_mode_16_64 0
		.amdhsa_float_denorm_mode_32 3
		.amdhsa_float_denorm_mode_16_64 3
		.amdhsa_dx10_clamp 1
		.amdhsa_ieee_mode 1
		.amdhsa_fp16_overflow 0
		.amdhsa_workgroup_processor_mode 1
		.amdhsa_memory_ordered 1
		.amdhsa_forward_progress 1
		.amdhsa_shared_vgpr_count 0
		.amdhsa_exception_fp_ieee_invalid_op 0
		.amdhsa_exception_fp_denorm_src 0
		.amdhsa_exception_fp_ieee_div_zero 0
		.amdhsa_exception_fp_ieee_overflow 0
		.amdhsa_exception_fp_ieee_underflow 0
		.amdhsa_exception_fp_ieee_inexact 0
		.amdhsa_exception_int_div_zero 0
	.end_amdhsa_kernel
	.section	.text._ZL17mul_mat_vec_q_moeIL9ggml_type12ELi2EEvPKvS2_PKiPfj15HIP_vector_typeIjLj3EEjjjjjjjjj,"axG",@progbits,_ZL17mul_mat_vec_q_moeIL9ggml_type12ELi2EEvPKvS2_PKiPfj15HIP_vector_typeIjLj3EEjjjjjjjjj,comdat
.Lfunc_end120:
	.size	_ZL17mul_mat_vec_q_moeIL9ggml_type12ELi2EEvPKvS2_PKiPfj15HIP_vector_typeIjLj3EEjjjjjjjjj, .Lfunc_end120-_ZL17mul_mat_vec_q_moeIL9ggml_type12ELi2EEvPKvS2_PKiPfj15HIP_vector_typeIjLj3EEjjjjjjjjj
                                        ; -- End function
	.set _ZL17mul_mat_vec_q_moeIL9ggml_type12ELi2EEvPKvS2_PKiPfj15HIP_vector_typeIjLj3EEjjjjjjjjj.num_vgpr, 44
	.set _ZL17mul_mat_vec_q_moeIL9ggml_type12ELi2EEvPKvS2_PKiPfj15HIP_vector_typeIjLj3EEjjjjjjjjj.num_agpr, 0
	.set _ZL17mul_mat_vec_q_moeIL9ggml_type12ELi2EEvPKvS2_PKiPfj15HIP_vector_typeIjLj3EEjjjjjjjjj.numbered_sgpr, 28
	.set _ZL17mul_mat_vec_q_moeIL9ggml_type12ELi2EEvPKvS2_PKiPfj15HIP_vector_typeIjLj3EEjjjjjjjjj.num_named_barrier, 0
	.set _ZL17mul_mat_vec_q_moeIL9ggml_type12ELi2EEvPKvS2_PKiPfj15HIP_vector_typeIjLj3EEjjjjjjjjj.private_seg_size, 0
	.set _ZL17mul_mat_vec_q_moeIL9ggml_type12ELi2EEvPKvS2_PKiPfj15HIP_vector_typeIjLj3EEjjjjjjjjj.uses_vcc, 1
	.set _ZL17mul_mat_vec_q_moeIL9ggml_type12ELi2EEvPKvS2_PKiPfj15HIP_vector_typeIjLj3EEjjjjjjjjj.uses_flat_scratch, 0
	.set _ZL17mul_mat_vec_q_moeIL9ggml_type12ELi2EEvPKvS2_PKiPfj15HIP_vector_typeIjLj3EEjjjjjjjjj.has_dyn_sized_stack, 0
	.set _ZL17mul_mat_vec_q_moeIL9ggml_type12ELi2EEvPKvS2_PKiPfj15HIP_vector_typeIjLj3EEjjjjjjjjj.has_recursion, 0
	.set _ZL17mul_mat_vec_q_moeIL9ggml_type12ELi2EEvPKvS2_PKiPfj15HIP_vector_typeIjLj3EEjjjjjjjjj.has_indirect_call, 0
	.section	.AMDGPU.csdata,"",@progbits
; Kernel info:
; codeLenInByte = 1808
; TotalNumSgprs: 30
; NumVgprs: 44
; ScratchSize: 0
; MemoryBound: 0
; FloatMode: 240
; IeeeMode: 1
; LDSByteSize: 0 bytes/workgroup (compile time only)
; SGPRBlocks: 0
; VGPRBlocks: 5
; NumSGPRsForWavesPerEU: 30
; NumVGPRsForWavesPerEU: 44
; Occupancy: 16
; WaveLimiterHint : 1
; COMPUTE_PGM_RSRC2:SCRATCH_EN: 0
; COMPUTE_PGM_RSRC2:USER_SGPR: 6
; COMPUTE_PGM_RSRC2:TRAP_HANDLER: 0
; COMPUTE_PGM_RSRC2:TGID_X_EN: 1
; COMPUTE_PGM_RSRC2:TGID_Y_EN: 1
; COMPUTE_PGM_RSRC2:TGID_Z_EN: 0
; COMPUTE_PGM_RSRC2:TIDIG_COMP_CNT: 1
	.section	.text._ZL13mul_mat_vec_qIL9ggml_type12ELi1ELb1ELb1EEvPKvS2_PKi31ggml_cuda_mm_fusion_args_devicePfj15HIP_vector_typeIjLj3EEjjjS8_jjjS8_jjjj,"axG",@progbits,_ZL13mul_mat_vec_qIL9ggml_type12ELi1ELb1ELb1EEvPKvS2_PKi31ggml_cuda_mm_fusion_args_devicePfj15HIP_vector_typeIjLj3EEjjjS8_jjjS8_jjjj,comdat
	.globl	_ZL13mul_mat_vec_qIL9ggml_type12ELi1ELb1ELb1EEvPKvS2_PKi31ggml_cuda_mm_fusion_args_devicePfj15HIP_vector_typeIjLj3EEjjjS8_jjjS8_jjjj ; -- Begin function _ZL13mul_mat_vec_qIL9ggml_type12ELi1ELb1ELb1EEvPKvS2_PKi31ggml_cuda_mm_fusion_args_devicePfj15HIP_vector_typeIjLj3EEjjjS8_jjjS8_jjjj
	.p2align	8
	.type	_ZL13mul_mat_vec_qIL9ggml_type12ELi1ELb1ELb1EEvPKvS2_PKi31ggml_cuda_mm_fusion_args_devicePfj15HIP_vector_typeIjLj3EEjjjS8_jjjS8_jjjj,@function
_ZL13mul_mat_vec_qIL9ggml_type12ELi1ELb1ELb1EEvPKvS2_PKi31ggml_cuda_mm_fusion_args_devicePfj15HIP_vector_typeIjLj3EEjjjS8_jjjS8_jjjj: ; @_ZL13mul_mat_vec_qIL9ggml_type12ELi1ELb1ELb1EEvPKvS2_PKi31ggml_cuda_mm_fusion_args_devicePfj15HIP_vector_typeIjLj3EEjjjS8_jjjS8_jjjj
; %bb.0:
	s_clause 0x3
	s_load_dwordx8 s[12:19], s[4:5], 0x0
	s_load_dwordx4 s[28:31], s[4:5], 0x20
	s_load_dwordx4 s[36:39], s[4:5], 0x40
	;; [unrolled: 1-line block ×3, first 2 shown]
	s_mov_b32 s10, s7
	s_waitcnt lgkmcnt(0)
	s_cmp_lg_u64 s[16:17], 0
	s_cselect_b32 s0, -1, 0
	s_cmp_eq_u64 s[16:17], 0
	s_cbranch_scc1 .LBB121_5
; %bb.1:
	s_mov_b32 s11, 0
	s_lshl_b64 s[2:3], s[10:11], 2
	s_add_u32 s2, s16, s2
	s_addc_u32 s3, s17, s3
	s_load_dword s33, s[2:3], 0x0
	s_clause 0x1
	s_load_dword s35, s[4:5], 0x50
	s_load_dword s34, s[4:5], 0x78
	s_cbranch_execnz .LBB121_3
.LBB121_2:
	s_load_dwordx2 s[2:3], s[4:5], 0x5c
	s_waitcnt lgkmcnt(0)
	s_mul_hi_u32 s1, s2, s10
	s_add_i32 s1, s10, s1
	s_lshr_b32 s33, s1, s3
.LBB121_3:
	s_andn2_b32 vcc_lo, exec_lo, s0
	s_cbranch_vccnz .LBB121_6
; %bb.4:
	s_mul_hi_u32 s0, s37, s10
	s_waitcnt lgkmcnt(0)
	s_mov_b32 s1, s33
	s_add_i32 s0, s10, s0
	s_lshr_b32 s0, s0, s38
	s_mul_i32 s0, s0, s39
	s_sub_i32 s37, s10, s0
	s_branch .LBB121_7
.LBB121_5:
                                        ; implicit-def: $sgpr33
	s_clause 0x1
	s_load_dword s35, s[4:5], 0x50
	s_load_dword s34, s[4:5], 0x78
	s_branch .LBB121_2
.LBB121_6:
	s_mov_b32 s1, s10
	s_mov_b32 s37, s10
.LBB121_7:
	s_load_dwordx4 s[24:27], s[4:5], 0x80
	v_or_b32_e32 v2, v0, v1
	s_cmp_lg_u64 s[18:19], 0
	v_mov_b32_e32 v8, 0
	v_mov_b32_e32 v9, 0
	s_cselect_b32 s0, -1, 0
	v_cmp_eq_u32_e32 vcc_lo, 0, v2
	s_mov_b32 s17, 0
	s_mul_i32 s2, s1, s22
	s_and_b32 s3, s0, vcc_lo
	s_and_saveexec_b32 s1, s3
	s_cbranch_execz .LBB121_9
; %bb.8:
	s_waitcnt lgkmcnt(0)
	s_mul_i32 s16, s26, s8
	s_mov_b32 s3, s17
	s_lshl_b64 s[38:39], s[16:17], 2
	v_lshlrev_b32_e32 v2, 2, v0
	s_add_u32 s7, s18, s38
	s_addc_u32 s9, s19, s39
	s_lshl_b64 s[16:17], s[2:3], 2
	s_add_u32 s3, s7, s16
	s_addc_u32 s9, s9, s17
	s_ashr_i32 s7, s6, 31
	s_lshl_b64 s[16:17], s[6:7], 2
	s_add_u32 s16, s3, s16
	s_addc_u32 s17, s9, s17
	global_load_dword v9, v2, s[16:17]
.LBB121_9:
	s_or_b32 exec_lo, exec_lo, s1
	s_cmp_lg_u64 s[28:29], 0
	s_cselect_b32 s9, -1, 0
	s_cmp_lg_u64 s[30:31], 0
	s_cselect_b32 s1, -1, 0
	s_and_b32 s3, s1, s9
	s_and_b32 s3, s3, vcc_lo
	s_and_saveexec_b32 s11, s3
	s_cbranch_execz .LBB121_11
; %bb.10:
	s_waitcnt lgkmcnt(0)
	s_mul_i32 s16, s26, s8
	s_mov_b32 s17, 0
	v_lshlrev_b32_e32 v2, 2, v0
	s_lshl_b64 s[18:19], s[16:17], 2
	s_mov_b32 s3, s17
	s_add_u32 s7, s30, s18
	s_addc_u32 s16, s31, s19
	s_lshl_b64 s[2:3], s[2:3], 2
	s_add_u32 s17, s7, s2
	s_addc_u32 s16, s16, s3
	s_ashr_i32 s7, s6, 31
	s_lshl_b64 s[2:3], s[6:7], 2
	s_add_u32 s2, s17, s2
	s_addc_u32 s3, s16, s3
	global_load_dword v8, v2, s[2:3]
.LBB121_11:
	s_or_b32 exec_lo, exec_lo, s11
	v_lshl_or_b32 v2, v1, 5, v0
	v_mov_b32_e32 v12, 0
	v_cndmask_b32_e64 v10, 0, 1, s9
	v_mov_b32_e32 v11, 0
	s_lshr_b32 s7, s36, 8
	v_lshrrev_b32_e32 v13, 4, v2
	s_mov_b32 s11, exec_lo
	v_cmpx_gt_u32_e64 s7, v13
	s_cbranch_execz .LBB121_25
; %bb.12:
	v_lshlrev_b32_e32 v3, 1, v0
	v_bfe_u32 v5, v0, 2, 2
	s_mul_hi_u32 s2, s23, s8
	v_lshrrev_b32_e32 v11, 4, v2
	s_add_i32 s2, s8, s2
	v_and_b32_e32 v4, 30, v3
	v_bfe_u32 v6, v3, 3, 2
	v_mul_hi_u32_u24_e32 v3, 0x48, v5
	v_mul_u32_u24_e32 v2, 0x48, v5
	s_waitcnt lgkmcnt(0)
	s_lshr_b32 s2, s2, s34
	s_mul_i32 s35, s35, s6
	s_mul_i32 s2, s2, s24
	;; [unrolled: 1-line block ×3, first 2 shown]
	v_mad_u64_u32 v[2:3], null, 0x120, v11, v[2:3]
	s_mul_i32 s16, s33, s20
	s_add_i32 s2, s2, s35
	s_mul_i32 s17, s37, s21
	s_mul_i32 s18, s3, 36
	s_add_i32 s16, s16, s2
	s_mul_hi_u32 s3, s3, 36
	s_mul_hi_u32 s2, s17, 36
	s_mul_i32 s17, s17, 36
	s_add_u32 s14, s14, s18
	s_addc_u32 s3, s15, s3
	s_add_u32 s14, s14, s17
	s_addc_u32 s2, s3, s2
	v_add_co_u32 v2, vcc_lo, s14, v2
	v_and_b32_e32 v7, 3, v0
	v_add_co_ci_u32_e64 v3, null, s2, v3, vcc_lo
	v_add_co_u32 v2, vcc_lo, v2, 36
	v_lshlrev_b32_e32 v14, 5, v6
	v_mov_b32_e32 v12, 0
	v_lshlrev_b32_e32 v15, 2, v7
	v_cmp_lt_u32_e64 s2, 15, v4
	v_add_co_ci_u32_e64 v3, null, 0, v3, vcc_lo
	v_lshlrev_b32_e32 v16, 1, v6
	v_mov_b32_e32 v17, 0xffff
	v_mov_b32_e32 v11, 0
	s_mov_b32 s14, 0
	s_branch .LBB121_15
.LBB121_13:                             ;   in Loop: Header=BB121_15 Depth=1
	s_or_b32 exec_lo, exec_lo, s3
	global_load_dword v4, v[4:5], off
	s_waitcnt vmcnt(2)
	v_and_b32_e32 v5, 0xf0f0f0f, v32
	v_mov_b32_e32 v6, 0
	v_lshrrev_b32_e32 v7, 4, v32
	s_waitcnt vmcnt(1)
	v_and_b32_e32 v32, 0xf0f0f0f, v30
	v_bfe_u32 v33, v31, 16, 8
	v_dot4c_i32_i8 v6, v5, v23
	v_and_b32_e32 v5, 0xf0f0f0f, v7
	v_lshrrev_b32_e32 v7, 4, v30
	v_mov_b32_e32 v30, 0
	v_dot4c_i32_i8 v6, v32, v21
	v_and_b32_e32 v32, 0xff, v31
	v_and_b32_e32 v7, 0xf0f0f0f, v7
	v_dot4c_i32_i8 v30, v5, v20
	v_and_b32_sdwa v5, v17, v31 dst_sel:DWORD dst_unused:UNUSED_PAD src0_sel:DWORD src1_sel:BYTE_1
	v_lshrrev_b32_e32 v31, 24, v31
	v_mul_lo_u32 v32, v29, v32
	v_mul_lo_u32 v6, v6, v33
	v_dot4c_i32_i8 v30, v7, v19
	v_mul_lo_u32 v5, v28, v5
	v_mul_lo_u32 v30, v30, v31
	v_cvt_f32_i32_e32 v7, v32
	v_cvt_f32_i32_e32 v6, v6
	;; [unrolled: 1-line block ×3, first 2 shown]
	v_fma_f32 v7, v26, v7, 0
	v_fma_f32 v6, v26, v6, 0
	v_cvt_f32_i32_e32 v30, v30
	v_fmac_f32_e32 v7, v27, v5
	v_fmac_f32_e32 v6, v27, v30
	s_waitcnt vmcnt(0)
	v_cvt_f32_f16_sdwa v5, v4 dst_sel:DWORD dst_unused:UNUSED_PAD src0_sel:WORD_1
	v_mul_f32_e32 v5, v7, v5
	v_fma_mix_f32 v4, v6, v4, -v5 op_sel_hi:[0,1,0]
	v_add_f32_e32 v11, v11, v4
.LBB121_14:                             ;   in Loop: Header=BB121_15 Depth=1
	s_waitcnt vmcnt(2)
	v_and_b32_e32 v4, 0xf0f0f0f, v25
	v_mov_b32_e32 v5, 0
	v_lshrrev_b32_e32 v6, 4, v25
	s_waitcnt vmcnt(1)
	v_and_b32_e32 v7, 0xf0f0f0f, v24
	v_lshrrev_b32_e32 v24, 4, v24
	v_add_nc_u32_e32 v13, 2, v13
	v_dot4c_i32_i8 v5, v4, v23
	v_mov_b32_e32 v4, 0
	v_and_b32_e32 v6, 0xf0f0f0f, v6
	v_and_b32_e32 v23, 0xff, v22
	;; [unrolled: 1-line block ×3, first 2 shown]
	v_dot4c_i32_i8 v5, v7, v21
	v_and_b32_sdwa v7, v17, v22 dst_sel:DWORD dst_unused:UNUSED_PAD src0_sel:DWORD src1_sel:BYTE_1
	v_dot4c_i32_i8 v4, v6, v20
	v_mul_lo_u32 v6, v29, v23
	v_bfe_u32 v20, v22, 16, 8
	v_cmp_le_u32_e32 vcc_lo, s7, v13
	v_mul_lo_u32 v7, v28, v7
	v_dot4c_i32_i8 v4, v24, v19
	v_lshrrev_b32_e32 v19, 24, v22
	v_mul_lo_u32 v5, v5, v20
	v_add_co_u32 v2, s3, 0x240, v2
	v_cvt_f32_i32_e32 v6, v6
	v_mul_lo_u32 v4, v4, v19
	v_cvt_f32_i32_e32 v7, v7
	s_waitcnt vmcnt(0)
	v_cvt_f32_f16_sdwa v19, v18 dst_sel:DWORD dst_unused:UNUSED_PAD src0_sel:WORD_1
	v_add_co_ci_u32_e64 v3, null, 0, v3, s3
	v_fma_f32 v6, v26, v6, 0
	v_cvt_f32_i32_e32 v5, v5
	s_or_b32 s14, vcc_lo, s14
	v_cvt_f32_i32_e32 v4, v4
	v_fmac_f32_e32 v6, v27, v7
	v_fma_f32 v5, v26, v5, 0
	v_mul_f32_e32 v6, v6, v19
	v_fmac_f32_e32 v5, v27, v4
	v_fma_mix_f32 v4, v5, v18, -v6 op_sel_hi:[0,1,0]
	v_add_f32_e32 v12, v12, v4
	s_andn2_b32 exec_lo, exec_lo, s14
	s_cbranch_execz .LBB121_24
.LBB121_15:                             ; =>This Inner Loop Header: Depth=1
	v_add_nc_u32_e32 v6, s16, v13
                                        ; implicit-def: $vgpr22
	v_mad_i64_i32 v[4:5], null, 0x90, v6, s[12:13]
	v_add_co_u32 v7, vcc_lo, v4, v14
	v_add_co_ci_u32_e64 v20, null, 0, v5, vcc_lo
	v_add_co_u32 v18, vcc_lo, v2, v15
	v_add_co_ci_u32_e64 v19, null, 0, v3, vcc_lo
	;; [unrolled: 2-line block ×3, first 2 shown]
	s_clause 0x5
	global_load_dword v7, v[2:3], off offset:-36
	global_load_dword v27, v[2:3], off
	global_load_dword v23, v[18:19], off offset:-32
	global_load_dword v21, v[18:19], off offset:-16
	global_load_dword v20, v[18:19], off offset:4
	global_load_dword v19, v[18:19], off offset:20
	s_clause 0x2
	global_load_dword v25, v[28:29], off offset:16
	global_load_dword v24, v[28:29], off offset:32
	global_load_dword v18, v[4:5], off
	v_add_co_u32 v4, vcc_lo, v4, v16
	v_add_co_ci_u32_e64 v5, null, 0, v5, vcc_lo
	s_and_saveexec_b32 s3, s2
	s_xor_b32 s3, exec_lo, s3
	s_cbranch_execz .LBB121_17
; %bb.16:                               ;   in Loop: Header=BB121_15 Depth=1
	s_clause 0x1
	global_load_ushort v22, v[4:5], off offset:8
	global_load_ushort v26, v[4:5], off offset:4
	s_waitcnt vmcnt(1)
	v_mov_b32_e32 v28, v22
	global_load_short_d16_hi v28, v[4:5], off
	s_waitcnt vmcnt(1)
	v_perm_b32 v4, v22, v26, 0x5040100
	v_pk_lshrrev_b16 v4, 2, v4
	v_and_b32_e32 v4, 0xf0f3030, v4
	s_waitcnt vmcnt(0)
	v_pk_lshrrev_b16 v5, 0x20004, v28
	v_and_or_b32 v22, 0x30300f0f, v5, v4
                                        ; implicit-def: $vgpr4_vgpr5
.LBB121_17:                             ;   in Loop: Header=BB121_15 Depth=1
	s_andn2_saveexec_b32 s3, s3
	s_cbranch_execz .LBB121_19
; %bb.18:                               ;   in Loop: Header=BB121_15 Depth=1
	s_clause 0x1
	global_load_ushort v22, v[4:5], off offset:8
	global_load_short_d16_hi v22, v[4:5], off offset:4
	s_waitcnt vmcnt(0)
	v_and_b32_e32 v22, 0x3f3f3f3f, v22
.LBB121_19:                             ;   in Loop: Header=BB121_15 Depth=1
	s_or_b32 exec_lo, exec_lo, s3
	v_mov_b32_e32 v29, 0
	v_mov_b32_e32 v28, 0
	s_waitcnt vmcnt(8)
	v_cvt_f32_f16_e32 v26, v7
	s_waitcnt vmcnt(7)
	v_cvt_f32_f16_e32 v27, v27
	s_andn2_b32 vcc_lo, exec_lo, s9
	s_waitcnt vmcnt(6)
	v_dot4c_i32_i8 v29, 0x1010101, v23
	s_waitcnt vmcnt(4)
	v_dot4c_i32_i8 v28, 0x1010101, v20
	v_dot4c_i32_i8 v29, 0x1010101, v21
	s_waitcnt vmcnt(3)
	v_dot4c_i32_i8 v28, 0x1010101, v19
	s_cbranch_vccnz .LBB121_14
; %bb.20:                               ;   in Loop: Header=BB121_15 Depth=1
	v_mad_i64_i32 v[4:5], null, 0x90, v6, s[28:29]
                                        ; implicit-def: $vgpr31
	v_add_co_u32 v6, vcc_lo, v4, v14
	v_add_co_ci_u32_e64 v7, null, 0, v5, vcc_lo
	v_add_co_u32 v6, vcc_lo, v6, v15
	v_add_co_ci_u32_e64 v7, null, 0, v7, vcc_lo
	s_clause 0x1
	global_load_dword v32, v[6:7], off offset:16
	global_load_dword v30, v[6:7], off offset:32
	v_add_co_u32 v6, vcc_lo, v4, v16
	v_add_co_ci_u32_e64 v7, null, 0, v5, vcc_lo
	s_and_saveexec_b32 s3, s2
	s_xor_b32 s3, exec_lo, s3
	s_cbranch_execz .LBB121_22
; %bb.21:                               ;   in Loop: Header=BB121_15 Depth=1
	s_clause 0x1
	global_load_ushort v31, v[6:7], off offset:8
	global_load_ushort v33, v[6:7], off offset:4
	s_waitcnt vmcnt(1)
	v_mov_b32_e32 v34, v31
	global_load_short_d16_hi v34, v[6:7], off
	s_waitcnt vmcnt(1)
	v_perm_b32 v6, v31, v33, 0x5040100
	v_pk_lshrrev_b16 v6, 2, v6
	v_and_b32_e32 v6, 0xf0f3030, v6
	s_waitcnt vmcnt(0)
	v_pk_lshrrev_b16 v7, 0x20004, v34
	v_and_or_b32 v31, 0x30300f0f, v7, v6
                                        ; implicit-def: $vgpr6_vgpr7
.LBB121_22:                             ;   in Loop: Header=BB121_15 Depth=1
	s_andn2_saveexec_b32 s3, s3
	s_cbranch_execz .LBB121_13
; %bb.23:                               ;   in Loop: Header=BB121_15 Depth=1
	s_clause 0x1
	global_load_ushort v31, v[6:7], off offset:8
	global_load_short_d16_hi v31, v[6:7], off offset:4
	s_waitcnt vmcnt(0)
	v_and_b32_e32 v31, 0x3f3f3f3f, v31
	s_branch .LBB121_13
.LBB121_24:
	s_or_b32 exec_lo, exec_lo, s14
.LBB121_25:
	s_or_b32 exec_lo, exec_lo, s11
	s_load_dword s2, s[4:5], 0x30
	s_waitcnt vmcnt(0) lgkmcnt(0)
	; wave barrier
	buffer_gl0_inv
	s_mov_b32 s3, exec_lo
	v_cmpx_eq_u32_e32 0, v1
	s_cbranch_execz .LBB121_52
; %bb.26:
	v_mbcnt_lo_u32_b32 v2, -1, 0
	v_xor_b32_e32 v1, 16, v2
	v_xor_b32_e32 v4, 8, v2
	;; [unrolled: 1-line block ×3, first 2 shown]
	v_cmp_gt_i32_e32 vcc_lo, 32, v1
	v_cndmask_b32_e32 v1, v2, v1, vcc_lo
	v_cmp_gt_i32_e32 vcc_lo, 32, v4
	v_lshlrev_b32_e32 v1, 2, v1
	v_cndmask_b32_e32 v4, v2, v4, vcc_lo
	v_cmp_gt_i32_e32 vcc_lo, 32, v5
	ds_bpermute_b32 v3, v1, v12
	v_lshlrev_b32_e32 v4, 2, v4
	v_cndmask_b32_e32 v5, v2, v5, vcc_lo
	v_lshlrev_b32_e32 v5, 2, v5
	s_waitcnt lgkmcnt(0)
	v_add_f32_e32 v3, v12, v3
	ds_bpermute_b32 v6, v4, v3
	s_waitcnt lgkmcnt(0)
	v_add_f32_e32 v3, v3, v6
	v_xor_b32_e32 v6, 2, v2
	ds_bpermute_b32 v7, v5, v3
	v_cmp_gt_i32_e32 vcc_lo, 32, v6
	v_cndmask_b32_e32 v6, v2, v6, vcc_lo
	v_lshlrev_b32_e32 v6, 2, v6
	s_waitcnt lgkmcnt(0)
	v_add_f32_e32 v3, v3, v7
	v_xor_b32_e32 v7, 1, v2
	ds_bpermute_b32 v12, v6, v3
	v_cmp_gt_i32_e32 vcc_lo, 32, v7
	v_cndmask_b32_e32 v2, v2, v7, vcc_lo
	v_cmp_ne_u32_e32 vcc_lo, 1, v10
	v_lshlrev_b32_e32 v7, 2, v2
	s_waitcnt lgkmcnt(0)
	v_add_f32_e32 v2, v3, v12
	ds_bpermute_b32 v3, v7, v2
	s_cbranch_vccnz .LBB121_28
; %bb.27:
	ds_bpermute_b32 v1, v1, v11
	s_waitcnt lgkmcnt(0)
	v_add_f32_e32 v1, v11, v1
	ds_bpermute_b32 v4, v4, v1
	s_waitcnt lgkmcnt(0)
	v_add_f32_e32 v1, v1, v4
	;; [unrolled: 3-line block ×5, first 2 shown]
.LBB121_28:
	v_cmp_eq_u32_e32 vcc_lo, 0, v0
	s_and_b32 exec_lo, exec_lo, vcc_lo
	s_cbranch_execz .LBB121_52
; %bb.29:
	s_waitcnt lgkmcnt(0)
	v_add_f32_e32 v1, v2, v3
	v_cmp_ne_u32_e32 vcc_lo, 1, v10
	v_add_f32_e32 v2, v9, v1
	v_cndmask_b32_e64 v1, v1, v2, s0
	s_cbranch_vccnz .LBB121_51
; %bb.30:
	v_add_f32_e32 v2, v8, v11
	s_cmp_lt_i32 s2, 2
	s_mov_b32 s0, 0
	v_cndmask_b32_e64 v2, v11, v2, s1
	s_cbranch_scc1 .LBB121_34
; %bb.31:
	s_cmp_gt_i32 s2, 2
	s_cbranch_scc0 .LBB121_35
; %bb.32:
	s_cmp_eq_u32 s2, 3
	s_cbranch_scc0 .LBB121_36
; %bb.33:
	v_max_f32_e32 v3, v2, v2
	s_mov_b32 s1, 0
	v_min_f32_e32 v3, 0x40e00000, v3
	v_mul_f32_e32 v4, 0xbfd9db23, v3
	v_mul_f32_e32 v5, 0x3fb8aa3b, v4
	v_cmp_ngt_f32_e32 vcc_lo, 0xc2ce8ed0, v4
	v_fma_f32 v6, 0x3fb8aa3b, v4, -v5
	v_rndne_f32_e32 v7, v5
	v_fmamk_f32 v6, v4, 0x32a5705f, v6
	v_sub_f32_e32 v5, v5, v7
	v_add_f32_e32 v5, v5, v6
	v_cvt_i32_f32_e32 v6, v7
	v_exp_f32_e32 v5, v5
	v_ldexp_f32 v5, v5, v6
	v_cndmask_b32_e32 v5, 0, v5, vcc_lo
	v_cmp_nlt_f32_e32 vcc_lo, 0x42b17218, v4
	v_cndmask_b32_e32 v4, 0x7f800000, v5, vcc_lo
	v_add_f32_e32 v4, 1.0, v4
	v_div_scale_f32 v5, null, v4, v4, v3
	v_div_scale_f32 v8, vcc_lo, v3, v4, v3
	v_rcp_f32_e32 v6, v5
	v_fma_f32 v7, -v5, v6, 1.0
	v_fmac_f32_e32 v6, v7, v6
	v_mul_f32_e32 v7, v8, v6
	v_fma_f32 v9, -v5, v7, v8
	v_fmac_f32_e32 v7, v9, v6
	v_max_f32_e32 v9, v1, v1
	v_fma_f32 v5, -v5, v7, v8
	v_min_f32_e32 v8, 0x40e00000, v9
	v_div_fmas_f32 v5, v5, v6, v7
	v_max_f32_e32 v6, 0xc0e00000, v8
	v_div_fixup_f32 v3, v5, v4, v3
	v_add_f32_e32 v4, 1.0, v6
	v_mul_f32_e32 v3, v4, v3
	s_branch .LBB121_37
.LBB121_34:
	s_mov_b32 s1, 0
                                        ; implicit-def: $vgpr3
	s_cbranch_execnz .LBB121_41
	s_branch .LBB121_42
.LBB121_35:
	s_mov_b32 s3, -1
	s_mov_b32 s1, 0
                                        ; implicit-def: $vgpr3
	s_branch .LBB121_38
.LBB121_36:
	s_mov_b32 s1, -1
                                        ; implicit-def: $vgpr3
.LBB121_37:
	s_mov_b32 s3, 0
.LBB121_38:
	s_and_b32 vcc_lo, exec_lo, s3
	s_cbranch_vccz .LBB121_40
; %bb.39:
	v_mul_f32_e32 v3, 0xbfb8aa3b, v2
	v_cmp_nlt_f32_e32 vcc_lo, 0x42ce8ed0, v2
	v_rndne_f32_e32 v4, v3
	v_fma_f32 v5, 0xbfb8aa3b, v2, -v3
	v_sub_f32_e32 v3, v3, v4
	v_fmamk_f32 v5, v2, 0xb2a5705f, v5
	v_cvt_i32_f32_e32 v4, v4
	v_add_f32_e32 v3, v3, v5
	v_exp_f32_e32 v3, v3
	v_ldexp_f32 v3, v3, v4
	v_cndmask_b32_e32 v3, 0, v3, vcc_lo
	v_cmp_ngt_f32_e32 vcc_lo, 0xc2b17218, v2
	v_cndmask_b32_e32 v3, 0x7f800000, v3, vcc_lo
	v_add_f32_e32 v3, 1.0, v3
	v_div_scale_f32 v4, null, v3, v3, v2
	v_rcp_f32_e32 v5, v4
	v_fma_f32 v6, -v4, v5, 1.0
	v_fmac_f32_e32 v5, v6, v5
	v_div_scale_f32 v6, vcc_lo, v2, v3, v2
	v_mul_f32_e32 v7, v6, v5
	v_fma_f32 v8, -v4, v7, v6
	v_fmac_f32_e32 v7, v8, v5
	v_fma_f32 v4, -v4, v7, v6
	v_div_fmas_f32 v4, v4, v5, v7
	v_div_fixup_f32 v3, v4, v3, v2
	v_mul_f32_e32 v3, v1, v3
.LBB121_40:
	s_branch .LBB121_42
.LBB121_41:
	s_cmp_lg_u32 s2, 1
	s_mov_b32 s0, -1
	s_cselect_b32 s1, -1, 0
.LBB121_42:
	s_andn2_b32 vcc_lo, exec_lo, s1
	s_cbranch_vccz .LBB121_44
; %bb.43:
	s_andn2_b32 vcc_lo, exec_lo, s0
	s_cbranch_vccz .LBB121_45
	s_branch .LBB121_50
.LBB121_44:
	v_mul_f32_e32 v3, v2, v1
	s_cbranch_execnz .LBB121_50
.LBB121_45:
	v_mul_f32_e32 v3, 0x3d372713, v2
	v_mul_f32_e32 v4, 0x3f4c422a, v2
	v_fma_f32 v3, v2, v3, 1.0
	v_mul_f32_e32 v3, v4, v3
                                        ; implicit-def: $vgpr4
	v_cmp_ngt_f32_e64 s0, 0x3f200000, |v3|
	s_and_saveexec_b32 s1, s0
	s_xor_b32 s0, exec_lo, s1
	s_cbranch_execz .LBB121_47
; %bb.46:
	v_add_f32_e64 v4, |v3|, |v3|
	v_mul_f32_e32 v5, 0x3fb8aa3b, v4
	v_cmp_ngt_f32_e32 vcc_lo, 0xc2ce8ed0, v4
	v_rndne_f32_e32 v6, v5
	v_fma_f32 v7, 0x3fb8aa3b, v4, -v5
	v_sub_f32_e32 v5, v5, v6
	v_fmamk_f32 v7, v4, 0x32a5705f, v7
	v_cvt_i32_f32_e32 v6, v6
	v_add_f32_e32 v5, v5, v7
	v_exp_f32_e32 v5, v5
	v_ldexp_f32 v5, v5, v6
	v_cndmask_b32_e32 v5, 0, v5, vcc_lo
	v_cmp_nlt_f32_e32 vcc_lo, 0x42b17218, v4
	v_cndmask_b32_e32 v4, 0x7f800000, v5, vcc_lo
	v_add_f32_e32 v4, 1.0, v4
	v_rcp_f32_e32 v4, v4
	v_fma_f32 v4, v4, -2.0, 1.0
.LBB121_47:
	s_andn2_saveexec_b32 s0, s0
	s_cbranch_execz .LBB121_49
; %bb.48:
	v_mul_f32_e32 v4, v3, v3
	s_mov_b32 s1, 0xbbbac73d
	v_fmaak_f32 v5, s1, v4, 0x3ca908c9
	v_fmaak_f32 v5, v4, v5, 0xbd5c1c4e
	;; [unrolled: 1-line block ×4, first 2 shown]
	v_mul_f32_e64 v5, |v3|, v5
	v_fma_f32 v4, v4, v5, |v3|
.LBB121_49:
	s_or_b32 exec_lo, exec_lo, s0
	v_bfi_b32 v3, 0x7fffffff, v4, v3
	v_mul_f32_e32 v2, 0.5, v2
	v_add_f32_e32 v3, 1.0, v3
	v_mul_f32_e32 v2, v2, v3
	v_mul_f32_e32 v3, v1, v2
.LBB121_50:
	v_mov_b32_e32 v1, v3
.LBB121_51:
	s_load_dwordx2 s[0:1], s[4:5], 0x38
	s_mul_i32 s2, s22, s10
	s_mul_i32 s3, s26, s8
	s_add_i32 s2, s2, s6
	v_lshlrev_b32_e32 v0, 2, v0
	s_add_i32 s2, s2, s3
	s_mov_b32 s3, 0
	s_lshl_b64 s[2:3], s[2:3], 2
	s_waitcnt lgkmcnt(0)
	s_add_u32 s0, s0, s2
	s_addc_u32 s1, s1, s3
	global_store_dword v0, v1, s[0:1]
.LBB121_52:
	s_endpgm
	.section	.rodata,"a",@progbits
	.p2align	6, 0x0
	.amdhsa_kernel _ZL13mul_mat_vec_qIL9ggml_type12ELi1ELb1ELb1EEvPKvS2_PKi31ggml_cuda_mm_fusion_args_devicePfj15HIP_vector_typeIjLj3EEjjjS8_jjjS8_jjjj
		.amdhsa_group_segment_fixed_size 0
		.amdhsa_private_segment_fixed_size 0
		.amdhsa_kernarg_size 144
		.amdhsa_user_sgpr_count 6
		.amdhsa_user_sgpr_private_segment_buffer 1
		.amdhsa_user_sgpr_dispatch_ptr 0
		.amdhsa_user_sgpr_queue_ptr 0
		.amdhsa_user_sgpr_kernarg_segment_ptr 1
		.amdhsa_user_sgpr_dispatch_id 0
		.amdhsa_user_sgpr_flat_scratch_init 0
		.amdhsa_user_sgpr_private_segment_size 0
		.amdhsa_wavefront_size32 1
		.amdhsa_uses_dynamic_stack 0
		.amdhsa_system_sgpr_private_segment_wavefront_offset 0
		.amdhsa_system_sgpr_workgroup_id_x 1
		.amdhsa_system_sgpr_workgroup_id_y 1
		.amdhsa_system_sgpr_workgroup_id_z 1
		.amdhsa_system_sgpr_workgroup_info 0
		.amdhsa_system_vgpr_workitem_id 1
		.amdhsa_next_free_vgpr 35
		.amdhsa_next_free_sgpr 40
		.amdhsa_reserve_vcc 1
		.amdhsa_reserve_flat_scratch 0
		.amdhsa_float_round_mode_32 0
		.amdhsa_float_round_mode_16_64 0
		.amdhsa_float_denorm_mode_32 3
		.amdhsa_float_denorm_mode_16_64 3
		.amdhsa_dx10_clamp 1
		.amdhsa_ieee_mode 1
		.amdhsa_fp16_overflow 0
		.amdhsa_workgroup_processor_mode 1
		.amdhsa_memory_ordered 1
		.amdhsa_forward_progress 1
		.amdhsa_shared_vgpr_count 0
		.amdhsa_exception_fp_ieee_invalid_op 0
		.amdhsa_exception_fp_denorm_src 0
		.amdhsa_exception_fp_ieee_div_zero 0
		.amdhsa_exception_fp_ieee_overflow 0
		.amdhsa_exception_fp_ieee_underflow 0
		.amdhsa_exception_fp_ieee_inexact 0
		.amdhsa_exception_int_div_zero 0
	.end_amdhsa_kernel
	.section	.text._ZL13mul_mat_vec_qIL9ggml_type12ELi1ELb1ELb1EEvPKvS2_PKi31ggml_cuda_mm_fusion_args_devicePfj15HIP_vector_typeIjLj3EEjjjS8_jjjS8_jjjj,"axG",@progbits,_ZL13mul_mat_vec_qIL9ggml_type12ELi1ELb1ELb1EEvPKvS2_PKi31ggml_cuda_mm_fusion_args_devicePfj15HIP_vector_typeIjLj3EEjjjS8_jjjS8_jjjj,comdat
.Lfunc_end121:
	.size	_ZL13mul_mat_vec_qIL9ggml_type12ELi1ELb1ELb1EEvPKvS2_PKi31ggml_cuda_mm_fusion_args_devicePfj15HIP_vector_typeIjLj3EEjjjS8_jjjS8_jjjj, .Lfunc_end121-_ZL13mul_mat_vec_qIL9ggml_type12ELi1ELb1ELb1EEvPKvS2_PKi31ggml_cuda_mm_fusion_args_devicePfj15HIP_vector_typeIjLj3EEjjjS8_jjjS8_jjjj
                                        ; -- End function
	.set _ZL13mul_mat_vec_qIL9ggml_type12ELi1ELb1ELb1EEvPKvS2_PKi31ggml_cuda_mm_fusion_args_devicePfj15HIP_vector_typeIjLj3EEjjjS8_jjjS8_jjjj.num_vgpr, 35
	.set _ZL13mul_mat_vec_qIL9ggml_type12ELi1ELb1ELb1EEvPKvS2_PKi31ggml_cuda_mm_fusion_args_devicePfj15HIP_vector_typeIjLj3EEjjjS8_jjjS8_jjjj.num_agpr, 0
	.set _ZL13mul_mat_vec_qIL9ggml_type12ELi1ELb1ELb1EEvPKvS2_PKi31ggml_cuda_mm_fusion_args_devicePfj15HIP_vector_typeIjLj3EEjjjS8_jjjS8_jjjj.numbered_sgpr, 40
	.set _ZL13mul_mat_vec_qIL9ggml_type12ELi1ELb1ELb1EEvPKvS2_PKi31ggml_cuda_mm_fusion_args_devicePfj15HIP_vector_typeIjLj3EEjjjS8_jjjS8_jjjj.num_named_barrier, 0
	.set _ZL13mul_mat_vec_qIL9ggml_type12ELi1ELb1ELb1EEvPKvS2_PKi31ggml_cuda_mm_fusion_args_devicePfj15HIP_vector_typeIjLj3EEjjjS8_jjjS8_jjjj.private_seg_size, 0
	.set _ZL13mul_mat_vec_qIL9ggml_type12ELi1ELb1ELb1EEvPKvS2_PKi31ggml_cuda_mm_fusion_args_devicePfj15HIP_vector_typeIjLj3EEjjjS8_jjjS8_jjjj.uses_vcc, 1
	.set _ZL13mul_mat_vec_qIL9ggml_type12ELi1ELb1ELb1EEvPKvS2_PKi31ggml_cuda_mm_fusion_args_devicePfj15HIP_vector_typeIjLj3EEjjjS8_jjjS8_jjjj.uses_flat_scratch, 0
	.set _ZL13mul_mat_vec_qIL9ggml_type12ELi1ELb1ELb1EEvPKvS2_PKi31ggml_cuda_mm_fusion_args_devicePfj15HIP_vector_typeIjLj3EEjjjS8_jjjS8_jjjj.has_dyn_sized_stack, 0
	.set _ZL13mul_mat_vec_qIL9ggml_type12ELi1ELb1ELb1EEvPKvS2_PKi31ggml_cuda_mm_fusion_args_devicePfj15HIP_vector_typeIjLj3EEjjjS8_jjjS8_jjjj.has_recursion, 0
	.set _ZL13mul_mat_vec_qIL9ggml_type12ELi1ELb1ELb1EEvPKvS2_PKi31ggml_cuda_mm_fusion_args_devicePfj15HIP_vector_typeIjLj3EEjjjS8_jjjS8_jjjj.has_indirect_call, 0
	.section	.AMDGPU.csdata,"",@progbits
; Kernel info:
; codeLenInByte = 2916
; TotalNumSgprs: 42
; NumVgprs: 35
; ScratchSize: 0
; MemoryBound: 0
; FloatMode: 240
; IeeeMode: 1
; LDSByteSize: 0 bytes/workgroup (compile time only)
; SGPRBlocks: 0
; VGPRBlocks: 4
; NumSGPRsForWavesPerEU: 42
; NumVGPRsForWavesPerEU: 35
; Occupancy: 16
; WaveLimiterHint : 0
; COMPUTE_PGM_RSRC2:SCRATCH_EN: 0
; COMPUTE_PGM_RSRC2:USER_SGPR: 6
; COMPUTE_PGM_RSRC2:TRAP_HANDLER: 0
; COMPUTE_PGM_RSRC2:TGID_X_EN: 1
; COMPUTE_PGM_RSRC2:TGID_Y_EN: 1
; COMPUTE_PGM_RSRC2:TGID_Z_EN: 1
; COMPUTE_PGM_RSRC2:TIDIG_COMP_CNT: 1
	.section	.text._ZL13mul_mat_vec_qIL9ggml_type12ELi1ELb0ELb1EEvPKvS2_PKi31ggml_cuda_mm_fusion_args_devicePfj15HIP_vector_typeIjLj3EEjjjS8_jjjS8_jjjj,"axG",@progbits,_ZL13mul_mat_vec_qIL9ggml_type12ELi1ELb0ELb1EEvPKvS2_PKi31ggml_cuda_mm_fusion_args_devicePfj15HIP_vector_typeIjLj3EEjjjS8_jjjS8_jjjj,comdat
	.globl	_ZL13mul_mat_vec_qIL9ggml_type12ELi1ELb0ELb1EEvPKvS2_PKi31ggml_cuda_mm_fusion_args_devicePfj15HIP_vector_typeIjLj3EEjjjS8_jjjS8_jjjj ; -- Begin function _ZL13mul_mat_vec_qIL9ggml_type12ELi1ELb0ELb1EEvPKvS2_PKi31ggml_cuda_mm_fusion_args_devicePfj15HIP_vector_typeIjLj3EEjjjS8_jjjS8_jjjj
	.p2align	8
	.type	_ZL13mul_mat_vec_qIL9ggml_type12ELi1ELb0ELb1EEvPKvS2_PKi31ggml_cuda_mm_fusion_args_devicePfj15HIP_vector_typeIjLj3EEjjjS8_jjjS8_jjjj,@function
_ZL13mul_mat_vec_qIL9ggml_type12ELi1ELb0ELb1EEvPKvS2_PKi31ggml_cuda_mm_fusion_args_devicePfj15HIP_vector_typeIjLj3EEjjjS8_jjjS8_jjjj: ; @_ZL13mul_mat_vec_qIL9ggml_type12ELi1ELb0ELb1EEvPKvS2_PKi31ggml_cuda_mm_fusion_args_devicePfj15HIP_vector_typeIjLj3EEjjjS8_jjjS8_jjjj
; %bb.0:
	s_clause 0x1
	s_load_dwordx2 s[0:1], s[4:5], 0x10
	s_load_dwordx4 s[16:19], s[4:5], 0x40
	s_mov_b32 s10, s7
	s_waitcnt lgkmcnt(0)
	s_cmp_lg_u64 s[0:1], 0
	s_cselect_b32 s7, -1, 0
	s_cmp_eq_u64 s[0:1], 0
	s_cbranch_scc1 .LBB122_5
; %bb.1:
	s_mov_b32 s11, 0
	s_lshl_b64 s[2:3], s[10:11], 2
	s_add_u32 s0, s0, s2
	s_addc_u32 s1, s1, s3
	s_load_dword s20, s[0:1], 0x0
	s_clause 0x1
	s_load_dwordx4 s[0:3], s[4:5], 0x68
	s_load_dword s21, s[4:5], 0x50
	s_cbranch_execnz .LBB122_3
.LBB122_2:
	s_load_dwordx2 s[12:13], s[4:5], 0x5c
	s_waitcnt lgkmcnt(0)
	s_mul_hi_u32 s9, s12, s10
	s_add_i32 s9, s10, s9
	s_lshr_b32 s20, s9, s13
.LBB122_3:
	s_load_dword s11, s[4:5], 0x78
	s_andn2_b32 vcc_lo, exec_lo, s7
	s_cbranch_vccnz .LBB122_6
; %bb.4:
	s_mul_hi_u32 s7, s17, s10
	s_add_i32 s7, s10, s7
	s_lshr_b32 s7, s7, s18
	s_mul_i32 s7, s7, s19
	s_sub_i32 s22, s10, s7
	s_branch .LBB122_7
.LBB122_5:
                                        ; implicit-def: $sgpr20
	s_clause 0x1
	s_load_dwordx4 s[0:3], s[4:5], 0x68
	s_load_dword s21, s[4:5], 0x50
	s_branch .LBB122_2
.LBB122_6:
	s_mov_b32 s22, s10
.LBB122_7:
	s_load_dwordx4 s[12:15], s[4:5], 0x80
	v_lshl_or_b32 v2, v1, 5, v0
	v_mov_b32_e32 v6, 0
	s_lshr_b32 s9, s16, 8
	s_mov_b32 s7, exec_lo
	v_lshrrev_b32_e32 v7, 4, v2
	v_cmpx_gt_u32_e64 s9, v7
	s_cbranch_execz .LBB122_15
; %bb.8:
	s_load_dwordx4 s[16:19], s[4:5], 0x0
	v_lshlrev_b32_e32 v3, 1, v0
	v_bfe_u32 v5, v0, 2, 2
	s_waitcnt lgkmcnt(0)
	s_mul_hi_u32 s3, s3, s8
	v_lshrrev_b32_e32 v11, 4, v2
	s_add_i32 s3, s8, s3
	v_and_b32_e32 v4, 30, v3
	v_bfe_u32 v10, v3, 3, 2
	v_mul_hi_u32_u24_e32 v3, 0x48, v5
	v_mul_u32_u24_e32 v2, 0x48, v5
	s_lshr_b32 s3, s3, s11
	s_mul_i32 s21, s21, s6
	s_mul_i32 s3, s3, s12
	;; [unrolled: 1-line block ×3, first 2 shown]
	v_mad_u64_u32 v[2:3], null, 0x120, v11, v[2:3]
	s_mul_i32 s0, s20, s0
	s_add_i32 s3, s3, s21
	s_mul_i32 s1, s22, s1
	s_mul_i32 s12, s11, 36
	s_add_i32 s3, s0, s3
	s_mul_hi_u32 s11, s11, 36
	s_mul_hi_u32 s0, s1, 36
	s_mul_i32 s1, s1, 36
	s_add_u32 s12, s18, s12
	s_addc_u32 s11, s19, s11
	s_add_u32 s1, s12, s1
	s_addc_u32 s0, s11, s0
	v_add_co_u32 v2, vcc_lo, s1, v2
	v_and_b32_e32 v9, 3, v0
	v_add_co_ci_u32_e64 v3, null, s0, v3, vcc_lo
	v_add_co_u32 v2, s0, v2, 36
	v_lshlrev_b32_e32 v8, 5, v10
	v_mov_b32_e32 v6, 0
	v_lshlrev_b32_e32 v9, 2, v9
	v_add_co_ci_u32_e64 v3, null, 0, v3, s0
	v_lshlrev_b32_e32 v10, 1, v10
	s_mov_b32 s11, 0
	v_cmp_lt_u32_e32 vcc_lo, 15, v4
	s_branch .LBB122_10
.LBB122_9:                              ;   in Loop: Header=BB122_10 Depth=1
	s_or_b32 exec_lo, exec_lo, s0
	s_waitcnt vmcnt(2)
	v_and_b32_e32 v4, 0xf0f0f0f, v20
	v_mov_b32_e32 v5, 0
	v_mov_b32_e32 v21, 0
	s_waitcnt vmcnt(1)
	v_and_b32_e32 v22, 0xf0f0f0f, v18
	v_lshrrev_b32_e32 v18, 4, v18
	v_add_nc_u32_e32 v7, 2, v7
	v_dot4c_i32_i8 v5, v4, v19
	v_dot4c_i32_i8 v21, 0x1010101, v19
	v_lshrrev_b32_e32 v4, 4, v20
	v_mov_b32_e32 v19, 0
	v_mov_b32_e32 v20, 0
	v_dot4c_i32_i8 v5, v22, v16
	v_dot4c_i32_i8 v21, 0x1010101, v16
	v_and_b32_e32 v16, 0xff00ff, v17
	v_and_b32_e32 v4, 0xf0f0f0f, v4
	v_dot4c_i32_i8 v19, 0x1010101, v15
	v_pk_lshrrev_b16 v17, 8, v17 op_sel_hi:[0,1]
	v_and_b32_e32 v18, 0xf0f0f0f, v18
	v_lshrrev_b32_e32 v22, 16, v16
	v_dot4c_i32_i8 v20, v4, v15
	v_dot4c_i32_i8 v19, 0x1010101, v14
	v_and_b32_e32 v4, 0xff, v16
	v_lshrrev_b32_e32 v16, 16, v17
	v_mul_lo_u32 v15, v21, v22
	v_dot4c_i32_i8 v20, v18, v14
	v_cmp_le_u32_e64 s0, s9, v7
	v_mul_lo_u32 v4, v5, v4
	v_and_b32_e32 v5, 0xff, v17
	v_mul_lo_u32 v14, v19, v16
	s_waitcnt vmcnt(0)
	v_cvt_f32_f16_sdwa v16, v13 dst_sel:DWORD dst_unused:UNUSED_PAD src0_sel:WORD_1
	v_add_co_u32 v2, s1, 0x240, v2
	v_cvt_f32_i32_e32 v15, v15
	v_mul_lo_u32 v5, v20, v5
	v_cvt_f32_i32_e32 v4, v4
	v_add_co_ci_u32_e64 v3, null, 0, v3, s1
	v_fma_mix_f32 v15, v11, v15, 0 op_sel_hi:[1,0,0]
	v_cvt_f32_i32_e32 v14, v14
	v_fma_mix_f32 v4, v11, v4, 0 op_sel_hi:[1,0,0]
	s_or_b32 s11, s0, s11
	v_cvt_f32_i32_e32 v5, v5
	v_fma_mix_f32 v11, v12, v14, v15 op_sel_hi:[1,0,0]
	v_fma_mix_f32 v4, v12, v5, v4 op_sel_hi:[1,0,0]
	v_mul_f32_e32 v5, v11, v16
	v_fma_mix_f32 v4, v4, v13, -v5 op_sel_hi:[0,1,0]
	v_add_f32_e32 v6, v6, v4
	s_andn2_b32 exec_lo, exec_lo, s11
	s_cbranch_execz .LBB122_14
.LBB122_10:                             ; =>This Inner Loop Header: Depth=1
	v_add_nc_u32_e32 v4, s3, v7
	v_mad_i64_i32 v[4:5], null, 0x90, v4, s[16:17]
	v_add_co_u32 v11, s0, v4, v8
	v_add_co_ci_u32_e64 v12, null, 0, v5, s0
	v_add_co_u32 v13, s0, v2, v9
	v_add_co_ci_u32_e64 v14, null, 0, v3, s0
	;; [unrolled: 2-line block ×3, first 2 shown]
	s_clause 0x5
	global_load_dword v11, v[2:3], off offset:-36
	global_load_dword v12, v[2:3], off
	global_load_dword v19, v[13:14], off offset:-32
	global_load_dword v16, v[13:14], off offset:-16
	global_load_dword v15, v[13:14], off offset:4
	global_load_dword v14, v[13:14], off offset:20
	s_clause 0x2
	global_load_dword v20, v[17:18], off offset:16
	global_load_dword v18, v[17:18], off offset:32
	global_load_dword v13, v[4:5], off
	v_add_co_u32 v4, s0, v4, v10
	v_add_co_ci_u32_e64 v5, null, 0, v5, s0
                                        ; implicit-def: $vgpr17
	s_and_saveexec_b32 s0, vcc_lo
	s_xor_b32 s0, exec_lo, s0
	s_cbranch_execz .LBB122_12
; %bb.11:                               ;   in Loop: Header=BB122_10 Depth=1
	s_clause 0x2
	global_load_ushort v17, v[4:5], off
	global_load_ushort v21, v[4:5], off offset:8
	global_load_short_d16_hi v17, v[4:5], off offset:4
	s_waitcnt vmcnt(1)
	v_pk_lshrrev_b16 v4, 4, v21 op_sel:[1,0] op_sel_hi:[0,0]
	v_and_b32_e32 v4, 0xf0f0f0f, v4
	s_waitcnt vmcnt(0)
	v_pk_lshrrev_b16 v5, 2, v17 op_sel_hi:[0,1]
	v_and_or_b32 v17, 0x30303030, v5, v4
                                        ; implicit-def: $vgpr4_vgpr5
.LBB122_12:                             ;   in Loop: Header=BB122_10 Depth=1
	s_andn2_saveexec_b32 s0, s0
	s_cbranch_execz .LBB122_9
; %bb.13:                               ;   in Loop: Header=BB122_10 Depth=1
	s_clause 0x1
	global_load_ushort v17, v[4:5], off offset:4
	global_load_short_d16_hi v17, v[4:5], off offset:8
	s_waitcnt vmcnt(0)
	v_and_b32_e32 v17, 0x3f3f3f3f, v17
	s_branch .LBB122_9
.LBB122_14:
	s_or_b32 exec_lo, exec_lo, s11
.LBB122_15:
	s_or_b32 exec_lo, exec_lo, s7
	s_waitcnt lgkmcnt(0)
	; wave barrier
	buffer_gl0_inv
	s_mov_b32 s0, exec_lo
	v_cmpx_eq_u32_e32 0, v1
	s_cbranch_execz .LBB122_18
; %bb.16:
	v_mbcnt_lo_u32_b32 v1, -1, 0
	v_xor_b32_e32 v2, 16, v1
	v_xor_b32_e32 v3, 8, v1
	;; [unrolled: 1-line block ×3, first 2 shown]
	v_cmp_gt_i32_e32 vcc_lo, 32, v2
	v_cndmask_b32_e32 v2, v1, v2, vcc_lo
	v_cmp_gt_i32_e32 vcc_lo, 32, v3
	v_lshlrev_b32_e32 v2, 2, v2
	v_cndmask_b32_e32 v3, v1, v3, vcc_lo
	v_cmp_gt_i32_e32 vcc_lo, 32, v4
	ds_bpermute_b32 v2, v2, v6
	v_lshlrev_b32_e32 v3, 2, v3
	v_cndmask_b32_e32 v4, v1, v4, vcc_lo
	v_lshlrev_b32_e32 v4, 2, v4
	s_waitcnt lgkmcnt(0)
	v_add_f32_e32 v2, v6, v2
	ds_bpermute_b32 v3, v3, v2
	s_waitcnt lgkmcnt(0)
	v_add_f32_e32 v2, v2, v3
	ds_bpermute_b32 v3, v4, v2
	v_xor_b32_e32 v4, 2, v1
	v_cmp_gt_i32_e32 vcc_lo, 32, v4
	v_cndmask_b32_e32 v4, v1, v4, vcc_lo
	v_lshlrev_b32_e32 v4, 2, v4
	s_waitcnt lgkmcnt(0)
	v_add_f32_e32 v2, v2, v3
	ds_bpermute_b32 v3, v4, v2
	v_xor_b32_e32 v4, 1, v1
	v_cmp_gt_i32_e32 vcc_lo, 32, v4
	v_cndmask_b32_e32 v1, v1, v4, vcc_lo
	v_cmp_eq_u32_e32 vcc_lo, 0, v0
	v_lshlrev_b32_e32 v4, 2, v1
	s_waitcnt lgkmcnt(0)
	v_add_f32_e32 v1, v2, v3
	ds_bpermute_b32 v2, v4, v1
	s_and_b32 exec_lo, exec_lo, vcc_lo
	s_cbranch_execz .LBB122_18
; %bb.17:
	s_load_dwordx2 s[0:1], s[4:5], 0x38
	s_mul_i32 s2, s2, s10
	s_mul_i32 s3, s14, s8
	s_add_i32 s2, s2, s6
	s_waitcnt lgkmcnt(0)
	v_add_f32_e32 v0, v1, v2
	s_add_i32 s2, s2, s3
	s_mov_b32 s3, 0
	v_mov_b32_e32 v1, 0
	s_lshl_b64 s[2:3], s[2:3], 2
	s_add_u32 s0, s0, s2
	s_addc_u32 s1, s1, s3
	global_store_dword v1, v0, s[0:1]
.LBB122_18:
	s_endpgm
	.section	.rodata,"a",@progbits
	.p2align	6, 0x0
	.amdhsa_kernel _ZL13mul_mat_vec_qIL9ggml_type12ELi1ELb0ELb1EEvPKvS2_PKi31ggml_cuda_mm_fusion_args_devicePfj15HIP_vector_typeIjLj3EEjjjS8_jjjS8_jjjj
		.amdhsa_group_segment_fixed_size 0
		.amdhsa_private_segment_fixed_size 0
		.amdhsa_kernarg_size 144
		.amdhsa_user_sgpr_count 6
		.amdhsa_user_sgpr_private_segment_buffer 1
		.amdhsa_user_sgpr_dispatch_ptr 0
		.amdhsa_user_sgpr_queue_ptr 0
		.amdhsa_user_sgpr_kernarg_segment_ptr 1
		.amdhsa_user_sgpr_dispatch_id 0
		.amdhsa_user_sgpr_flat_scratch_init 0
		.amdhsa_user_sgpr_private_segment_size 0
		.amdhsa_wavefront_size32 1
		.amdhsa_uses_dynamic_stack 0
		.amdhsa_system_sgpr_private_segment_wavefront_offset 0
		.amdhsa_system_sgpr_workgroup_id_x 1
		.amdhsa_system_sgpr_workgroup_id_y 1
		.amdhsa_system_sgpr_workgroup_id_z 1
		.amdhsa_system_sgpr_workgroup_info 0
		.amdhsa_system_vgpr_workitem_id 1
		.amdhsa_next_free_vgpr 23
		.amdhsa_next_free_sgpr 23
		.amdhsa_reserve_vcc 1
		.amdhsa_reserve_flat_scratch 0
		.amdhsa_float_round_mode_32 0
		.amdhsa_float_round_mode_16_64 0
		.amdhsa_float_denorm_mode_32 3
		.amdhsa_float_denorm_mode_16_64 3
		.amdhsa_dx10_clamp 1
		.amdhsa_ieee_mode 1
		.amdhsa_fp16_overflow 0
		.amdhsa_workgroup_processor_mode 1
		.amdhsa_memory_ordered 1
		.amdhsa_forward_progress 1
		.amdhsa_shared_vgpr_count 0
		.amdhsa_exception_fp_ieee_invalid_op 0
		.amdhsa_exception_fp_denorm_src 0
		.amdhsa_exception_fp_ieee_div_zero 0
		.amdhsa_exception_fp_ieee_overflow 0
		.amdhsa_exception_fp_ieee_underflow 0
		.amdhsa_exception_fp_ieee_inexact 0
		.amdhsa_exception_int_div_zero 0
	.end_amdhsa_kernel
	.section	.text._ZL13mul_mat_vec_qIL9ggml_type12ELi1ELb0ELb1EEvPKvS2_PKi31ggml_cuda_mm_fusion_args_devicePfj15HIP_vector_typeIjLj3EEjjjS8_jjjS8_jjjj,"axG",@progbits,_ZL13mul_mat_vec_qIL9ggml_type12ELi1ELb0ELb1EEvPKvS2_PKi31ggml_cuda_mm_fusion_args_devicePfj15HIP_vector_typeIjLj3EEjjjS8_jjjS8_jjjj,comdat
.Lfunc_end122:
	.size	_ZL13mul_mat_vec_qIL9ggml_type12ELi1ELb0ELb1EEvPKvS2_PKi31ggml_cuda_mm_fusion_args_devicePfj15HIP_vector_typeIjLj3EEjjjS8_jjjS8_jjjj, .Lfunc_end122-_ZL13mul_mat_vec_qIL9ggml_type12ELi1ELb0ELb1EEvPKvS2_PKi31ggml_cuda_mm_fusion_args_devicePfj15HIP_vector_typeIjLj3EEjjjS8_jjjS8_jjjj
                                        ; -- End function
	.set _ZL13mul_mat_vec_qIL9ggml_type12ELi1ELb0ELb1EEvPKvS2_PKi31ggml_cuda_mm_fusion_args_devicePfj15HIP_vector_typeIjLj3EEjjjS8_jjjS8_jjjj.num_vgpr, 23
	.set _ZL13mul_mat_vec_qIL9ggml_type12ELi1ELb0ELb1EEvPKvS2_PKi31ggml_cuda_mm_fusion_args_devicePfj15HIP_vector_typeIjLj3EEjjjS8_jjjS8_jjjj.num_agpr, 0
	.set _ZL13mul_mat_vec_qIL9ggml_type12ELi1ELb0ELb1EEvPKvS2_PKi31ggml_cuda_mm_fusion_args_devicePfj15HIP_vector_typeIjLj3EEjjjS8_jjjS8_jjjj.numbered_sgpr, 23
	.set _ZL13mul_mat_vec_qIL9ggml_type12ELi1ELb0ELb1EEvPKvS2_PKi31ggml_cuda_mm_fusion_args_devicePfj15HIP_vector_typeIjLj3EEjjjS8_jjjS8_jjjj.num_named_barrier, 0
	.set _ZL13mul_mat_vec_qIL9ggml_type12ELi1ELb0ELb1EEvPKvS2_PKi31ggml_cuda_mm_fusion_args_devicePfj15HIP_vector_typeIjLj3EEjjjS8_jjjS8_jjjj.private_seg_size, 0
	.set _ZL13mul_mat_vec_qIL9ggml_type12ELi1ELb0ELb1EEvPKvS2_PKi31ggml_cuda_mm_fusion_args_devicePfj15HIP_vector_typeIjLj3EEjjjS8_jjjS8_jjjj.uses_vcc, 1
	.set _ZL13mul_mat_vec_qIL9ggml_type12ELi1ELb0ELb1EEvPKvS2_PKi31ggml_cuda_mm_fusion_args_devicePfj15HIP_vector_typeIjLj3EEjjjS8_jjjS8_jjjj.uses_flat_scratch, 0
	.set _ZL13mul_mat_vec_qIL9ggml_type12ELi1ELb0ELb1EEvPKvS2_PKi31ggml_cuda_mm_fusion_args_devicePfj15HIP_vector_typeIjLj3EEjjjS8_jjjS8_jjjj.has_dyn_sized_stack, 0
	.set _ZL13mul_mat_vec_qIL9ggml_type12ELi1ELb0ELb1EEvPKvS2_PKi31ggml_cuda_mm_fusion_args_devicePfj15HIP_vector_typeIjLj3EEjjjS8_jjjS8_jjjj.has_recursion, 0
	.set _ZL13mul_mat_vec_qIL9ggml_type12ELi1ELb0ELb1EEvPKvS2_PKi31ggml_cuda_mm_fusion_args_devicePfj15HIP_vector_typeIjLj3EEjjjS8_jjjS8_jjjj.has_indirect_call, 0
	.section	.AMDGPU.csdata,"",@progbits
; Kernel info:
; codeLenInByte = 1296
; TotalNumSgprs: 25
; NumVgprs: 23
; ScratchSize: 0
; MemoryBound: 0
; FloatMode: 240
; IeeeMode: 1
; LDSByteSize: 0 bytes/workgroup (compile time only)
; SGPRBlocks: 0
; VGPRBlocks: 2
; NumSGPRsForWavesPerEU: 25
; NumVGPRsForWavesPerEU: 23
; Occupancy: 16
; WaveLimiterHint : 0
; COMPUTE_PGM_RSRC2:SCRATCH_EN: 0
; COMPUTE_PGM_RSRC2:USER_SGPR: 6
; COMPUTE_PGM_RSRC2:TRAP_HANDLER: 0
; COMPUTE_PGM_RSRC2:TGID_X_EN: 1
; COMPUTE_PGM_RSRC2:TGID_Y_EN: 1
; COMPUTE_PGM_RSRC2:TGID_Z_EN: 1
; COMPUTE_PGM_RSRC2:TIDIG_COMP_CNT: 1
	.section	.text._ZL13mul_mat_vec_qIL9ggml_type12ELi1ELb1ELb0EEvPKvS2_PKi31ggml_cuda_mm_fusion_args_devicePfj15HIP_vector_typeIjLj3EEjjjS8_jjjS8_jjjj,"axG",@progbits,_ZL13mul_mat_vec_qIL9ggml_type12ELi1ELb1ELb0EEvPKvS2_PKi31ggml_cuda_mm_fusion_args_devicePfj15HIP_vector_typeIjLj3EEjjjS8_jjjS8_jjjj,comdat
	.globl	_ZL13mul_mat_vec_qIL9ggml_type12ELi1ELb1ELb0EEvPKvS2_PKi31ggml_cuda_mm_fusion_args_devicePfj15HIP_vector_typeIjLj3EEjjjS8_jjjS8_jjjj ; -- Begin function _ZL13mul_mat_vec_qIL9ggml_type12ELi1ELb1ELb0EEvPKvS2_PKi31ggml_cuda_mm_fusion_args_devicePfj15HIP_vector_typeIjLj3EEjjjS8_jjjS8_jjjj
	.p2align	8
	.type	_ZL13mul_mat_vec_qIL9ggml_type12ELi1ELb1ELb0EEvPKvS2_PKi31ggml_cuda_mm_fusion_args_devicePfj15HIP_vector_typeIjLj3EEjjjS8_jjjS8_jjjj,@function
_ZL13mul_mat_vec_qIL9ggml_type12ELi1ELb1ELb0EEvPKvS2_PKi31ggml_cuda_mm_fusion_args_devicePfj15HIP_vector_typeIjLj3EEjjjS8_jjjS8_jjjj: ; @_ZL13mul_mat_vec_qIL9ggml_type12ELi1ELb1ELb0EEvPKvS2_PKi31ggml_cuda_mm_fusion_args_devicePfj15HIP_vector_typeIjLj3EEjjjS8_jjjS8_jjjj
; %bb.0:
	s_clause 0x3
	s_load_dwordx8 s[12:19], s[4:5], 0x0
	s_load_dwordx4 s[28:31], s[4:5], 0x20
	s_load_dwordx4 s[36:39], s[4:5], 0x40
	s_load_dwordx4 s[20:23], s[4:5], 0x68
	s_mov_b32 s10, s7
	s_waitcnt lgkmcnt(0)
	s_cmp_lg_u64 s[16:17], 0
	s_cselect_b32 s0, -1, 0
	s_cmp_eq_u64 s[16:17], 0
	s_cbranch_scc1 .LBB123_5
; %bb.1:
	s_mov_b32 s11, 0
	s_lshl_b64 s[2:3], s[10:11], 2
	s_add_u32 s2, s16, s2
	s_addc_u32 s3, s17, s3
	s_load_dword s33, s[2:3], 0x0
	s_clause 0x1
	s_load_dword s35, s[4:5], 0x50
	s_load_dword s34, s[4:5], 0x78
	s_cbranch_execnz .LBB123_3
.LBB123_2:
	s_load_dwordx2 s[2:3], s[4:5], 0x5c
	s_waitcnt lgkmcnt(0)
	s_mul_hi_u32 s1, s2, s10
	s_add_i32 s1, s10, s1
	s_lshr_b32 s33, s1, s3
.LBB123_3:
	s_andn2_b32 vcc_lo, exec_lo, s0
	s_cbranch_vccnz .LBB123_6
; %bb.4:
	s_mul_hi_u32 s0, s37, s10
	s_waitcnt lgkmcnt(0)
	s_mov_b32 s1, s33
	s_add_i32 s0, s10, s0
	s_lshr_b32 s0, s0, s38
	s_mul_i32 s0, s0, s39
	s_sub_i32 s37, s10, s0
	s_branch .LBB123_7
.LBB123_5:
                                        ; implicit-def: $sgpr33
	s_clause 0x1
	s_load_dword s35, s[4:5], 0x50
	s_load_dword s34, s[4:5], 0x78
	s_branch .LBB123_2
.LBB123_6:
	s_mov_b32 s1, s10
	s_mov_b32 s37, s10
.LBB123_7:
	s_load_dwordx4 s[24:27], s[4:5], 0x80
	v_or_b32_e32 v2, v0, v1
	s_cmp_lg_u64 s[18:19], 0
	v_mov_b32_e32 v8, 0
	v_mov_b32_e32 v9, 0
	s_cselect_b32 s0, -1, 0
	v_cmp_eq_u32_e32 vcc_lo, 0, v2
	s_mov_b32 s17, 0
	s_mul_i32 s2, s1, s22
	s_and_b32 s3, s0, vcc_lo
	s_and_saveexec_b32 s1, s3
	s_cbranch_execz .LBB123_9
; %bb.8:
	s_waitcnt lgkmcnt(0)
	s_mul_i32 s16, s26, s8
	s_mov_b32 s3, s17
	s_lshl_b64 s[38:39], s[16:17], 2
	v_lshlrev_b32_e32 v2, 2, v0
	s_add_u32 s7, s18, s38
	s_addc_u32 s9, s19, s39
	s_lshl_b64 s[16:17], s[2:3], 2
	s_add_u32 s3, s7, s16
	s_addc_u32 s9, s9, s17
	s_ashr_i32 s7, s6, 31
	s_lshl_b64 s[16:17], s[6:7], 2
	s_add_u32 s16, s3, s16
	s_addc_u32 s17, s9, s17
	global_load_dword v9, v2, s[16:17]
.LBB123_9:
	s_or_b32 exec_lo, exec_lo, s1
	s_cmp_lg_u64 s[28:29], 0
	s_cselect_b32 s9, -1, 0
	s_cmp_lg_u64 s[30:31], 0
	s_cselect_b32 s1, -1, 0
	s_and_b32 s3, s1, s9
	s_and_b32 s3, s3, vcc_lo
	s_and_saveexec_b32 s11, s3
	s_cbranch_execz .LBB123_11
; %bb.10:
	s_waitcnt lgkmcnt(0)
	s_mul_i32 s16, s26, s8
	s_mov_b32 s17, 0
	v_lshlrev_b32_e32 v2, 2, v0
	s_lshl_b64 s[18:19], s[16:17], 2
	s_mov_b32 s3, s17
	s_add_u32 s7, s30, s18
	s_addc_u32 s16, s31, s19
	s_lshl_b64 s[2:3], s[2:3], 2
	s_add_u32 s17, s7, s2
	s_addc_u32 s16, s16, s3
	s_ashr_i32 s7, s6, 31
	s_lshl_b64 s[2:3], s[6:7], 2
	s_add_u32 s2, s17, s2
	s_addc_u32 s3, s16, s3
	global_load_dword v8, v2, s[2:3]
.LBB123_11:
	s_or_b32 exec_lo, exec_lo, s11
	v_lshl_or_b32 v2, v1, 5, v0
	v_mov_b32_e32 v12, 0
	v_cndmask_b32_e64 v10, 0, 1, s9
	v_mov_b32_e32 v11, 0
	s_lshr_b32 s7, s36, 8
	v_lshrrev_b32_e32 v13, 4, v2
	s_mov_b32 s11, exec_lo
	v_cmpx_gt_u32_e64 s7, v13
	s_cbranch_execz .LBB123_25
; %bb.12:
	v_lshlrev_b32_e32 v3, 1, v0
	v_bfe_u32 v5, v0, 2, 2
	s_mul_hi_u32 s2, s23, s8
	v_lshrrev_b32_e32 v11, 4, v2
	s_add_i32 s2, s8, s2
	v_and_b32_e32 v4, 30, v3
	v_bfe_u32 v6, v3, 3, 2
	v_mul_hi_u32_u24_e32 v3, 0x48, v5
	v_mul_u32_u24_e32 v2, 0x48, v5
	s_waitcnt lgkmcnt(0)
	s_lshr_b32 s2, s2, s34
	s_mul_i32 s35, s35, s6
	s_mul_i32 s2, s2, s24
	s_mul_i32 s3, s25, s8
	v_mad_u64_u32 v[2:3], null, 0x120, v11, v[2:3]
	s_mul_i32 s16, s33, s20
	s_add_i32 s2, s2, s35
	s_mul_i32 s17, s37, s21
	s_mul_i32 s18, s3, 36
	s_add_i32 s16, s16, s2
	s_mul_hi_u32 s3, s3, 36
	s_mul_hi_u32 s2, s17, 36
	s_mul_i32 s17, s17, 36
	s_add_u32 s14, s14, s18
	s_addc_u32 s3, s15, s3
	s_add_u32 s14, s14, s17
	s_addc_u32 s2, s3, s2
	v_add_co_u32 v2, vcc_lo, s14, v2
	v_and_b32_e32 v7, 3, v0
	v_add_co_ci_u32_e64 v3, null, s2, v3, vcc_lo
	v_add_co_u32 v2, vcc_lo, v2, 36
	v_lshlrev_b32_e32 v14, 5, v6
	v_mov_b32_e32 v12, 0
	v_lshlrev_b32_e32 v15, 2, v7
	v_cmp_lt_u32_e64 s2, 15, v4
	v_add_co_ci_u32_e64 v3, null, 0, v3, vcc_lo
	v_lshlrev_b32_e32 v16, 1, v6
	v_mov_b32_e32 v17, 0xffff
	v_mov_b32_e32 v11, 0
	s_mov_b32 s14, 0
	s_branch .LBB123_15
.LBB123_13:                             ;   in Loop: Header=BB123_15 Depth=1
	s_or_b32 exec_lo, exec_lo, s3
	global_load_dword v4, v[4:5], off
	s_waitcnt vmcnt(2)
	v_and_b32_e32 v5, 0xf0f0f0f, v32
	v_mov_b32_e32 v6, 0
	v_lshrrev_b32_e32 v7, 4, v32
	s_waitcnt vmcnt(1)
	v_and_b32_e32 v32, 0xf0f0f0f, v30
	v_bfe_u32 v33, v31, 16, 8
	v_dot4c_i32_i8 v6, v5, v23
	v_and_b32_e32 v5, 0xf0f0f0f, v7
	v_lshrrev_b32_e32 v7, 4, v30
	v_mov_b32_e32 v30, 0
	v_dot4c_i32_i8 v6, v32, v21
	v_and_b32_e32 v32, 0xff, v31
	v_and_b32_e32 v7, 0xf0f0f0f, v7
	v_dot4c_i32_i8 v30, v5, v20
	v_and_b32_sdwa v5, v17, v31 dst_sel:DWORD dst_unused:UNUSED_PAD src0_sel:DWORD src1_sel:BYTE_1
	v_lshrrev_b32_e32 v31, 24, v31
	v_mul_lo_u32 v32, v29, v32
	v_mul_lo_u32 v6, v6, v33
	v_dot4c_i32_i8 v30, v7, v19
	v_mul_lo_u32 v5, v28, v5
	v_mul_lo_u32 v30, v30, v31
	v_cvt_f32_i32_e32 v7, v32
	v_cvt_f32_i32_e32 v6, v6
	;; [unrolled: 1-line block ×3, first 2 shown]
	v_fma_f32 v7, v26, v7, 0
	v_fma_f32 v6, v26, v6, 0
	v_cvt_f32_i32_e32 v30, v30
	v_fmac_f32_e32 v7, v27, v5
	v_fmac_f32_e32 v6, v27, v30
	s_waitcnt vmcnt(0)
	v_cvt_f32_f16_sdwa v5, v4 dst_sel:DWORD dst_unused:UNUSED_PAD src0_sel:WORD_1
	v_mul_f32_e32 v5, v7, v5
	v_fma_mix_f32 v4, v6, v4, -v5 op_sel_hi:[0,1,0]
	v_add_f32_e32 v11, v11, v4
.LBB123_14:                             ;   in Loop: Header=BB123_15 Depth=1
	s_waitcnt vmcnt(2)
	v_and_b32_e32 v4, 0xf0f0f0f, v25
	v_mov_b32_e32 v5, 0
	v_lshrrev_b32_e32 v6, 4, v25
	s_waitcnt vmcnt(1)
	v_and_b32_e32 v7, 0xf0f0f0f, v24
	v_lshrrev_b32_e32 v24, 4, v24
	v_add_nc_u32_e32 v13, 2, v13
	v_dot4c_i32_i8 v5, v4, v23
	v_mov_b32_e32 v4, 0
	v_and_b32_e32 v6, 0xf0f0f0f, v6
	v_and_b32_e32 v23, 0xff, v22
	v_and_b32_e32 v24, 0xf0f0f0f, v24
	v_dot4c_i32_i8 v5, v7, v21
	v_and_b32_sdwa v7, v17, v22 dst_sel:DWORD dst_unused:UNUSED_PAD src0_sel:DWORD src1_sel:BYTE_1
	v_dot4c_i32_i8 v4, v6, v20
	v_mul_lo_u32 v6, v29, v23
	v_bfe_u32 v20, v22, 16, 8
	v_cmp_le_u32_e32 vcc_lo, s7, v13
	v_mul_lo_u32 v7, v28, v7
	v_dot4c_i32_i8 v4, v24, v19
	v_lshrrev_b32_e32 v19, 24, v22
	v_mul_lo_u32 v5, v5, v20
	v_add_co_u32 v2, s3, 0x240, v2
	v_cvt_f32_i32_e32 v6, v6
	v_mul_lo_u32 v4, v4, v19
	v_cvt_f32_i32_e32 v7, v7
	s_waitcnt vmcnt(0)
	v_cvt_f32_f16_sdwa v19, v18 dst_sel:DWORD dst_unused:UNUSED_PAD src0_sel:WORD_1
	v_add_co_ci_u32_e64 v3, null, 0, v3, s3
	v_fma_f32 v6, v26, v6, 0
	v_cvt_f32_i32_e32 v5, v5
	s_or_b32 s14, vcc_lo, s14
	v_cvt_f32_i32_e32 v4, v4
	v_fmac_f32_e32 v6, v27, v7
	v_fma_f32 v5, v26, v5, 0
	v_mul_f32_e32 v6, v6, v19
	v_fmac_f32_e32 v5, v27, v4
	v_fma_mix_f32 v4, v5, v18, -v6 op_sel_hi:[0,1,0]
	v_add_f32_e32 v12, v12, v4
	s_andn2_b32 exec_lo, exec_lo, s14
	s_cbranch_execz .LBB123_24
.LBB123_15:                             ; =>This Inner Loop Header: Depth=1
	v_add_nc_u32_e32 v6, s16, v13
                                        ; implicit-def: $vgpr22
	v_mad_i64_i32 v[4:5], null, 0x90, v6, s[12:13]
	v_add_co_u32 v7, vcc_lo, v4, v14
	v_add_co_ci_u32_e64 v20, null, 0, v5, vcc_lo
	v_add_co_u32 v18, vcc_lo, v2, v15
	v_add_co_ci_u32_e64 v19, null, 0, v3, vcc_lo
	;; [unrolled: 2-line block ×3, first 2 shown]
	s_clause 0x5
	global_load_dword v7, v[2:3], off offset:-36
	global_load_dword v27, v[2:3], off
	global_load_dword v23, v[18:19], off offset:-32
	global_load_dword v21, v[18:19], off offset:-16
	global_load_dword v20, v[18:19], off offset:4
	global_load_dword v19, v[18:19], off offset:20
	s_clause 0x2
	global_load_dword v25, v[28:29], off offset:16
	global_load_dword v24, v[28:29], off offset:32
	global_load_dword v18, v[4:5], off
	v_add_co_u32 v4, vcc_lo, v4, v16
	v_add_co_ci_u32_e64 v5, null, 0, v5, vcc_lo
	s_and_saveexec_b32 s3, s2
	s_xor_b32 s3, exec_lo, s3
	s_cbranch_execz .LBB123_17
; %bb.16:                               ;   in Loop: Header=BB123_15 Depth=1
	s_clause 0x1
	global_load_ushort v22, v[4:5], off offset:8
	global_load_ushort v26, v[4:5], off offset:4
	s_waitcnt vmcnt(1)
	v_mov_b32_e32 v28, v22
	global_load_short_d16_hi v28, v[4:5], off
	s_waitcnt vmcnt(1)
	v_perm_b32 v4, v22, v26, 0x5040100
	v_pk_lshrrev_b16 v4, 2, v4
	v_and_b32_e32 v4, 0xf0f3030, v4
	s_waitcnt vmcnt(0)
	v_pk_lshrrev_b16 v5, 0x20004, v28
	v_and_or_b32 v22, 0x30300f0f, v5, v4
                                        ; implicit-def: $vgpr4_vgpr5
.LBB123_17:                             ;   in Loop: Header=BB123_15 Depth=1
	s_andn2_saveexec_b32 s3, s3
	s_cbranch_execz .LBB123_19
; %bb.18:                               ;   in Loop: Header=BB123_15 Depth=1
	s_clause 0x1
	global_load_ushort v22, v[4:5], off offset:8
	global_load_short_d16_hi v22, v[4:5], off offset:4
	s_waitcnt vmcnt(0)
	v_and_b32_e32 v22, 0x3f3f3f3f, v22
.LBB123_19:                             ;   in Loop: Header=BB123_15 Depth=1
	s_or_b32 exec_lo, exec_lo, s3
	v_mov_b32_e32 v29, 0
	v_mov_b32_e32 v28, 0
	s_waitcnt vmcnt(8)
	v_cvt_f32_f16_e32 v26, v7
	s_waitcnt vmcnt(7)
	v_cvt_f32_f16_e32 v27, v27
	s_andn2_b32 vcc_lo, exec_lo, s9
	s_waitcnt vmcnt(6)
	v_dot4c_i32_i8 v29, 0x1010101, v23
	s_waitcnt vmcnt(4)
	v_dot4c_i32_i8 v28, 0x1010101, v20
	v_dot4c_i32_i8 v29, 0x1010101, v21
	s_waitcnt vmcnt(3)
	v_dot4c_i32_i8 v28, 0x1010101, v19
	s_cbranch_vccnz .LBB123_14
; %bb.20:                               ;   in Loop: Header=BB123_15 Depth=1
	v_mad_i64_i32 v[4:5], null, 0x90, v6, s[28:29]
                                        ; implicit-def: $vgpr31
	v_add_co_u32 v6, vcc_lo, v4, v14
	v_add_co_ci_u32_e64 v7, null, 0, v5, vcc_lo
	v_add_co_u32 v6, vcc_lo, v6, v15
	v_add_co_ci_u32_e64 v7, null, 0, v7, vcc_lo
	s_clause 0x1
	global_load_dword v32, v[6:7], off offset:16
	global_load_dword v30, v[6:7], off offset:32
	v_add_co_u32 v6, vcc_lo, v4, v16
	v_add_co_ci_u32_e64 v7, null, 0, v5, vcc_lo
	s_and_saveexec_b32 s3, s2
	s_xor_b32 s3, exec_lo, s3
	s_cbranch_execz .LBB123_22
; %bb.21:                               ;   in Loop: Header=BB123_15 Depth=1
	s_clause 0x1
	global_load_ushort v31, v[6:7], off offset:8
	global_load_ushort v33, v[6:7], off offset:4
	s_waitcnt vmcnt(1)
	v_mov_b32_e32 v34, v31
	global_load_short_d16_hi v34, v[6:7], off
	s_waitcnt vmcnt(1)
	v_perm_b32 v6, v31, v33, 0x5040100
	v_pk_lshrrev_b16 v6, 2, v6
	v_and_b32_e32 v6, 0xf0f3030, v6
	s_waitcnt vmcnt(0)
	v_pk_lshrrev_b16 v7, 0x20004, v34
	v_and_or_b32 v31, 0x30300f0f, v7, v6
                                        ; implicit-def: $vgpr6_vgpr7
.LBB123_22:                             ;   in Loop: Header=BB123_15 Depth=1
	s_andn2_saveexec_b32 s3, s3
	s_cbranch_execz .LBB123_13
; %bb.23:                               ;   in Loop: Header=BB123_15 Depth=1
	s_clause 0x1
	global_load_ushort v31, v[6:7], off offset:8
	global_load_short_d16_hi v31, v[6:7], off offset:4
	s_waitcnt vmcnt(0)
	v_and_b32_e32 v31, 0x3f3f3f3f, v31
	s_branch .LBB123_13
.LBB123_24:
	s_or_b32 exec_lo, exec_lo, s14
.LBB123_25:
	s_or_b32 exec_lo, exec_lo, s11
	s_load_dword s2, s[4:5], 0x30
	s_waitcnt vmcnt(0) lgkmcnt(0)
	; wave barrier
	buffer_gl0_inv
	s_mov_b32 s3, exec_lo
	v_cmpx_eq_u32_e32 0, v1
	s_cbranch_execz .LBB123_52
; %bb.26:
	v_mbcnt_lo_u32_b32 v2, -1, 0
	v_xor_b32_e32 v1, 16, v2
	v_xor_b32_e32 v4, 8, v2
	;; [unrolled: 1-line block ×3, first 2 shown]
	v_cmp_gt_i32_e32 vcc_lo, 32, v1
	v_cndmask_b32_e32 v1, v2, v1, vcc_lo
	v_cmp_gt_i32_e32 vcc_lo, 32, v4
	v_lshlrev_b32_e32 v1, 2, v1
	v_cndmask_b32_e32 v4, v2, v4, vcc_lo
	v_cmp_gt_i32_e32 vcc_lo, 32, v5
	ds_bpermute_b32 v3, v1, v12
	v_lshlrev_b32_e32 v4, 2, v4
	v_cndmask_b32_e32 v5, v2, v5, vcc_lo
	v_lshlrev_b32_e32 v5, 2, v5
	s_waitcnt lgkmcnt(0)
	v_add_f32_e32 v3, v12, v3
	ds_bpermute_b32 v6, v4, v3
	s_waitcnt lgkmcnt(0)
	v_add_f32_e32 v3, v3, v6
	v_xor_b32_e32 v6, 2, v2
	ds_bpermute_b32 v7, v5, v3
	v_cmp_gt_i32_e32 vcc_lo, 32, v6
	v_cndmask_b32_e32 v6, v2, v6, vcc_lo
	v_lshlrev_b32_e32 v6, 2, v6
	s_waitcnt lgkmcnt(0)
	v_add_f32_e32 v3, v3, v7
	v_xor_b32_e32 v7, 1, v2
	ds_bpermute_b32 v12, v6, v3
	v_cmp_gt_i32_e32 vcc_lo, 32, v7
	v_cndmask_b32_e32 v2, v2, v7, vcc_lo
	v_cmp_ne_u32_e32 vcc_lo, 1, v10
	v_lshlrev_b32_e32 v7, 2, v2
	s_waitcnt lgkmcnt(0)
	v_add_f32_e32 v2, v3, v12
	ds_bpermute_b32 v3, v7, v2
	s_cbranch_vccnz .LBB123_28
; %bb.27:
	ds_bpermute_b32 v1, v1, v11
	s_waitcnt lgkmcnt(0)
	v_add_f32_e32 v1, v11, v1
	ds_bpermute_b32 v4, v4, v1
	s_waitcnt lgkmcnt(0)
	v_add_f32_e32 v1, v1, v4
	;; [unrolled: 3-line block ×5, first 2 shown]
.LBB123_28:
	v_cmp_eq_u32_e32 vcc_lo, 0, v0
	s_and_b32 exec_lo, exec_lo, vcc_lo
	s_cbranch_execz .LBB123_52
; %bb.29:
	s_waitcnt lgkmcnt(0)
	v_add_f32_e32 v1, v2, v3
	v_cmp_ne_u32_e32 vcc_lo, 1, v10
	v_add_f32_e32 v2, v9, v1
	v_cndmask_b32_e64 v1, v1, v2, s0
	s_cbranch_vccnz .LBB123_51
; %bb.30:
	v_add_f32_e32 v2, v8, v11
	s_cmp_lt_i32 s2, 2
	s_mov_b32 s0, 0
	v_cndmask_b32_e64 v2, v11, v2, s1
	s_cbranch_scc1 .LBB123_34
; %bb.31:
	s_cmp_gt_i32 s2, 2
	s_cbranch_scc0 .LBB123_35
; %bb.32:
	s_cmp_eq_u32 s2, 3
	s_cbranch_scc0 .LBB123_36
; %bb.33:
	v_max_f32_e32 v3, v2, v2
	s_mov_b32 s1, 0
	v_min_f32_e32 v3, 0x40e00000, v3
	v_mul_f32_e32 v4, 0xbfd9db23, v3
	v_mul_f32_e32 v5, 0x3fb8aa3b, v4
	v_cmp_ngt_f32_e32 vcc_lo, 0xc2ce8ed0, v4
	v_fma_f32 v6, 0x3fb8aa3b, v4, -v5
	v_rndne_f32_e32 v7, v5
	v_fmamk_f32 v6, v4, 0x32a5705f, v6
	v_sub_f32_e32 v5, v5, v7
	v_add_f32_e32 v5, v5, v6
	v_cvt_i32_f32_e32 v6, v7
	v_exp_f32_e32 v5, v5
	v_ldexp_f32 v5, v5, v6
	v_cndmask_b32_e32 v5, 0, v5, vcc_lo
	v_cmp_nlt_f32_e32 vcc_lo, 0x42b17218, v4
	v_cndmask_b32_e32 v4, 0x7f800000, v5, vcc_lo
	v_add_f32_e32 v4, 1.0, v4
	v_div_scale_f32 v5, null, v4, v4, v3
	v_div_scale_f32 v8, vcc_lo, v3, v4, v3
	v_rcp_f32_e32 v6, v5
	v_fma_f32 v7, -v5, v6, 1.0
	v_fmac_f32_e32 v6, v7, v6
	v_mul_f32_e32 v7, v8, v6
	v_fma_f32 v9, -v5, v7, v8
	v_fmac_f32_e32 v7, v9, v6
	v_max_f32_e32 v9, v1, v1
	v_fma_f32 v5, -v5, v7, v8
	v_min_f32_e32 v8, 0x40e00000, v9
	v_div_fmas_f32 v5, v5, v6, v7
	v_max_f32_e32 v6, 0xc0e00000, v8
	v_div_fixup_f32 v3, v5, v4, v3
	v_add_f32_e32 v4, 1.0, v6
	v_mul_f32_e32 v3, v4, v3
	s_branch .LBB123_37
.LBB123_34:
	s_mov_b32 s1, 0
                                        ; implicit-def: $vgpr3
	s_cbranch_execnz .LBB123_41
	s_branch .LBB123_42
.LBB123_35:
	s_mov_b32 s3, -1
	s_mov_b32 s1, 0
                                        ; implicit-def: $vgpr3
	s_branch .LBB123_38
.LBB123_36:
	s_mov_b32 s1, -1
                                        ; implicit-def: $vgpr3
.LBB123_37:
	s_mov_b32 s3, 0
.LBB123_38:
	s_and_b32 vcc_lo, exec_lo, s3
	s_cbranch_vccz .LBB123_40
; %bb.39:
	v_mul_f32_e32 v3, 0xbfb8aa3b, v2
	v_cmp_nlt_f32_e32 vcc_lo, 0x42ce8ed0, v2
	v_rndne_f32_e32 v4, v3
	v_fma_f32 v5, 0xbfb8aa3b, v2, -v3
	v_sub_f32_e32 v3, v3, v4
	v_fmamk_f32 v5, v2, 0xb2a5705f, v5
	v_cvt_i32_f32_e32 v4, v4
	v_add_f32_e32 v3, v3, v5
	v_exp_f32_e32 v3, v3
	v_ldexp_f32 v3, v3, v4
	v_cndmask_b32_e32 v3, 0, v3, vcc_lo
	v_cmp_ngt_f32_e32 vcc_lo, 0xc2b17218, v2
	v_cndmask_b32_e32 v3, 0x7f800000, v3, vcc_lo
	v_add_f32_e32 v3, 1.0, v3
	v_div_scale_f32 v4, null, v3, v3, v2
	v_rcp_f32_e32 v5, v4
	v_fma_f32 v6, -v4, v5, 1.0
	v_fmac_f32_e32 v5, v6, v5
	v_div_scale_f32 v6, vcc_lo, v2, v3, v2
	v_mul_f32_e32 v7, v6, v5
	v_fma_f32 v8, -v4, v7, v6
	v_fmac_f32_e32 v7, v8, v5
	v_fma_f32 v4, -v4, v7, v6
	v_div_fmas_f32 v4, v4, v5, v7
	v_div_fixup_f32 v3, v4, v3, v2
	v_mul_f32_e32 v3, v1, v3
.LBB123_40:
	s_branch .LBB123_42
.LBB123_41:
	s_cmp_lg_u32 s2, 1
	s_mov_b32 s0, -1
	s_cselect_b32 s1, -1, 0
.LBB123_42:
	s_andn2_b32 vcc_lo, exec_lo, s1
	s_cbranch_vccz .LBB123_44
; %bb.43:
	s_andn2_b32 vcc_lo, exec_lo, s0
	s_cbranch_vccz .LBB123_45
	s_branch .LBB123_50
.LBB123_44:
	v_mul_f32_e32 v3, v2, v1
	s_cbranch_execnz .LBB123_50
.LBB123_45:
	v_mul_f32_e32 v3, 0x3d372713, v2
	v_mul_f32_e32 v4, 0x3f4c422a, v2
	v_fma_f32 v3, v2, v3, 1.0
	v_mul_f32_e32 v3, v4, v3
                                        ; implicit-def: $vgpr4
	v_cmp_ngt_f32_e64 s0, 0x3f200000, |v3|
	s_and_saveexec_b32 s1, s0
	s_xor_b32 s0, exec_lo, s1
	s_cbranch_execz .LBB123_47
; %bb.46:
	v_add_f32_e64 v4, |v3|, |v3|
	v_mul_f32_e32 v5, 0x3fb8aa3b, v4
	v_cmp_ngt_f32_e32 vcc_lo, 0xc2ce8ed0, v4
	v_rndne_f32_e32 v6, v5
	v_fma_f32 v7, 0x3fb8aa3b, v4, -v5
	v_sub_f32_e32 v5, v5, v6
	v_fmamk_f32 v7, v4, 0x32a5705f, v7
	v_cvt_i32_f32_e32 v6, v6
	v_add_f32_e32 v5, v5, v7
	v_exp_f32_e32 v5, v5
	v_ldexp_f32 v5, v5, v6
	v_cndmask_b32_e32 v5, 0, v5, vcc_lo
	v_cmp_nlt_f32_e32 vcc_lo, 0x42b17218, v4
	v_cndmask_b32_e32 v4, 0x7f800000, v5, vcc_lo
	v_add_f32_e32 v4, 1.0, v4
	v_rcp_f32_e32 v4, v4
	v_fma_f32 v4, v4, -2.0, 1.0
.LBB123_47:
	s_andn2_saveexec_b32 s0, s0
	s_cbranch_execz .LBB123_49
; %bb.48:
	v_mul_f32_e32 v4, v3, v3
	s_mov_b32 s1, 0xbbbac73d
	v_fmaak_f32 v5, s1, v4, 0x3ca908c9
	v_fmaak_f32 v5, v4, v5, 0xbd5c1c4e
	;; [unrolled: 1-line block ×4, first 2 shown]
	v_mul_f32_e64 v5, |v3|, v5
	v_fma_f32 v4, v4, v5, |v3|
.LBB123_49:
	s_or_b32 exec_lo, exec_lo, s0
	v_bfi_b32 v3, 0x7fffffff, v4, v3
	v_mul_f32_e32 v2, 0.5, v2
	v_add_f32_e32 v3, 1.0, v3
	v_mul_f32_e32 v2, v2, v3
	v_mul_f32_e32 v3, v1, v2
.LBB123_50:
	v_mov_b32_e32 v1, v3
.LBB123_51:
	s_load_dwordx2 s[0:1], s[4:5], 0x38
	s_mul_i32 s2, s22, s10
	s_mul_i32 s3, s26, s8
	s_add_i32 s2, s2, s6
	v_lshlrev_b32_e32 v0, 2, v0
	s_add_i32 s2, s2, s3
	s_mov_b32 s3, 0
	s_lshl_b64 s[2:3], s[2:3], 2
	s_waitcnt lgkmcnt(0)
	s_add_u32 s0, s0, s2
	s_addc_u32 s1, s1, s3
	global_store_dword v0, v1, s[0:1]
.LBB123_52:
	s_endpgm
	.section	.rodata,"a",@progbits
	.p2align	6, 0x0
	.amdhsa_kernel _ZL13mul_mat_vec_qIL9ggml_type12ELi1ELb1ELb0EEvPKvS2_PKi31ggml_cuda_mm_fusion_args_devicePfj15HIP_vector_typeIjLj3EEjjjS8_jjjS8_jjjj
		.amdhsa_group_segment_fixed_size 0
		.amdhsa_private_segment_fixed_size 0
		.amdhsa_kernarg_size 144
		.amdhsa_user_sgpr_count 6
		.amdhsa_user_sgpr_private_segment_buffer 1
		.amdhsa_user_sgpr_dispatch_ptr 0
		.amdhsa_user_sgpr_queue_ptr 0
		.amdhsa_user_sgpr_kernarg_segment_ptr 1
		.amdhsa_user_sgpr_dispatch_id 0
		.amdhsa_user_sgpr_flat_scratch_init 0
		.amdhsa_user_sgpr_private_segment_size 0
		.amdhsa_wavefront_size32 1
		.amdhsa_uses_dynamic_stack 0
		.amdhsa_system_sgpr_private_segment_wavefront_offset 0
		.amdhsa_system_sgpr_workgroup_id_x 1
		.amdhsa_system_sgpr_workgroup_id_y 1
		.amdhsa_system_sgpr_workgroup_id_z 1
		.amdhsa_system_sgpr_workgroup_info 0
		.amdhsa_system_vgpr_workitem_id 1
		.amdhsa_next_free_vgpr 35
		.amdhsa_next_free_sgpr 40
		.amdhsa_reserve_vcc 1
		.amdhsa_reserve_flat_scratch 0
		.amdhsa_float_round_mode_32 0
		.amdhsa_float_round_mode_16_64 0
		.amdhsa_float_denorm_mode_32 3
		.amdhsa_float_denorm_mode_16_64 3
		.amdhsa_dx10_clamp 1
		.amdhsa_ieee_mode 1
		.amdhsa_fp16_overflow 0
		.amdhsa_workgroup_processor_mode 1
		.amdhsa_memory_ordered 1
		.amdhsa_forward_progress 1
		.amdhsa_shared_vgpr_count 0
		.amdhsa_exception_fp_ieee_invalid_op 0
		.amdhsa_exception_fp_denorm_src 0
		.amdhsa_exception_fp_ieee_div_zero 0
		.amdhsa_exception_fp_ieee_overflow 0
		.amdhsa_exception_fp_ieee_underflow 0
		.amdhsa_exception_fp_ieee_inexact 0
		.amdhsa_exception_int_div_zero 0
	.end_amdhsa_kernel
	.section	.text._ZL13mul_mat_vec_qIL9ggml_type12ELi1ELb1ELb0EEvPKvS2_PKi31ggml_cuda_mm_fusion_args_devicePfj15HIP_vector_typeIjLj3EEjjjS8_jjjS8_jjjj,"axG",@progbits,_ZL13mul_mat_vec_qIL9ggml_type12ELi1ELb1ELb0EEvPKvS2_PKi31ggml_cuda_mm_fusion_args_devicePfj15HIP_vector_typeIjLj3EEjjjS8_jjjS8_jjjj,comdat
.Lfunc_end123:
	.size	_ZL13mul_mat_vec_qIL9ggml_type12ELi1ELb1ELb0EEvPKvS2_PKi31ggml_cuda_mm_fusion_args_devicePfj15HIP_vector_typeIjLj3EEjjjS8_jjjS8_jjjj, .Lfunc_end123-_ZL13mul_mat_vec_qIL9ggml_type12ELi1ELb1ELb0EEvPKvS2_PKi31ggml_cuda_mm_fusion_args_devicePfj15HIP_vector_typeIjLj3EEjjjS8_jjjS8_jjjj
                                        ; -- End function
	.set _ZL13mul_mat_vec_qIL9ggml_type12ELi1ELb1ELb0EEvPKvS2_PKi31ggml_cuda_mm_fusion_args_devicePfj15HIP_vector_typeIjLj3EEjjjS8_jjjS8_jjjj.num_vgpr, 35
	.set _ZL13mul_mat_vec_qIL9ggml_type12ELi1ELb1ELb0EEvPKvS2_PKi31ggml_cuda_mm_fusion_args_devicePfj15HIP_vector_typeIjLj3EEjjjS8_jjjS8_jjjj.num_agpr, 0
	.set _ZL13mul_mat_vec_qIL9ggml_type12ELi1ELb1ELb0EEvPKvS2_PKi31ggml_cuda_mm_fusion_args_devicePfj15HIP_vector_typeIjLj3EEjjjS8_jjjS8_jjjj.numbered_sgpr, 40
	.set _ZL13mul_mat_vec_qIL9ggml_type12ELi1ELb1ELb0EEvPKvS2_PKi31ggml_cuda_mm_fusion_args_devicePfj15HIP_vector_typeIjLj3EEjjjS8_jjjS8_jjjj.num_named_barrier, 0
	.set _ZL13mul_mat_vec_qIL9ggml_type12ELi1ELb1ELb0EEvPKvS2_PKi31ggml_cuda_mm_fusion_args_devicePfj15HIP_vector_typeIjLj3EEjjjS8_jjjS8_jjjj.private_seg_size, 0
	.set _ZL13mul_mat_vec_qIL9ggml_type12ELi1ELb1ELb0EEvPKvS2_PKi31ggml_cuda_mm_fusion_args_devicePfj15HIP_vector_typeIjLj3EEjjjS8_jjjS8_jjjj.uses_vcc, 1
	.set _ZL13mul_mat_vec_qIL9ggml_type12ELi1ELb1ELb0EEvPKvS2_PKi31ggml_cuda_mm_fusion_args_devicePfj15HIP_vector_typeIjLj3EEjjjS8_jjjS8_jjjj.uses_flat_scratch, 0
	.set _ZL13mul_mat_vec_qIL9ggml_type12ELi1ELb1ELb0EEvPKvS2_PKi31ggml_cuda_mm_fusion_args_devicePfj15HIP_vector_typeIjLj3EEjjjS8_jjjS8_jjjj.has_dyn_sized_stack, 0
	.set _ZL13mul_mat_vec_qIL9ggml_type12ELi1ELb1ELb0EEvPKvS2_PKi31ggml_cuda_mm_fusion_args_devicePfj15HIP_vector_typeIjLj3EEjjjS8_jjjS8_jjjj.has_recursion, 0
	.set _ZL13mul_mat_vec_qIL9ggml_type12ELi1ELb1ELb0EEvPKvS2_PKi31ggml_cuda_mm_fusion_args_devicePfj15HIP_vector_typeIjLj3EEjjjS8_jjjS8_jjjj.has_indirect_call, 0
	.section	.AMDGPU.csdata,"",@progbits
; Kernel info:
; codeLenInByte = 2916
; TotalNumSgprs: 42
; NumVgprs: 35
; ScratchSize: 0
; MemoryBound: 0
; FloatMode: 240
; IeeeMode: 1
; LDSByteSize: 0 bytes/workgroup (compile time only)
; SGPRBlocks: 0
; VGPRBlocks: 4
; NumSGPRsForWavesPerEU: 42
; NumVGPRsForWavesPerEU: 35
; Occupancy: 16
; WaveLimiterHint : 0
; COMPUTE_PGM_RSRC2:SCRATCH_EN: 0
; COMPUTE_PGM_RSRC2:USER_SGPR: 6
; COMPUTE_PGM_RSRC2:TRAP_HANDLER: 0
; COMPUTE_PGM_RSRC2:TGID_X_EN: 1
; COMPUTE_PGM_RSRC2:TGID_Y_EN: 1
; COMPUTE_PGM_RSRC2:TGID_Z_EN: 1
; COMPUTE_PGM_RSRC2:TIDIG_COMP_CNT: 1
	.section	.text._ZL13mul_mat_vec_qIL9ggml_type12ELi1ELb0ELb0EEvPKvS2_PKi31ggml_cuda_mm_fusion_args_devicePfj15HIP_vector_typeIjLj3EEjjjS8_jjjS8_jjjj,"axG",@progbits,_ZL13mul_mat_vec_qIL9ggml_type12ELi1ELb0ELb0EEvPKvS2_PKi31ggml_cuda_mm_fusion_args_devicePfj15HIP_vector_typeIjLj3EEjjjS8_jjjS8_jjjj,comdat
	.globl	_ZL13mul_mat_vec_qIL9ggml_type12ELi1ELb0ELb0EEvPKvS2_PKi31ggml_cuda_mm_fusion_args_devicePfj15HIP_vector_typeIjLj3EEjjjS8_jjjS8_jjjj ; -- Begin function _ZL13mul_mat_vec_qIL9ggml_type12ELi1ELb0ELb0EEvPKvS2_PKi31ggml_cuda_mm_fusion_args_devicePfj15HIP_vector_typeIjLj3EEjjjS8_jjjS8_jjjj
	.p2align	8
	.type	_ZL13mul_mat_vec_qIL9ggml_type12ELi1ELb0ELb0EEvPKvS2_PKi31ggml_cuda_mm_fusion_args_devicePfj15HIP_vector_typeIjLj3EEjjjS8_jjjS8_jjjj,@function
_ZL13mul_mat_vec_qIL9ggml_type12ELi1ELb0ELb0EEvPKvS2_PKi31ggml_cuda_mm_fusion_args_devicePfj15HIP_vector_typeIjLj3EEjjjS8_jjjS8_jjjj: ; @_ZL13mul_mat_vec_qIL9ggml_type12ELi1ELb0ELb0EEvPKvS2_PKi31ggml_cuda_mm_fusion_args_devicePfj15HIP_vector_typeIjLj3EEjjjS8_jjjS8_jjjj
; %bb.0:
	s_clause 0x1
	s_load_dwordx2 s[0:1], s[4:5], 0x10
	s_load_dwordx4 s[16:19], s[4:5], 0x40
	s_mov_b32 s10, s7
	s_waitcnt lgkmcnt(0)
	s_cmp_lg_u64 s[0:1], 0
	s_cselect_b32 s7, -1, 0
	s_cmp_eq_u64 s[0:1], 0
	s_cbranch_scc1 .LBB124_5
; %bb.1:
	s_mov_b32 s11, 0
	s_lshl_b64 s[2:3], s[10:11], 2
	s_add_u32 s0, s0, s2
	s_addc_u32 s1, s1, s3
	s_load_dword s20, s[0:1], 0x0
	s_clause 0x1
	s_load_dwordx4 s[0:3], s[4:5], 0x68
	s_load_dword s21, s[4:5], 0x50
	s_cbranch_execnz .LBB124_3
.LBB124_2:
	s_load_dwordx2 s[12:13], s[4:5], 0x5c
	s_waitcnt lgkmcnt(0)
	s_mul_hi_u32 s9, s12, s10
	s_add_i32 s9, s10, s9
	s_lshr_b32 s20, s9, s13
.LBB124_3:
	s_load_dword s11, s[4:5], 0x78
	s_andn2_b32 vcc_lo, exec_lo, s7
	s_cbranch_vccnz .LBB124_6
; %bb.4:
	s_mul_hi_u32 s7, s17, s10
	s_add_i32 s7, s10, s7
	s_lshr_b32 s7, s7, s18
	s_mul_i32 s7, s7, s19
	s_sub_i32 s22, s10, s7
	s_branch .LBB124_7
.LBB124_5:
                                        ; implicit-def: $sgpr20
	s_clause 0x1
	s_load_dwordx4 s[0:3], s[4:5], 0x68
	s_load_dword s21, s[4:5], 0x50
	s_branch .LBB124_2
.LBB124_6:
	s_mov_b32 s22, s10
.LBB124_7:
	s_load_dwordx4 s[12:15], s[4:5], 0x80
	v_lshl_or_b32 v2, v1, 5, v0
	v_mov_b32_e32 v6, 0
	s_lshr_b32 s9, s16, 8
	s_mov_b32 s7, exec_lo
	v_lshrrev_b32_e32 v7, 4, v2
	v_cmpx_gt_u32_e64 s9, v7
	s_cbranch_execz .LBB124_15
; %bb.8:
	s_load_dwordx4 s[16:19], s[4:5], 0x0
	v_lshlrev_b32_e32 v3, 1, v0
	v_bfe_u32 v5, v0, 2, 2
	s_waitcnt lgkmcnt(0)
	s_mul_hi_u32 s3, s3, s8
	v_lshrrev_b32_e32 v11, 4, v2
	s_add_i32 s3, s8, s3
	v_and_b32_e32 v4, 30, v3
	v_bfe_u32 v10, v3, 3, 2
	v_mul_hi_u32_u24_e32 v3, 0x48, v5
	v_mul_u32_u24_e32 v2, 0x48, v5
	s_lshr_b32 s3, s3, s11
	s_mul_i32 s21, s21, s6
	s_mul_i32 s3, s3, s12
	;; [unrolled: 1-line block ×3, first 2 shown]
	v_mad_u64_u32 v[2:3], null, 0x120, v11, v[2:3]
	s_mul_i32 s0, s20, s0
	s_add_i32 s3, s3, s21
	s_mul_i32 s1, s22, s1
	s_mul_i32 s12, s11, 36
	s_add_i32 s3, s0, s3
	s_mul_hi_u32 s11, s11, 36
	s_mul_hi_u32 s0, s1, 36
	s_mul_i32 s1, s1, 36
	s_add_u32 s12, s18, s12
	s_addc_u32 s11, s19, s11
	s_add_u32 s1, s12, s1
	s_addc_u32 s0, s11, s0
	v_add_co_u32 v2, vcc_lo, s1, v2
	v_and_b32_e32 v9, 3, v0
	v_add_co_ci_u32_e64 v3, null, s0, v3, vcc_lo
	v_add_co_u32 v2, s0, v2, 36
	v_lshlrev_b32_e32 v8, 5, v10
	v_mov_b32_e32 v6, 0
	v_lshlrev_b32_e32 v9, 2, v9
	v_add_co_ci_u32_e64 v3, null, 0, v3, s0
	v_lshlrev_b32_e32 v10, 1, v10
	s_mov_b32 s11, 0
	v_cmp_lt_u32_e32 vcc_lo, 15, v4
	s_branch .LBB124_10
.LBB124_9:                              ;   in Loop: Header=BB124_10 Depth=1
	s_or_b32 exec_lo, exec_lo, s0
	s_waitcnt vmcnt(2)
	v_and_b32_e32 v4, 0xf0f0f0f, v20
	v_mov_b32_e32 v5, 0
	v_mov_b32_e32 v21, 0
	s_waitcnt vmcnt(1)
	v_and_b32_e32 v22, 0xf0f0f0f, v18
	v_lshrrev_b32_e32 v18, 4, v18
	v_add_nc_u32_e32 v7, 2, v7
	v_dot4c_i32_i8 v5, v4, v19
	v_dot4c_i32_i8 v21, 0x1010101, v19
	v_lshrrev_b32_e32 v4, 4, v20
	v_mov_b32_e32 v19, 0
	v_mov_b32_e32 v20, 0
	v_dot4c_i32_i8 v5, v22, v16
	v_dot4c_i32_i8 v21, 0x1010101, v16
	v_and_b32_e32 v16, 0xff00ff, v17
	v_and_b32_e32 v4, 0xf0f0f0f, v4
	v_dot4c_i32_i8 v19, 0x1010101, v15
	v_pk_lshrrev_b16 v17, 8, v17 op_sel_hi:[0,1]
	v_and_b32_e32 v18, 0xf0f0f0f, v18
	v_lshrrev_b32_e32 v22, 16, v16
	v_dot4c_i32_i8 v20, v4, v15
	v_dot4c_i32_i8 v19, 0x1010101, v14
	v_and_b32_e32 v4, 0xff, v16
	v_lshrrev_b32_e32 v16, 16, v17
	v_mul_lo_u32 v15, v21, v22
	v_dot4c_i32_i8 v20, v18, v14
	v_cmp_le_u32_e64 s0, s9, v7
	v_mul_lo_u32 v4, v5, v4
	v_and_b32_e32 v5, 0xff, v17
	v_mul_lo_u32 v14, v19, v16
	s_waitcnt vmcnt(0)
	v_cvt_f32_f16_sdwa v16, v13 dst_sel:DWORD dst_unused:UNUSED_PAD src0_sel:WORD_1
	v_add_co_u32 v2, s1, 0x240, v2
	v_cvt_f32_i32_e32 v15, v15
	v_mul_lo_u32 v5, v20, v5
	v_cvt_f32_i32_e32 v4, v4
	v_add_co_ci_u32_e64 v3, null, 0, v3, s1
	v_fma_mix_f32 v15, v11, v15, 0 op_sel_hi:[1,0,0]
	v_cvt_f32_i32_e32 v14, v14
	v_fma_mix_f32 v4, v11, v4, 0 op_sel_hi:[1,0,0]
	s_or_b32 s11, s0, s11
	v_cvt_f32_i32_e32 v5, v5
	v_fma_mix_f32 v11, v12, v14, v15 op_sel_hi:[1,0,0]
	v_fma_mix_f32 v4, v12, v5, v4 op_sel_hi:[1,0,0]
	v_mul_f32_e32 v5, v11, v16
	v_fma_mix_f32 v4, v4, v13, -v5 op_sel_hi:[0,1,0]
	v_add_f32_e32 v6, v6, v4
	s_andn2_b32 exec_lo, exec_lo, s11
	s_cbranch_execz .LBB124_14
.LBB124_10:                             ; =>This Inner Loop Header: Depth=1
	v_add_nc_u32_e32 v4, s3, v7
	v_mad_i64_i32 v[4:5], null, 0x90, v4, s[16:17]
	v_add_co_u32 v11, s0, v4, v8
	v_add_co_ci_u32_e64 v12, null, 0, v5, s0
	v_add_co_u32 v13, s0, v2, v9
	v_add_co_ci_u32_e64 v14, null, 0, v3, s0
	;; [unrolled: 2-line block ×3, first 2 shown]
	s_clause 0x5
	global_load_dword v11, v[2:3], off offset:-36
	global_load_dword v12, v[2:3], off
	global_load_dword v19, v[13:14], off offset:-32
	global_load_dword v16, v[13:14], off offset:-16
	global_load_dword v15, v[13:14], off offset:4
	global_load_dword v14, v[13:14], off offset:20
	s_clause 0x2
	global_load_dword v20, v[17:18], off offset:16
	global_load_dword v18, v[17:18], off offset:32
	global_load_dword v13, v[4:5], off
	v_add_co_u32 v4, s0, v4, v10
	v_add_co_ci_u32_e64 v5, null, 0, v5, s0
                                        ; implicit-def: $vgpr17
	s_and_saveexec_b32 s0, vcc_lo
	s_xor_b32 s0, exec_lo, s0
	s_cbranch_execz .LBB124_12
; %bb.11:                               ;   in Loop: Header=BB124_10 Depth=1
	s_clause 0x2
	global_load_ushort v17, v[4:5], off
	global_load_ushort v21, v[4:5], off offset:8
	global_load_short_d16_hi v17, v[4:5], off offset:4
	s_waitcnt vmcnt(1)
	v_pk_lshrrev_b16 v4, 4, v21 op_sel:[1,0] op_sel_hi:[0,0]
	v_and_b32_e32 v4, 0xf0f0f0f, v4
	s_waitcnt vmcnt(0)
	v_pk_lshrrev_b16 v5, 2, v17 op_sel_hi:[0,1]
	v_and_or_b32 v17, 0x30303030, v5, v4
                                        ; implicit-def: $vgpr4_vgpr5
.LBB124_12:                             ;   in Loop: Header=BB124_10 Depth=1
	s_andn2_saveexec_b32 s0, s0
	s_cbranch_execz .LBB124_9
; %bb.13:                               ;   in Loop: Header=BB124_10 Depth=1
	s_clause 0x1
	global_load_ushort v17, v[4:5], off offset:4
	global_load_short_d16_hi v17, v[4:5], off offset:8
	s_waitcnt vmcnt(0)
	v_and_b32_e32 v17, 0x3f3f3f3f, v17
	s_branch .LBB124_9
.LBB124_14:
	s_or_b32 exec_lo, exec_lo, s11
.LBB124_15:
	s_or_b32 exec_lo, exec_lo, s7
	s_waitcnt lgkmcnt(0)
	; wave barrier
	buffer_gl0_inv
	s_mov_b32 s0, exec_lo
	v_cmpx_eq_u32_e32 0, v1
	s_cbranch_execz .LBB124_18
; %bb.16:
	v_mbcnt_lo_u32_b32 v1, -1, 0
	v_xor_b32_e32 v2, 16, v1
	v_xor_b32_e32 v3, 8, v1
	;; [unrolled: 1-line block ×3, first 2 shown]
	v_cmp_gt_i32_e32 vcc_lo, 32, v2
	v_cndmask_b32_e32 v2, v1, v2, vcc_lo
	v_cmp_gt_i32_e32 vcc_lo, 32, v3
	v_lshlrev_b32_e32 v2, 2, v2
	v_cndmask_b32_e32 v3, v1, v3, vcc_lo
	v_cmp_gt_i32_e32 vcc_lo, 32, v4
	ds_bpermute_b32 v2, v2, v6
	v_lshlrev_b32_e32 v3, 2, v3
	v_cndmask_b32_e32 v4, v1, v4, vcc_lo
	v_lshlrev_b32_e32 v4, 2, v4
	s_waitcnt lgkmcnt(0)
	v_add_f32_e32 v2, v6, v2
	ds_bpermute_b32 v3, v3, v2
	s_waitcnt lgkmcnt(0)
	v_add_f32_e32 v2, v2, v3
	ds_bpermute_b32 v3, v4, v2
	v_xor_b32_e32 v4, 2, v1
	v_cmp_gt_i32_e32 vcc_lo, 32, v4
	v_cndmask_b32_e32 v4, v1, v4, vcc_lo
	v_lshlrev_b32_e32 v4, 2, v4
	s_waitcnt lgkmcnt(0)
	v_add_f32_e32 v2, v2, v3
	ds_bpermute_b32 v3, v4, v2
	v_xor_b32_e32 v4, 1, v1
	v_cmp_gt_i32_e32 vcc_lo, 32, v4
	v_cndmask_b32_e32 v1, v1, v4, vcc_lo
	v_cmp_eq_u32_e32 vcc_lo, 0, v0
	v_lshlrev_b32_e32 v4, 2, v1
	s_waitcnt lgkmcnt(0)
	v_add_f32_e32 v1, v2, v3
	ds_bpermute_b32 v2, v4, v1
	s_and_b32 exec_lo, exec_lo, vcc_lo
	s_cbranch_execz .LBB124_18
; %bb.17:
	s_load_dwordx2 s[0:1], s[4:5], 0x38
	s_mul_i32 s2, s2, s10
	s_mul_i32 s3, s14, s8
	s_add_i32 s2, s2, s6
	s_waitcnt lgkmcnt(0)
	v_add_f32_e32 v0, v1, v2
	s_add_i32 s2, s2, s3
	s_mov_b32 s3, 0
	v_mov_b32_e32 v1, 0
	s_lshl_b64 s[2:3], s[2:3], 2
	s_add_u32 s0, s0, s2
	s_addc_u32 s1, s1, s3
	global_store_dword v1, v0, s[0:1]
.LBB124_18:
	s_endpgm
	.section	.rodata,"a",@progbits
	.p2align	6, 0x0
	.amdhsa_kernel _ZL13mul_mat_vec_qIL9ggml_type12ELi1ELb0ELb0EEvPKvS2_PKi31ggml_cuda_mm_fusion_args_devicePfj15HIP_vector_typeIjLj3EEjjjS8_jjjS8_jjjj
		.amdhsa_group_segment_fixed_size 0
		.amdhsa_private_segment_fixed_size 0
		.amdhsa_kernarg_size 144
		.amdhsa_user_sgpr_count 6
		.amdhsa_user_sgpr_private_segment_buffer 1
		.amdhsa_user_sgpr_dispatch_ptr 0
		.amdhsa_user_sgpr_queue_ptr 0
		.amdhsa_user_sgpr_kernarg_segment_ptr 1
		.amdhsa_user_sgpr_dispatch_id 0
		.amdhsa_user_sgpr_flat_scratch_init 0
		.amdhsa_user_sgpr_private_segment_size 0
		.amdhsa_wavefront_size32 1
		.amdhsa_uses_dynamic_stack 0
		.amdhsa_system_sgpr_private_segment_wavefront_offset 0
		.amdhsa_system_sgpr_workgroup_id_x 1
		.amdhsa_system_sgpr_workgroup_id_y 1
		.amdhsa_system_sgpr_workgroup_id_z 1
		.amdhsa_system_sgpr_workgroup_info 0
		.amdhsa_system_vgpr_workitem_id 1
		.amdhsa_next_free_vgpr 23
		.amdhsa_next_free_sgpr 23
		.amdhsa_reserve_vcc 1
		.amdhsa_reserve_flat_scratch 0
		.amdhsa_float_round_mode_32 0
		.amdhsa_float_round_mode_16_64 0
		.amdhsa_float_denorm_mode_32 3
		.amdhsa_float_denorm_mode_16_64 3
		.amdhsa_dx10_clamp 1
		.amdhsa_ieee_mode 1
		.amdhsa_fp16_overflow 0
		.amdhsa_workgroup_processor_mode 1
		.amdhsa_memory_ordered 1
		.amdhsa_forward_progress 1
		.amdhsa_shared_vgpr_count 0
		.amdhsa_exception_fp_ieee_invalid_op 0
		.amdhsa_exception_fp_denorm_src 0
		.amdhsa_exception_fp_ieee_div_zero 0
		.amdhsa_exception_fp_ieee_overflow 0
		.amdhsa_exception_fp_ieee_underflow 0
		.amdhsa_exception_fp_ieee_inexact 0
		.amdhsa_exception_int_div_zero 0
	.end_amdhsa_kernel
	.section	.text._ZL13mul_mat_vec_qIL9ggml_type12ELi1ELb0ELb0EEvPKvS2_PKi31ggml_cuda_mm_fusion_args_devicePfj15HIP_vector_typeIjLj3EEjjjS8_jjjS8_jjjj,"axG",@progbits,_ZL13mul_mat_vec_qIL9ggml_type12ELi1ELb0ELb0EEvPKvS2_PKi31ggml_cuda_mm_fusion_args_devicePfj15HIP_vector_typeIjLj3EEjjjS8_jjjS8_jjjj,comdat
.Lfunc_end124:
	.size	_ZL13mul_mat_vec_qIL9ggml_type12ELi1ELb0ELb0EEvPKvS2_PKi31ggml_cuda_mm_fusion_args_devicePfj15HIP_vector_typeIjLj3EEjjjS8_jjjS8_jjjj, .Lfunc_end124-_ZL13mul_mat_vec_qIL9ggml_type12ELi1ELb0ELb0EEvPKvS2_PKi31ggml_cuda_mm_fusion_args_devicePfj15HIP_vector_typeIjLj3EEjjjS8_jjjS8_jjjj
                                        ; -- End function
	.set _ZL13mul_mat_vec_qIL9ggml_type12ELi1ELb0ELb0EEvPKvS2_PKi31ggml_cuda_mm_fusion_args_devicePfj15HIP_vector_typeIjLj3EEjjjS8_jjjS8_jjjj.num_vgpr, 23
	.set _ZL13mul_mat_vec_qIL9ggml_type12ELi1ELb0ELb0EEvPKvS2_PKi31ggml_cuda_mm_fusion_args_devicePfj15HIP_vector_typeIjLj3EEjjjS8_jjjS8_jjjj.num_agpr, 0
	.set _ZL13mul_mat_vec_qIL9ggml_type12ELi1ELb0ELb0EEvPKvS2_PKi31ggml_cuda_mm_fusion_args_devicePfj15HIP_vector_typeIjLj3EEjjjS8_jjjS8_jjjj.numbered_sgpr, 23
	.set _ZL13mul_mat_vec_qIL9ggml_type12ELi1ELb0ELb0EEvPKvS2_PKi31ggml_cuda_mm_fusion_args_devicePfj15HIP_vector_typeIjLj3EEjjjS8_jjjS8_jjjj.num_named_barrier, 0
	.set _ZL13mul_mat_vec_qIL9ggml_type12ELi1ELb0ELb0EEvPKvS2_PKi31ggml_cuda_mm_fusion_args_devicePfj15HIP_vector_typeIjLj3EEjjjS8_jjjS8_jjjj.private_seg_size, 0
	.set _ZL13mul_mat_vec_qIL9ggml_type12ELi1ELb0ELb0EEvPKvS2_PKi31ggml_cuda_mm_fusion_args_devicePfj15HIP_vector_typeIjLj3EEjjjS8_jjjS8_jjjj.uses_vcc, 1
	.set _ZL13mul_mat_vec_qIL9ggml_type12ELi1ELb0ELb0EEvPKvS2_PKi31ggml_cuda_mm_fusion_args_devicePfj15HIP_vector_typeIjLj3EEjjjS8_jjjS8_jjjj.uses_flat_scratch, 0
	.set _ZL13mul_mat_vec_qIL9ggml_type12ELi1ELb0ELb0EEvPKvS2_PKi31ggml_cuda_mm_fusion_args_devicePfj15HIP_vector_typeIjLj3EEjjjS8_jjjS8_jjjj.has_dyn_sized_stack, 0
	.set _ZL13mul_mat_vec_qIL9ggml_type12ELi1ELb0ELb0EEvPKvS2_PKi31ggml_cuda_mm_fusion_args_devicePfj15HIP_vector_typeIjLj3EEjjjS8_jjjS8_jjjj.has_recursion, 0
	.set _ZL13mul_mat_vec_qIL9ggml_type12ELi1ELb0ELb0EEvPKvS2_PKi31ggml_cuda_mm_fusion_args_devicePfj15HIP_vector_typeIjLj3EEjjjS8_jjjS8_jjjj.has_indirect_call, 0
	.section	.AMDGPU.csdata,"",@progbits
; Kernel info:
; codeLenInByte = 1296
; TotalNumSgprs: 25
; NumVgprs: 23
; ScratchSize: 0
; MemoryBound: 0
; FloatMode: 240
; IeeeMode: 1
; LDSByteSize: 0 bytes/workgroup (compile time only)
; SGPRBlocks: 0
; VGPRBlocks: 2
; NumSGPRsForWavesPerEU: 25
; NumVGPRsForWavesPerEU: 23
; Occupancy: 16
; WaveLimiterHint : 0
; COMPUTE_PGM_RSRC2:SCRATCH_EN: 0
; COMPUTE_PGM_RSRC2:USER_SGPR: 6
; COMPUTE_PGM_RSRC2:TRAP_HANDLER: 0
; COMPUTE_PGM_RSRC2:TGID_X_EN: 1
; COMPUTE_PGM_RSRC2:TGID_Y_EN: 1
; COMPUTE_PGM_RSRC2:TGID_Z_EN: 1
; COMPUTE_PGM_RSRC2:TIDIG_COMP_CNT: 1
	.section	.text._ZL13mul_mat_vec_qIL9ggml_type12ELi2ELb0ELb0EEvPKvS2_PKi31ggml_cuda_mm_fusion_args_devicePfj15HIP_vector_typeIjLj3EEjjjS8_jjjS8_jjjj,"axG",@progbits,_ZL13mul_mat_vec_qIL9ggml_type12ELi2ELb0ELb0EEvPKvS2_PKi31ggml_cuda_mm_fusion_args_devicePfj15HIP_vector_typeIjLj3EEjjjS8_jjjS8_jjjj,comdat
	.globl	_ZL13mul_mat_vec_qIL9ggml_type12ELi2ELb0ELb0EEvPKvS2_PKi31ggml_cuda_mm_fusion_args_devicePfj15HIP_vector_typeIjLj3EEjjjS8_jjjS8_jjjj ; -- Begin function _ZL13mul_mat_vec_qIL9ggml_type12ELi2ELb0ELb0EEvPKvS2_PKi31ggml_cuda_mm_fusion_args_devicePfj15HIP_vector_typeIjLj3EEjjjS8_jjjS8_jjjj
	.p2align	8
	.type	_ZL13mul_mat_vec_qIL9ggml_type12ELi2ELb0ELb0EEvPKvS2_PKi31ggml_cuda_mm_fusion_args_devicePfj15HIP_vector_typeIjLj3EEjjjS8_jjjS8_jjjj,@function
_ZL13mul_mat_vec_qIL9ggml_type12ELi2ELb0ELb0EEvPKvS2_PKi31ggml_cuda_mm_fusion_args_devicePfj15HIP_vector_typeIjLj3EEjjjS8_jjjS8_jjjj: ; @_ZL13mul_mat_vec_qIL9ggml_type12ELi2ELb0ELb0EEvPKvS2_PKi31ggml_cuda_mm_fusion_args_devicePfj15HIP_vector_typeIjLj3EEjjjS8_jjjS8_jjjj
; %bb.0:
	s_clause 0x5
	s_load_dword s9, s[4:5], 0x40
	s_load_dwordx4 s[0:3], s[4:5], 0x50
	s_load_dword s11, s[4:5], 0x60
	s_load_dwordx4 s[12:15], s[4:5], 0x68
	;; [unrolled: 2-line block ×3, first 2 shown]
	v_lshl_or_b32 v2, v1, 5, v0
	v_mov_b32_e32 v8, 0
	v_mov_b32_e32 v10, 0
	v_lshrrev_b32_e32 v9, 4, v2
	s_waitcnt lgkmcnt(0)
	s_lshr_b32 s10, s9, 8
	s_mov_b32 s9, exec_lo
	v_cmpx_gt_u32_e64 s10, v9
	s_cbranch_execz .LBB125_12
; %bb.1:
	s_load_dwordx4 s[20:23], s[4:5], 0x0
	v_bfe_u32 v2, v0, 2, 2
	v_lshlrev_b32_e32 v4, 1, v0
	s_mul_hi_u32 s3, s3, s7
	s_mul_hi_u32 s15, s15, s8
	s_mul_i32 s17, s17, s8
	v_mul_hi_u32_u24_e32 v3, 0x48, v2
	v_mul_u32_u24_e32 v2, 0x48, v2
	s_add_i32 s3, s7, s3
	s_add_i32 s15, s8, s15
	s_mul_i32 s13, s13, s7
	s_mul_hi_u32 s19, s17, 36
	v_mad_u64_u32 v[2:3], null, 0x120, v9, v[2:3]
	s_mul_i32 s17, s17, 36
	s_lshr_b32 s3, s3, s11
	v_bfe_u32 v6, v4, 3, 2
	s_lshr_b32 s11, s15, s24
	v_and_b32_e32 v5, 30, v4
	s_mul_hi_u32 s25, s13, 36
	s_mul_i32 s13, s13, 36
	s_mul_i32 s3, s3, s12
	s_waitcnt lgkmcnt(0)
	s_add_u32 s12, s22, s17
	s_addc_u32 s15, s23, s19
	s_mul_i32 s0, s0, s6
	s_add_u32 s12, s12, s13
	v_lshlrev_b32_e32 v4, 1, v6
	s_addc_u32 s13, s15, s25
	s_add_i32 s3, s3, s0
	v_cmp_lt_u32_e32 vcc_lo, 15, v5
	v_add_co_u32 v5, s0, s12, v2
	v_and_b32_e32 v7, 3, v0
	v_add_co_ci_u32_e64 v10, null, s13, v3, s0
	v_mad_u64_u32 v[2:3], null, v4, 36, s[12:13]
	v_add_co_u32 v4, s0, v5, 36
	v_lshlrev_b32_e32 v11, 5, v6
	v_mov_b32_e32 v8, 0
	v_lshlrev_b32_e32 v12, 2, v7
	v_add_co_ci_u32_e64 v5, null, 0, v10, s0
	v_lshl_add_u32 v13, v9, 3, s1
	v_lshlrev_b32_e32 v14, 1, v6
	v_lshlrev_b32_e32 v15, 2, v7
	v_mov_b32_e32 v16, 0xffff
	v_mov_b32_e32 v10, 0
	s_mul_i32 s11, s11, s16
	s_add_i32 s11, s11, s3
	s_mov_b32 s3, 0
	s_branch .LBB125_3
.LBB125_2:                              ;   in Loop: Header=BB125_3 Depth=1
	s_or_b32 exec_lo, exec_lo, s0
	v_mov_b32_e32 v36, 0
	s_waitcnt vmcnt(14)
	v_and_b32_e32 v6, 0xf0f0f0f, v30
	v_lshrrev_b32_e32 v30, 4, v30
	v_mov_b32_e32 v7, 0
	v_mov_b32_e32 v37, 0
	s_waitcnt vmcnt(9)
	v_dot4c_i32_i8 v36, 0x1010101, v26
	v_mov_b32_e32 v39, 0
	v_and_b32_e32 v40, 0xff, v29
	v_and_b32_e32 v30, 0xf0f0f0f, v30
	;; [unrolled: 1-line block ×3, first 2 shown]
	s_waitcnt vmcnt(8)
	v_dot4c_i32_i8 v36, 0x1010101, v24
	v_lshrrev_b32_e32 v31, 4, v31
	v_dot4c_i32_i8 v7, v6, v26
	s_waitcnt vmcnt(7)
	v_dot4c_i32_i8 v39, 0x1010101, v23
	v_dot4c_i32_i8 v37, v30, v23
	v_mul_lo_u32 v23, v36, v40
	v_bfe_u32 v38, v29, 16, 8
	v_dot4c_i32_i8 v7, v34, v24
	v_and_b32_sdwa v26, v16, v29 dst_sel:DWORD dst_unused:UNUSED_PAD src0_sel:DWORD src1_sel:BYTE_1
	v_lshrrev_b32_e32 v24, 24, v29
	v_and_b32_e32 v29, 0xf0f0f0f, v31
	v_mov_b32_e32 v31, 0
	v_mov_b32_e32 v36, 0
	s_waitcnt vmcnt(6)
	v_dot4c_i32_i8 v39, 0x1010101, v20
	v_mul_lo_u32 v7, v7, v38
	v_dot4c_i32_i8 v37, v29, v20
	s_waitcnt vmcnt(4)
	v_dot4c_i32_i8 v31, v6, v32
	v_cvt_f32_i32_e32 v6, v23
	v_mov_b32_e32 v20, 0
	v_dot4c_i32_i8 v36, 0x1010101, v32
	v_and_b32_e32 v23, 0xff00ff, v33
	s_waitcnt vmcnt(3)
	v_dot4c_i32_i8 v31, v34, v28
	v_mov_b32_e32 v32, 0
	s_waitcnt vmcnt(2)
	v_dot4c_i32_i8 v20, 0x1010101, v27
	v_dot4c_i32_i8 v36, 0x1010101, v28
	v_lshrrev_b32_e32 v28, 16, v23
	v_pk_lshrrev_b16 v33, 8, v33 op_sel_hi:[0,1]
	v_dot4c_i32_i8 v32, v30, v27
	s_waitcnt vmcnt(1)
	v_dot4c_i32_i8 v20, 0x1010101, v25
	v_and_b32_e32 v23, 0xff, v23
	v_mul_lo_u32 v27, v36, v28
	v_lshrrev_b32_e32 v28, 16, v33
	v_cvt_f32_i32_e32 v7, v7
	v_mul_lo_u32 v26, v39, v26
	v_dot4c_i32_i8 v32, v29, v25
	v_mul_lo_u32 v23, v31, v23
	v_and_b32_e32 v25, 0xff, v33
	v_mul_lo_u32 v20, v20, v28
	v_cvt_f32_i32_e32 v27, v27
	v_fma_mix_f32 v7, v19, v7, 0 op_sel_hi:[1,0,0]
	v_mul_lo_u32 v24, v37, v24
	v_fma_mix_f32 v6, v19, v6, 0 op_sel_hi:[1,0,0]
	v_mul_lo_u32 v19, v32, v25
	v_cvt_f32_i32_e32 v25, v26
	v_cvt_f32_i32_e32 v23, v23
	v_fma_mix_f32 v26, v21, v27, 0 op_sel_hi:[1,0,0]
	v_cvt_f32_i32_e32 v20, v20
	v_cvt_f32_f16_sdwa v35, v17 dst_sel:DWORD dst_unused:UNUSED_PAD src0_sel:WORD_1
	v_cvt_f32_i32_e32 v24, v24
	v_fma_mix_f32 v6, v18, v25, v6 op_sel_hi:[1,0,0]
	v_fma_mix_f32 v21, v21, v23, 0 op_sel_hi:[1,0,0]
	v_cvt_f32_i32_e32 v19, v19
	s_waitcnt vmcnt(0)
	v_fma_mix_f32 v20, v22, v20, v26 op_sel_hi:[1,0,0]
	v_fma_mix_f32 v7, v18, v24, v7 op_sel_hi:[1,0,0]
	v_mul_f32_e32 v6, v6, v35
	v_add_nc_u32_e32 v9, 2, v9
	v_fma_mix_f32 v18, v22, v19, v21 op_sel_hi:[1,0,0]
	v_mul_f32_e32 v19, v20, v35
	v_add_co_u32 v4, s1, 0x240, v4
	v_fma_mix_f32 v6, v7, v17, -v6 op_sel_hi:[0,1,0]
	v_cmp_le_u32_e64 s0, s10, v9
	v_fma_mix_f32 v7, v18, v17, -v19 op_sel_hi:[0,1,0]
	v_add_co_ci_u32_e64 v5, null, 0, v5, s1
	v_add_f32_e32 v10, v10, v6
	v_add_nc_u32_e32 v13, 16, v13
	v_add_f32_e32 v8, v8, v7
	s_or_b32 s3, s0, s3
	s_andn2_b32 exec_lo, exec_lo, s3
	s_cbranch_execz .LBB125_11
.LBB125_3:                              ; =>This Inner Loop Header: Depth=1
	v_add_nc_u32_e32 v6, s11, v9
                                        ; implicit-def: $vgpr29
                                        ; implicit-def: $vgpr34
	v_mad_i64_i32 v[6:7], null, 0x90, v6, s[20:21]
	v_add_co_u32 v17, s0, v6, v11
	v_add_co_ci_u32_e64 v18, null, 0, v7, s0
	v_add_co_u32 v17, s0, v17, v12
	v_add_co_ci_u32_e64 v18, null, 0, v18, s0
	;; [unrolled: 2-line block ×3, first 2 shown]
	s_clause 0x2
	global_load_dword v30, v[17:18], off offset:16
	global_load_dword v31, v[17:18], off offset:32
	global_load_dword v17, v[6:7], off
	s_clause 0x5
	global_load_dword v19, v[4:5], off offset:-36
	global_load_dword v18, v[4:5], off
	global_load_dword v26, v[20:21], off offset:-32
	global_load_dword v24, v[20:21], off offset:-16
	global_load_dword v23, v[20:21], off offset:4
	global_load_dword v20, v[20:21], off offset:20
	v_add_co_u32 v6, s0, v6, v14
	v_add_co_ci_u32_e64 v7, null, 0, v7, s0
	s_and_saveexec_b32 s0, vcc_lo
	s_xor_b32 s0, exec_lo, s0
	s_cbranch_execz .LBB125_5
; %bb.4:                                ;   in Loop: Header=BB125_3 Depth=1
	s_clause 0x1
	global_load_ushort v21, v[6:7], off offset:8
	global_load_ushort v22, v[6:7], off offset:4
	s_waitcnt vmcnt(1)
	v_mov_b32_e32 v25, v21
	s_waitcnt vmcnt(0)
	v_perm_b32 v34, v21, v22, 0x5040100
	global_load_short_d16_hi v25, v[6:7], off
	v_pk_lshrrev_b16 v21, 2, v34
	v_and_b32_e32 v21, 0xf0f3030, v21
	s_waitcnt vmcnt(0)
	v_pk_lshrrev_b16 v22, 0x20004, v25
	v_and_or_b32 v29, 0x30300f0f, v22, v21
.LBB125_5:                              ;   in Loop: Header=BB125_3 Depth=1
	s_andn2_saveexec_b32 s0, s0
	s_cbranch_execz .LBB125_7
; %bb.6:                                ;   in Loop: Header=BB125_3 Depth=1
	s_clause 0x1
	global_load_ushort v21, v[6:7], off offset:4
	global_load_ushort v22, v[6:7], off offset:8
	s_waitcnt vmcnt(0)
	v_perm_b32 v25, v21, v22, 0x5040100
	v_perm_b32 v34, v22, v21, 0x5040100
	v_and_b32_e32 v29, 0x3f3f3f3f, v25
.LBB125_7:                              ;   in Loop: Header=BB125_3 Depth=1
	s_or_b32 exec_lo, exec_lo, s0
	v_mad_u64_u32 v[35:36], null, v13, 36, v[2:3]
                                        ; implicit-def: $vgpr33
	v_add_co_u32 v37, s0, v35, v15
	v_add_co_ci_u32_e64 v38, null, 0, v36, s0
	s_clause 0x5
	global_load_dword v21, v[35:36], off
	global_load_dword v32, v[37:38], off offset:4
	global_load_dword v28, v[37:38], off offset:20
	;; [unrolled: 1-line block ×5, first 2 shown]
	s_and_saveexec_b32 s0, vcc_lo
	s_xor_b32 s0, exec_lo, s0
	s_cbranch_execz .LBB125_9
; %bb.8:                                ;   in Loop: Header=BB125_3 Depth=1
	v_mov_b32_e32 v33, v34
	global_load_short_d16 v33, v[6:7], off
	v_lshrrev_b16 v6, 2, v34
	v_alignbit_b32 v6, v6, v34, 16
                                        ; implicit-def: $vgpr34
	v_and_b32_e32 v6, 0x30300f0f, v6
	s_waitcnt vmcnt(0)
	v_pk_lshrrev_b16 v7, 0x40002, v33
	v_and_or_b32 v33, 0xf0f3030, v7, v6
.LBB125_9:                              ;   in Loop: Header=BB125_3 Depth=1
	s_andn2_saveexec_b32 s0, s0
	s_cbranch_execz .LBB125_2
; %bb.10:                               ;   in Loop: Header=BB125_3 Depth=1
	v_and_b32_e32 v33, 0x3f3f3f3f, v34
	s_branch .LBB125_2
.LBB125_11:
	s_or_b32 exec_lo, exec_lo, s3
.LBB125_12:
	s_or_b32 exec_lo, exec_lo, s9
	s_mov_b32 s1, 0
	; wave barrier
	buffer_gl0_inv
	s_mov_b32 s0, exec_lo
	v_cmpx_eq_u32_e32 0, v1
	s_cbranch_execz .LBB125_17
; %bb.13:
	v_mbcnt_lo_u32_b32 v5, -1, 0
	s_load_dwordx2 s[4:5], s[4:5], 0x38
	s_mul_i32 s0, s14, s7
	s_mul_i32 s3, s18, s8
	s_add_i32 s0, s0, s6
	v_xor_b32_e32 v1, 16, v5
	v_xor_b32_e32 v2, 8, v5
	v_xor_b32_e32 v9, 1, v5
	s_add_i32 s0, s0, s3
	s_lshl_b64 s[0:1], s[0:1], 2
	v_cmp_gt_i32_e32 vcc_lo, 32, v1
	v_cndmask_b32_e32 v1, v5, v1, vcc_lo
	v_cmp_gt_i32_e32 vcc_lo, 32, v2
	v_lshlrev_b32_e32 v1, 2, v1
	v_cndmask_b32_e32 v2, v5, v2, vcc_lo
	s_waitcnt lgkmcnt(0)
	s_add_u32 s0, s4, s0
	s_addc_u32 s1, s5, s1
	ds_bpermute_b32 v3, v1, v10
	v_lshlrev_b32_e32 v2, 2, v2
	s_waitcnt lgkmcnt(0)
	v_add_f32_e32 v4, v10, v3
	v_xor_b32_e32 v3, 4, v5
	ds_bpermute_b32 v6, v2, v4
	v_cmp_gt_i32_e32 vcc_lo, 32, v3
	v_cndmask_b32_e32 v3, v5, v3, vcc_lo
	v_lshlrev_b32_e32 v3, 2, v3
	s_waitcnt lgkmcnt(0)
	v_add_f32_e32 v6, v4, v6
	v_xor_b32_e32 v4, 2, v5
	ds_bpermute_b32 v7, v3, v6
	v_cmp_gt_i32_e32 vcc_lo, 32, v4
	v_cndmask_b32_e32 v4, v5, v4, vcc_lo
	v_cmp_gt_i32_e32 vcc_lo, 32, v9
	v_lshlrev_b32_e32 v4, 2, v4
	v_cndmask_b32_e32 v5, v5, v9, vcc_lo
	v_cmp_eq_u32_e32 vcc_lo, 0, v0
	v_lshlrev_b32_e32 v5, 2, v5
	s_waitcnt lgkmcnt(0)
	v_add_f32_e32 v6, v6, v7
	ds_bpermute_b32 v7, v4, v6
	s_waitcnt lgkmcnt(0)
	v_add_f32_e32 v6, v6, v7
	ds_bpermute_b32 v7, v5, v6
	s_and_saveexec_b32 s3, vcc_lo
	s_cbranch_execz .LBB125_15
; %bb.14:
	s_waitcnt lgkmcnt(0)
	v_add_f32_e32 v0, v6, v7
	v_mov_b32_e32 v6, 0
	global_store_dword v6, v0, s[0:1]
.LBB125_15:
	s_or_b32 exec_lo, exec_lo, s3
	ds_bpermute_b32 v0, v1, v8
	s_waitcnt lgkmcnt(0)
	v_add_f32_e32 v0, v8, v0
	ds_bpermute_b32 v1, v2, v0
	s_waitcnt lgkmcnt(0)
	v_add_f32_e32 v0, v0, v1
	;; [unrolled: 3-line block ×4, first 2 shown]
	ds_bpermute_b32 v1, v5, v0
	s_and_b32 exec_lo, exec_lo, vcc_lo
	s_cbranch_execz .LBB125_17
; %bb.16:
	s_mov_b32 s3, 0
	s_waitcnt lgkmcnt(0)
	v_add_f32_e32 v0, v0, v1
	s_lshl_b64 s[2:3], s[2:3], 2
	v_mov_b32_e32 v1, 0
	s_add_u32 s0, s0, s2
	s_addc_u32 s1, s1, s3
	global_store_dword v1, v0, s[0:1]
.LBB125_17:
	s_endpgm
	.section	.rodata,"a",@progbits
	.p2align	6, 0x0
	.amdhsa_kernel _ZL13mul_mat_vec_qIL9ggml_type12ELi2ELb0ELb0EEvPKvS2_PKi31ggml_cuda_mm_fusion_args_devicePfj15HIP_vector_typeIjLj3EEjjjS8_jjjS8_jjjj
		.amdhsa_group_segment_fixed_size 0
		.amdhsa_private_segment_fixed_size 0
		.amdhsa_kernarg_size 144
		.amdhsa_user_sgpr_count 6
		.amdhsa_user_sgpr_private_segment_buffer 1
		.amdhsa_user_sgpr_dispatch_ptr 0
		.amdhsa_user_sgpr_queue_ptr 0
		.amdhsa_user_sgpr_kernarg_segment_ptr 1
		.amdhsa_user_sgpr_dispatch_id 0
		.amdhsa_user_sgpr_flat_scratch_init 0
		.amdhsa_user_sgpr_private_segment_size 0
		.amdhsa_wavefront_size32 1
		.amdhsa_uses_dynamic_stack 0
		.amdhsa_system_sgpr_private_segment_wavefront_offset 0
		.amdhsa_system_sgpr_workgroup_id_x 1
		.amdhsa_system_sgpr_workgroup_id_y 1
		.amdhsa_system_sgpr_workgroup_id_z 1
		.amdhsa_system_sgpr_workgroup_info 0
		.amdhsa_system_vgpr_workitem_id 1
		.amdhsa_next_free_vgpr 41
		.amdhsa_next_free_sgpr 26
		.amdhsa_reserve_vcc 1
		.amdhsa_reserve_flat_scratch 0
		.amdhsa_float_round_mode_32 0
		.amdhsa_float_round_mode_16_64 0
		.amdhsa_float_denorm_mode_32 3
		.amdhsa_float_denorm_mode_16_64 3
		.amdhsa_dx10_clamp 1
		.amdhsa_ieee_mode 1
		.amdhsa_fp16_overflow 0
		.amdhsa_workgroup_processor_mode 1
		.amdhsa_memory_ordered 1
		.amdhsa_forward_progress 1
		.amdhsa_shared_vgpr_count 0
		.amdhsa_exception_fp_ieee_invalid_op 0
		.amdhsa_exception_fp_denorm_src 0
		.amdhsa_exception_fp_ieee_div_zero 0
		.amdhsa_exception_fp_ieee_overflow 0
		.amdhsa_exception_fp_ieee_underflow 0
		.amdhsa_exception_fp_ieee_inexact 0
		.amdhsa_exception_int_div_zero 0
	.end_amdhsa_kernel
	.section	.text._ZL13mul_mat_vec_qIL9ggml_type12ELi2ELb0ELb0EEvPKvS2_PKi31ggml_cuda_mm_fusion_args_devicePfj15HIP_vector_typeIjLj3EEjjjS8_jjjS8_jjjj,"axG",@progbits,_ZL13mul_mat_vec_qIL9ggml_type12ELi2ELb0ELb0EEvPKvS2_PKi31ggml_cuda_mm_fusion_args_devicePfj15HIP_vector_typeIjLj3EEjjjS8_jjjS8_jjjj,comdat
.Lfunc_end125:
	.size	_ZL13mul_mat_vec_qIL9ggml_type12ELi2ELb0ELb0EEvPKvS2_PKi31ggml_cuda_mm_fusion_args_devicePfj15HIP_vector_typeIjLj3EEjjjS8_jjjS8_jjjj, .Lfunc_end125-_ZL13mul_mat_vec_qIL9ggml_type12ELi2ELb0ELb0EEvPKvS2_PKi31ggml_cuda_mm_fusion_args_devicePfj15HIP_vector_typeIjLj3EEjjjS8_jjjS8_jjjj
                                        ; -- End function
	.set _ZL13mul_mat_vec_qIL9ggml_type12ELi2ELb0ELb0EEvPKvS2_PKi31ggml_cuda_mm_fusion_args_devicePfj15HIP_vector_typeIjLj3EEjjjS8_jjjS8_jjjj.num_vgpr, 41
	.set _ZL13mul_mat_vec_qIL9ggml_type12ELi2ELb0ELb0EEvPKvS2_PKi31ggml_cuda_mm_fusion_args_devicePfj15HIP_vector_typeIjLj3EEjjjS8_jjjS8_jjjj.num_agpr, 0
	.set _ZL13mul_mat_vec_qIL9ggml_type12ELi2ELb0ELb0EEvPKvS2_PKi31ggml_cuda_mm_fusion_args_devicePfj15HIP_vector_typeIjLj3EEjjjS8_jjjS8_jjjj.numbered_sgpr, 26
	.set _ZL13mul_mat_vec_qIL9ggml_type12ELi2ELb0ELb0EEvPKvS2_PKi31ggml_cuda_mm_fusion_args_devicePfj15HIP_vector_typeIjLj3EEjjjS8_jjjS8_jjjj.num_named_barrier, 0
	.set _ZL13mul_mat_vec_qIL9ggml_type12ELi2ELb0ELb0EEvPKvS2_PKi31ggml_cuda_mm_fusion_args_devicePfj15HIP_vector_typeIjLj3EEjjjS8_jjjS8_jjjj.private_seg_size, 0
	.set _ZL13mul_mat_vec_qIL9ggml_type12ELi2ELb0ELb0EEvPKvS2_PKi31ggml_cuda_mm_fusion_args_devicePfj15HIP_vector_typeIjLj3EEjjjS8_jjjS8_jjjj.uses_vcc, 1
	.set _ZL13mul_mat_vec_qIL9ggml_type12ELi2ELb0ELb0EEvPKvS2_PKi31ggml_cuda_mm_fusion_args_devicePfj15HIP_vector_typeIjLj3EEjjjS8_jjjS8_jjjj.uses_flat_scratch, 0
	.set _ZL13mul_mat_vec_qIL9ggml_type12ELi2ELb0ELb0EEvPKvS2_PKi31ggml_cuda_mm_fusion_args_devicePfj15HIP_vector_typeIjLj3EEjjjS8_jjjS8_jjjj.has_dyn_sized_stack, 0
	.set _ZL13mul_mat_vec_qIL9ggml_type12ELi2ELb0ELb0EEvPKvS2_PKi31ggml_cuda_mm_fusion_args_devicePfj15HIP_vector_typeIjLj3EEjjjS8_jjjS8_jjjj.has_recursion, 0
	.set _ZL13mul_mat_vec_qIL9ggml_type12ELi2ELb0ELb0EEvPKvS2_PKi31ggml_cuda_mm_fusion_args_devicePfj15HIP_vector_typeIjLj3EEjjjS8_jjjS8_jjjj.has_indirect_call, 0
	.section	.AMDGPU.csdata,"",@progbits
; Kernel info:
; codeLenInByte = 1768
; TotalNumSgprs: 28
; NumVgprs: 41
; ScratchSize: 0
; MemoryBound: 0
; FloatMode: 240
; IeeeMode: 1
; LDSByteSize: 0 bytes/workgroup (compile time only)
; SGPRBlocks: 0
; VGPRBlocks: 5
; NumSGPRsForWavesPerEU: 28
; NumVGPRsForWavesPerEU: 41
; Occupancy: 16
; WaveLimiterHint : 0
; COMPUTE_PGM_RSRC2:SCRATCH_EN: 0
; COMPUTE_PGM_RSRC2:USER_SGPR: 6
; COMPUTE_PGM_RSRC2:TRAP_HANDLER: 0
; COMPUTE_PGM_RSRC2:TGID_X_EN: 1
; COMPUTE_PGM_RSRC2:TGID_Y_EN: 1
; COMPUTE_PGM_RSRC2:TGID_Z_EN: 1
; COMPUTE_PGM_RSRC2:TIDIG_COMP_CNT: 1
	.section	.text._ZL13mul_mat_vec_qIL9ggml_type12ELi3ELb0ELb0EEvPKvS2_PKi31ggml_cuda_mm_fusion_args_devicePfj15HIP_vector_typeIjLj3EEjjjS8_jjjS8_jjjj,"axG",@progbits,_ZL13mul_mat_vec_qIL9ggml_type12ELi3ELb0ELb0EEvPKvS2_PKi31ggml_cuda_mm_fusion_args_devicePfj15HIP_vector_typeIjLj3EEjjjS8_jjjS8_jjjj,comdat
	.globl	_ZL13mul_mat_vec_qIL9ggml_type12ELi3ELb0ELb0EEvPKvS2_PKi31ggml_cuda_mm_fusion_args_devicePfj15HIP_vector_typeIjLj3EEjjjS8_jjjS8_jjjj ; -- Begin function _ZL13mul_mat_vec_qIL9ggml_type12ELi3ELb0ELb0EEvPKvS2_PKi31ggml_cuda_mm_fusion_args_devicePfj15HIP_vector_typeIjLj3EEjjjS8_jjjS8_jjjj
	.p2align	8
	.type	_ZL13mul_mat_vec_qIL9ggml_type12ELi3ELb0ELb0EEvPKvS2_PKi31ggml_cuda_mm_fusion_args_devicePfj15HIP_vector_typeIjLj3EEjjjS8_jjjS8_jjjj,@function
_ZL13mul_mat_vec_qIL9ggml_type12ELi3ELb0ELb0EEvPKvS2_PKi31ggml_cuda_mm_fusion_args_devicePfj15HIP_vector_typeIjLj3EEjjjS8_jjjS8_jjjj: ; @_ZL13mul_mat_vec_qIL9ggml_type12ELi3ELb0ELb0EEvPKvS2_PKi31ggml_cuda_mm_fusion_args_devicePfj15HIP_vector_typeIjLj3EEjjjS8_jjjS8_jjjj
; %bb.0:
	s_clause 0x5
	s_load_dword s9, s[4:5], 0x40
	s_load_dwordx4 s[0:3], s[4:5], 0x50
	s_load_dword s11, s[4:5], 0x60
	s_load_dwordx4 s[12:15], s[4:5], 0x68
	;; [unrolled: 2-line block ×3, first 2 shown]
	v_lshl_or_b32 v2, v1, 5, v0
	v_mov_b32_e32 v8, 0
	v_mov_b32_e32 v9, 0
	v_mov_b32_e32 v11, 0
	v_lshrrev_b32_e32 v10, 4, v2
	s_waitcnt lgkmcnt(0)
	s_lshr_b32 s10, s9, 8
	s_mov_b32 s9, exec_lo
	v_cmpx_gt_u32_e64 s10, v10
	s_cbranch_execz .LBB126_16
; %bb.1:
	s_load_dwordx4 s[20:23], s[4:5], 0x0
	v_lshlrev_b32_e32 v2, 1, v0
	v_bfe_u32 v4, v0, 2, 2
	s_mul_hi_u32 s3, s3, s7
	s_mul_hi_u32 s15, s15, s8
	s_mul_i32 s17, s17, s8
	v_and_b32_e32 v6, 30, v2
	v_bfe_u32 v7, v2, 3, 2
	v_mul_hi_u32_u24_e32 v3, 0x48, v4
	v_mul_u32_u24_e32 v2, 0x48, v4
	s_add_i32 s3, s7, s3
	s_add_i32 s15, s8, s15
	s_mul_i32 s13, s13, s7
	s_mul_hi_u32 s19, s17, 36
	v_mad_u64_u32 v[4:5], null, 0x120, v10, v[2:3]
	s_mul_i32 s17, s17, 36
	s_lshr_b32 s3, s3, s11
	s_lshr_b32 s11, s15, s24
	s_mul_hi_u32 s25, s13, 36
	s_mul_i32 s13, s13, 36
	s_mul_i32 s3, s3, s12
	s_waitcnt lgkmcnt(0)
	s_add_u32 s12, s22, s17
	s_addc_u32 s15, s23, s19
	s_mul_i32 s0, s0, s6
	s_add_u32 s12, s12, s13
	v_lshlrev_b32_e32 v2, 1, v7
	s_addc_u32 s13, s15, s25
	s_add_i32 s3, s3, s0
	v_add_co_u32 v4, s0, s12, v4
	v_and_b32_e32 v9, 3, v0
	v_cmp_lt_u32_e32 vcc_lo, 15, v6
	v_add_co_ci_u32_e64 v5, null, s13, v5, s0
	v_lshlrev_b32_e32 v6, 3, v10
	v_mad_u64_u32 v[2:3], null, v2, 36, s[12:13]
	v_add_co_u32 v4, s0, v4, 36
	v_lshlrev_b32_e32 v12, 5, v7
	v_mov_b32_e32 v8, 0
	v_lshlrev_b32_e32 v13, 2, v9
	v_add_co_ci_u32_e64 v5, null, 0, v5, s0
	v_lshl_add_u32 v14, s1, 1, v6
	v_add_nc_u32_e32 v15, s1, v6
	v_lshlrev_b32_e32 v16, 1, v7
	v_lshlrev_b32_e32 v17, 2, v9
	v_mov_b32_e32 v18, 0xf0f
	v_mov_b32_e32 v19, 0x3f3f
	;; [unrolled: 1-line block ×5, first 2 shown]
	s_mul_i32 s11, s11, s16
	s_add_i32 s11, s11, s3
	s_mov_b32 s3, 0
	s_branch .LBB126_3
.LBB126_2:                              ;   in Loop: Header=BB126_3 Depth=1
	s_or_b32 exec_lo, exec_lo, s0
	s_waitcnt vmcnt(20)
	v_lshrrev_b32_e32 v6, 4, v32
	v_and_b32_e32 v7, 0xf0f0f0f, v32
	v_mov_b32_e32 v32, 0
	v_mov_b32_e32 v47, 0
	s_waitcnt vmcnt(19)
	v_and_b32_e32 v40, 0xf0f0f0f, v31
	v_lshrrev_b32_e32 v31, 4, v31
	v_and_b32_e32 v6, 0xf0f0f0f, v6
	s_waitcnt vmcnt(10)
	v_dot4c_i32_i8 v32, v7, v43
	v_mov_b32_e32 v48, 0
	v_mov_b32_e32 v49, 0
	v_dot4c_i32_i8 v47, 0x1010101, v43
	v_and_b32_e32 v31, 0xf0f0f0f, v31
	s_waitcnt vmcnt(9)
	v_dot4c_i32_i8 v32, v40, v38
	s_waitcnt vmcnt(8)
	v_dot4c_i32_i8 v48, v6, v39
	v_and_b32_sdwa v43, v20, v44 dst_sel:DWORD dst_unused:UNUSED_PAD src0_sel:DWORD src1_sel:BYTE_0
	v_dot4c_i32_i8 v49, 0x1010101, v39
	v_dot4c_i32_i8 v47, 0x1010101, v38
	v_and_b32_sdwa v38, v20, v45 dst_sel:DWORD dst_unused:UNUSED_PAD src0_sel:DWORD src1_sel:BYTE_0
	s_waitcnt vmcnt(7)
	v_dot4c_i32_i8 v48, v31, v37
	v_mul_lo_u32 v32, v32, v43
	v_dot4c_i32_i8 v49, 0x1010101, v37
	v_and_b32_sdwa v37, v20, v44 dst_sel:DWORD dst_unused:UNUSED_PAD src0_sel:DWORD src1_sel:BYTE_1
	v_mul_lo_u32 v38, v47, v38
	v_and_b32_sdwa v39, v20, v45 dst_sel:DWORD dst_unused:UNUSED_PAD src0_sel:DWORD src1_sel:BYTE_1
	v_mov_b32_e32 v44, 0
	v_cvt_f32_f16_sdwa v43, v21 dst_sel:DWORD dst_unused:UNUSED_PAD src0_sel:WORD_1
	v_mul_lo_u32 v37, v48, v37
	v_cvt_f32_i32_e32 v32, v32
	v_mul_lo_u32 v39, v49, v39
	s_waitcnt vmcnt(4)
	v_dot4c_i32_i8 v44, 0x1010101, v46
	v_cvt_f32_i32_e32 v38, v38
	v_add_nc_u32_e32 v10, 2, v10
	v_fma_mix_f32 v32, v35, v32, 0 op_sel_hi:[1,0,0]
	v_add_co_u32 v4, s1, 0x240, v4
	v_cvt_f32_i32_e32 v37, v37
	v_fma_mix_f32 v35, v35, v38, 0 op_sel_hi:[1,0,0]
	v_cvt_f32_i32_e32 v38, v39
	v_mov_b32_e32 v39, 0
	s_waitcnt vmcnt(3)
	v_dot4c_i32_i8 v44, 0x1010101, v42
	v_fma_mix_f32 v32, v34, v37, v32 op_sel_hi:[1,0,0]
	v_mov_b32_e32 v37, 0
	v_fma_mix_f32 v34, v34, v38, v35 op_sel_hi:[1,0,0]
	v_mov_b32_e32 v35, 0
	v_dot4c_i32_i8 v39, v7, v46
	v_mov_b32_e32 v38, 0
	s_waitcnt vmcnt(2)
	v_dot4c_i32_i8 v37, v6, v41
	v_cmp_le_u32_e64 s0, s10, v10
	v_dot4c_i32_i8 v35, v7, v28
	v_mov_b32_e32 v7, 0
	v_dot4c_i32_i8 v39, v40, v42
	v_dot4c_i32_i8 v38, 0x1010101, v41
	v_mov_b32_e32 v41, 0
	v_mov_b32_e32 v42, 0
	v_dot4c_i32_i8 v7, 0x1010101, v28
	v_dot4c_i32_i8 v35, v40, v26
	v_bfe_u32 v40, v25, 16, 8
	v_dot4c_i32_i8 v41, v6, v27
	v_dot4c_i32_i8 v42, 0x1010101, v27
	;; [unrolled: 1-line block ×3, first 2 shown]
	v_and_b32_e32 v26, 0xff, v25
	v_and_b32_e32 v27, 0xff00ff, v33
	v_pk_lshrrev_b16 v28, 8, v33 op_sel_hi:[0,1]
	v_mul_lo_u32 v6, v35, v40
	s_waitcnt vmcnt(1)
	v_dot4c_i32_i8 v37, v31, v36
	v_mul_lo_u32 v7, v7, v26
	v_lshrrev_b32_e32 v26, 16, v27
	v_dot4c_i32_i8 v38, 0x1010101, v36
	v_dot4c_i32_i8 v41, v31, v24
	;; [unrolled: 1-line block ×3, first 2 shown]
	v_and_b32_sdwa v24, v20, v25 dst_sel:DWORD dst_unused:UNUSED_PAD src0_sel:DWORD src1_sel:BYTE_1
	v_and_b32_e32 v27, 0xff, v27
	v_mul_lo_u32 v26, v44, v26
	v_lshrrev_b32_e32 v31, 16, v28
	v_cvt_f32_i32_e32 v6, v6
	v_lshrrev_b32_e32 v25, 24, v25
	v_cvt_f32_i32_e32 v7, v7
	v_mul_lo_u32 v24, v42, v24
	v_mul_lo_u32 v27, v39, v27
	v_and_b32_e32 v28, 0xff, v28
	v_mul_lo_u32 v31, v38, v31
	v_cvt_f32_i32_e32 v26, v26
	v_fma_mix_f32 v6, v23, v6, 0 op_sel_hi:[1,0,0]
	v_mul_lo_u32 v25, v41, v25
	v_fma_mix_f32 v7, v23, v7, 0 op_sel_hi:[1,0,0]
	v_mul_lo_u32 v23, v37, v28
	v_cvt_f32_i32_e32 v24, v24
	v_cvt_f32_i32_e32 v27, v27
	v_fma_mix_f32 v26, v29, v26, 0 op_sel_hi:[1,0,0]
	v_cvt_f32_i32_e32 v28, v31
	v_add_co_ci_u32_e64 v5, null, 0, v5, s1
	v_cvt_f32_i32_e32 v25, v25
	v_fma_mix_f32 v7, v22, v24, v7 op_sel_hi:[1,0,0]
	v_fma_mix_f32 v24, v29, v27, 0 op_sel_hi:[1,0,0]
	v_cvt_f32_i32_e32 v23, v23
	s_waitcnt vmcnt(0)
	v_fma_mix_f32 v26, v30, v28, v26 op_sel_hi:[1,0,0]
	v_mul_f32_e32 v27, v34, v43
	v_fma_mix_f32 v6, v22, v25, v6 op_sel_hi:[1,0,0]
	v_mul_f32_e32 v7, v7, v43
	v_fma_mix_f32 v22, v30, v23, v24 op_sel_hi:[1,0,0]
	v_mul_f32_e32 v23, v26, v43
	v_fma_mix_f32 v24, v32, v21, -v27 op_sel_hi:[0,1,0]
	v_add_nc_u32_e32 v14, 16, v14
	v_fma_mix_f32 v6, v6, v21, -v7 op_sel_hi:[0,1,0]
	v_add_nc_u32_e32 v15, 16, v15
	v_fma_mix_f32 v7, v22, v21, -v23 op_sel_hi:[0,1,0]
	v_add_f32_e32 v9, v9, v24
	s_or_b32 s3, s0, s3
	v_add_f32_e32 v11, v11, v6
	v_add_f32_e32 v8, v8, v7
	s_andn2_b32 exec_lo, exec_lo, s3
	s_cbranch_execz .LBB126_15
.LBB126_3:                              ; =>This Inner Loop Header: Depth=1
	v_add_nc_u32_e32 v6, s11, v10
                                        ; implicit-def: $vgpr40
	v_mad_i64_i32 v[6:7], null, 0x90, v6, s[20:21]
	v_add_co_u32 v21, s0, v6, v12
	v_add_co_ci_u32_e64 v22, null, 0, v7, s0
	v_add_co_u32 v21, s0, v21, v13
	v_add_co_ci_u32_e64 v22, null, 0, v22, s0
	v_add_co_u32 v24, s0, v4, v13
	v_add_co_ci_u32_e64 v25, null, 0, v5, s0
	s_clause 0x2
	global_load_dword v32, v[21:22], off offset:16
	global_load_dword v31, v[21:22], off offset:32
	global_load_dword v21, v[6:7], off
	s_clause 0x5
	global_load_dword v23, v[4:5], off offset:-36
	global_load_dword v22, v[4:5], off
	global_load_dword v28, v[24:25], off offset:-32
	global_load_dword v26, v[24:25], off offset:-16
	global_load_dword v27, v[24:25], off offset:4
	global_load_dword v24, v[24:25], off offset:20
	v_add_co_u32 v6, s0, v6, v16
	v_add_co_ci_u32_e64 v7, null, 0, v7, s0
                                        ; implicit-def: $vgpr25
	s_and_saveexec_b32 s0, vcc_lo
	s_xor_b32 s0, exec_lo, s0
	s_cbranch_execz .LBB126_5
; %bb.4:                                ;   in Loop: Header=BB126_3 Depth=1
	s_clause 0x1
	global_load_ushort v25, v[6:7], off offset:8
	global_load_ushort v29, v[6:7], off offset:4
	s_waitcnt vmcnt(1)
	v_mov_b32_e32 v30, v25
	s_waitcnt vmcnt(0)
	v_perm_b32 v40, v25, v29, 0x5040100
	global_load_short_d16_hi v30, v[6:7], off
	v_pk_lshrrev_b16 v25, 2, v40
	v_and_b32_e32 v25, 0xf0f3030, v25
	s_waitcnt vmcnt(0)
	v_pk_lshrrev_b16 v29, 0x20004, v30
	v_and_or_b32 v25, 0x30300f0f, v29, v25
.LBB126_5:                              ;   in Loop: Header=BB126_3 Depth=1
	s_andn2_saveexec_b32 s0, s0
	s_cbranch_execz .LBB126_7
; %bb.6:                                ;   in Loop: Header=BB126_3 Depth=1
	s_clause 0x1
	global_load_ushort v29, v[6:7], off offset:4
	global_load_ushort v30, v[6:7], off offset:8
	s_waitcnt vmcnt(0)
	v_perm_b32 v25, v29, v30, 0x5040100
	v_perm_b32 v40, v30, v29, 0x5040100
	v_and_b32_e32 v25, 0x3f3f3f3f, v25
.LBB126_7:                              ;   in Loop: Header=BB126_3 Depth=1
	s_or_b32 exec_lo, exec_lo, s0
	v_mad_u64_u32 v[29:30], null, v15, 36, v[2:3]
                                        ; implicit-def: $vgpr44
                                        ; implicit-def: $vgpr45
	v_add_co_u32 v33, s0, v29, v17
	v_add_co_ci_u32_e64 v34, null, 0, v30, s0
	s_clause 0x5
	global_load_dword v35, v[29:30], off
	global_load_dword v43, v[33:34], off offset:4
	global_load_dword v38, v[33:34], off offset:20
	;; [unrolled: 1-line block ×5, first 2 shown]
	s_and_saveexec_b32 s0, vcc_lo
	s_xor_b32 s0, exec_lo, s0
	s_cbranch_execz .LBB126_9
; %bb.8:                                ;   in Loop: Header=BB126_3 Depth=1
	global_load_ushort v29, v[6:7], off
	v_lshrrev_b32_e32 v30, 20, v40
	v_lshrrev_b16 v33, 2, v40
	v_and_b32_sdwa v36, v40, v18 dst_sel:DWORD dst_unused:UNUSED_PAD src0_sel:WORD_1 src1_sel:DWORD
	v_and_b32_e32 v30, 0xf0f, v30
	v_and_b32_e32 v33, 0x3030, v33
	v_or_b32_e32 v45, v33, v30
	s_waitcnt vmcnt(0)
	v_lshrrev_b16 v29, 2, v29
	v_and_b32_e32 v29, 0x3030, v29
	v_or_b32_e32 v44, v29, v36
.LBB126_9:                              ;   in Loop: Header=BB126_3 Depth=1
	s_andn2_saveexec_b32 s0, s0
; %bb.10:                               ;   in Loop: Header=BB126_3 Depth=1
	v_and_b32_e32 v44, 0x3f3f, v40
	v_and_b32_sdwa v45, v40, v19 dst_sel:DWORD dst_unused:UNUSED_PAD src0_sel:WORD_1 src1_sel:DWORD
; %bb.11:                               ;   in Loop: Header=BB126_3 Depth=1
	s_or_b32 exec_lo, exec_lo, s0
	v_mad_u64_u32 v[47:48], null, v14, 36, v[2:3]
                                        ; implicit-def: $vgpr33
	v_add_co_u32 v49, s0, v47, v17
	v_add_co_ci_u32_e64 v50, null, 0, v48, s0
	s_clause 0x5
	global_load_dword v29, v[47:48], off
	global_load_dword v46, v[49:50], off offset:4
	global_load_dword v42, v[49:50], off offset:20
	global_load_dword v41, v[49:50], off offset:40
	global_load_dword v36, v[49:50], off offset:56
	global_load_dword v30, v[47:48], off offset:36
	s_and_saveexec_b32 s0, vcc_lo
	s_xor_b32 s0, exec_lo, s0
	s_cbranch_execz .LBB126_13
; %bb.12:                               ;   in Loop: Header=BB126_3 Depth=1
	global_load_ushort v6, v[6:7], off
	v_pk_lshrrev_b16 v7, 4, v40 op_sel:[1,1] op_sel_hi:[0,1]
	v_and_b32_e32 v7, 0xf0f0f0f, v7
	s_waitcnt vmcnt(0)
	v_perm_b32 v6, v40, v6, 0x5040100
                                        ; implicit-def: $vgpr40
	v_pk_lshrrev_b16 v6, 2, v6 op_sel_hi:[0,1]
	v_and_or_b32 v33, 0x30303030, v6, v7
.LBB126_13:                             ;   in Loop: Header=BB126_3 Depth=1
	s_andn2_saveexec_b32 s0, s0
	s_cbranch_execz .LBB126_2
; %bb.14:                               ;   in Loop: Header=BB126_3 Depth=1
	v_and_b32_e32 v33, 0x3f3f3f3f, v40
	s_branch .LBB126_2
.LBB126_15:
	s_or_b32 exec_lo, exec_lo, s3
.LBB126_16:
	s_or_b32 exec_lo, exec_lo, s9
	s_mov_b32 s1, 0
	; wave barrier
	buffer_gl0_inv
	s_mov_b32 s0, exec_lo
	v_cmpx_eq_u32_e32 0, v1
	s_cbranch_execz .LBB126_23
; %bb.17:
	v_mbcnt_lo_u32_b32 v5, -1, 0
	s_load_dwordx2 s[4:5], s[4:5], 0x38
	s_mul_i32 s0, s14, s7
	s_mul_i32 s3, s18, s8
	s_add_i32 s0, s0, s6
	v_xor_b32_e32 v1, 16, v5
	v_xor_b32_e32 v2, 8, v5
	;; [unrolled: 1-line block ×3, first 2 shown]
	s_add_i32 s0, s0, s3
	s_lshl_b64 s[0:1], s[0:1], 2
	v_cmp_gt_i32_e32 vcc_lo, 32, v1
	v_cndmask_b32_e32 v1, v5, v1, vcc_lo
	v_cmp_gt_i32_e32 vcc_lo, 32, v2
	v_lshlrev_b32_e32 v1, 2, v1
	v_cndmask_b32_e32 v2, v5, v2, vcc_lo
	s_waitcnt lgkmcnt(0)
	s_add_u32 s0, s4, s0
	s_addc_u32 s1, s5, s1
	ds_bpermute_b32 v3, v1, v11
	v_lshlrev_b32_e32 v2, 2, v2
	s_waitcnt lgkmcnt(0)
	v_add_f32_e32 v4, v11, v3
	v_xor_b32_e32 v3, 4, v5
	ds_bpermute_b32 v6, v2, v4
	v_cmp_gt_i32_e32 vcc_lo, 32, v3
	v_cndmask_b32_e32 v3, v5, v3, vcc_lo
	v_lshlrev_b32_e32 v3, 2, v3
	s_waitcnt lgkmcnt(0)
	v_add_f32_e32 v6, v4, v6
	v_xor_b32_e32 v4, 2, v5
	ds_bpermute_b32 v7, v3, v6
	v_cmp_gt_i32_e32 vcc_lo, 32, v4
	v_cndmask_b32_e32 v4, v5, v4, vcc_lo
	v_cmp_gt_i32_e32 vcc_lo, 32, v10
	v_lshlrev_b32_e32 v4, 2, v4
	v_cndmask_b32_e32 v5, v5, v10, vcc_lo
	v_cmp_eq_u32_e32 vcc_lo, 0, v0
	v_lshlrev_b32_e32 v5, 2, v5
	s_waitcnt lgkmcnt(0)
	v_add_f32_e32 v6, v6, v7
	ds_bpermute_b32 v7, v4, v6
	s_waitcnt lgkmcnt(0)
	v_add_f32_e32 v6, v6, v7
	ds_bpermute_b32 v7, v5, v6
	s_and_saveexec_b32 s3, vcc_lo
	s_cbranch_execz .LBB126_19
; %bb.18:
	s_waitcnt lgkmcnt(0)
	v_add_f32_e32 v0, v6, v7
	v_mov_b32_e32 v6, 0
	global_store_dword v6, v0, s[0:1]
.LBB126_19:
	s_or_b32 exec_lo, exec_lo, s3
	ds_bpermute_b32 v0, v1, v9
	s_waitcnt lgkmcnt(0)
	v_add_f32_e32 v0, v9, v0
	ds_bpermute_b32 v6, v2, v0
	s_waitcnt lgkmcnt(0)
	v_add_f32_e32 v0, v0, v6
	;; [unrolled: 3-line block ×4, first 2 shown]
	ds_bpermute_b32 v6, v5, v0
	s_and_saveexec_b32 s4, vcc_lo
	s_cbranch_execz .LBB126_21
; %bb.20:
	s_mov_b32 s3, 0
	s_waitcnt lgkmcnt(0)
	v_add_f32_e32 v0, v0, v6
	s_lshl_b64 s[6:7], s[2:3], 2
	v_mov_b32_e32 v6, 0
	s_add_u32 s6, s0, s6
	s_addc_u32 s7, s1, s7
	global_store_dword v6, v0, s[6:7]
.LBB126_21:
	s_or_b32 exec_lo, exec_lo, s4
	ds_bpermute_b32 v0, v1, v8
	s_waitcnt lgkmcnt(0)
	v_add_f32_e32 v0, v8, v0
	ds_bpermute_b32 v1, v2, v0
	s_waitcnt lgkmcnt(0)
	v_add_f32_e32 v0, v0, v1
	ds_bpermute_b32 v1, v3, v0
	s_waitcnt lgkmcnt(0)
	v_add_f32_e32 v0, v0, v1
	ds_bpermute_b32 v1, v4, v0
	s_waitcnt lgkmcnt(0)
	v_add_f32_e32 v0, v0, v1
	ds_bpermute_b32 v1, v5, v0
	s_and_b32 exec_lo, exec_lo, vcc_lo
	s_cbranch_execz .LBB126_23
; %bb.22:
	s_lshl_b32 s2, s2, 1
	s_mov_b32 s3, 0
	s_waitcnt lgkmcnt(0)
	v_add_f32_e32 v0, v0, v1
	s_lshl_b64 s[2:3], s[2:3], 2
	v_mov_b32_e32 v1, 0
	s_add_u32 s0, s0, s2
	s_addc_u32 s1, s1, s3
	global_store_dword v1, v0, s[0:1]
.LBB126_23:
	s_endpgm
	.section	.rodata,"a",@progbits
	.p2align	6, 0x0
	.amdhsa_kernel _ZL13mul_mat_vec_qIL9ggml_type12ELi3ELb0ELb0EEvPKvS2_PKi31ggml_cuda_mm_fusion_args_devicePfj15HIP_vector_typeIjLj3EEjjjS8_jjjS8_jjjj
		.amdhsa_group_segment_fixed_size 0
		.amdhsa_private_segment_fixed_size 0
		.amdhsa_kernarg_size 144
		.amdhsa_user_sgpr_count 6
		.amdhsa_user_sgpr_private_segment_buffer 1
		.amdhsa_user_sgpr_dispatch_ptr 0
		.amdhsa_user_sgpr_queue_ptr 0
		.amdhsa_user_sgpr_kernarg_segment_ptr 1
		.amdhsa_user_sgpr_dispatch_id 0
		.amdhsa_user_sgpr_flat_scratch_init 0
		.amdhsa_user_sgpr_private_segment_size 0
		.amdhsa_wavefront_size32 1
		.amdhsa_uses_dynamic_stack 0
		.amdhsa_system_sgpr_private_segment_wavefront_offset 0
		.amdhsa_system_sgpr_workgroup_id_x 1
		.amdhsa_system_sgpr_workgroup_id_y 1
		.amdhsa_system_sgpr_workgroup_id_z 1
		.amdhsa_system_sgpr_workgroup_info 0
		.amdhsa_system_vgpr_workitem_id 1
		.amdhsa_next_free_vgpr 51
		.amdhsa_next_free_sgpr 26
		.amdhsa_reserve_vcc 1
		.amdhsa_reserve_flat_scratch 0
		.amdhsa_float_round_mode_32 0
		.amdhsa_float_round_mode_16_64 0
		.amdhsa_float_denorm_mode_32 3
		.amdhsa_float_denorm_mode_16_64 3
		.amdhsa_dx10_clamp 1
		.amdhsa_ieee_mode 1
		.amdhsa_fp16_overflow 0
		.amdhsa_workgroup_processor_mode 1
		.amdhsa_memory_ordered 1
		.amdhsa_forward_progress 1
		.amdhsa_shared_vgpr_count 0
		.amdhsa_exception_fp_ieee_invalid_op 0
		.amdhsa_exception_fp_denorm_src 0
		.amdhsa_exception_fp_ieee_div_zero 0
		.amdhsa_exception_fp_ieee_overflow 0
		.amdhsa_exception_fp_ieee_underflow 0
		.amdhsa_exception_fp_ieee_inexact 0
		.amdhsa_exception_int_div_zero 0
	.end_amdhsa_kernel
	.section	.text._ZL13mul_mat_vec_qIL9ggml_type12ELi3ELb0ELb0EEvPKvS2_PKi31ggml_cuda_mm_fusion_args_devicePfj15HIP_vector_typeIjLj3EEjjjS8_jjjS8_jjjj,"axG",@progbits,_ZL13mul_mat_vec_qIL9ggml_type12ELi3ELb0ELb0EEvPKvS2_PKi31ggml_cuda_mm_fusion_args_devicePfj15HIP_vector_typeIjLj3EEjjjS8_jjjS8_jjjj,comdat
.Lfunc_end126:
	.size	_ZL13mul_mat_vec_qIL9ggml_type12ELi3ELb0ELb0EEvPKvS2_PKi31ggml_cuda_mm_fusion_args_devicePfj15HIP_vector_typeIjLj3EEjjjS8_jjjS8_jjjj, .Lfunc_end126-_ZL13mul_mat_vec_qIL9ggml_type12ELi3ELb0ELb0EEvPKvS2_PKi31ggml_cuda_mm_fusion_args_devicePfj15HIP_vector_typeIjLj3EEjjjS8_jjjS8_jjjj
                                        ; -- End function
	.set _ZL13mul_mat_vec_qIL9ggml_type12ELi3ELb0ELb0EEvPKvS2_PKi31ggml_cuda_mm_fusion_args_devicePfj15HIP_vector_typeIjLj3EEjjjS8_jjjS8_jjjj.num_vgpr, 51
	.set _ZL13mul_mat_vec_qIL9ggml_type12ELi3ELb0ELb0EEvPKvS2_PKi31ggml_cuda_mm_fusion_args_devicePfj15HIP_vector_typeIjLj3EEjjjS8_jjjS8_jjjj.num_agpr, 0
	.set _ZL13mul_mat_vec_qIL9ggml_type12ELi3ELb0ELb0EEvPKvS2_PKi31ggml_cuda_mm_fusion_args_devicePfj15HIP_vector_typeIjLj3EEjjjS8_jjjS8_jjjj.numbered_sgpr, 26
	.set _ZL13mul_mat_vec_qIL9ggml_type12ELi3ELb0ELb0EEvPKvS2_PKi31ggml_cuda_mm_fusion_args_devicePfj15HIP_vector_typeIjLj3EEjjjS8_jjjS8_jjjj.num_named_barrier, 0
	.set _ZL13mul_mat_vec_qIL9ggml_type12ELi3ELb0ELb0EEvPKvS2_PKi31ggml_cuda_mm_fusion_args_devicePfj15HIP_vector_typeIjLj3EEjjjS8_jjjS8_jjjj.private_seg_size, 0
	.set _ZL13mul_mat_vec_qIL9ggml_type12ELi3ELb0ELb0EEvPKvS2_PKi31ggml_cuda_mm_fusion_args_devicePfj15HIP_vector_typeIjLj3EEjjjS8_jjjS8_jjjj.uses_vcc, 1
	.set _ZL13mul_mat_vec_qIL9ggml_type12ELi3ELb0ELb0EEvPKvS2_PKi31ggml_cuda_mm_fusion_args_devicePfj15HIP_vector_typeIjLj3EEjjjS8_jjjS8_jjjj.uses_flat_scratch, 0
	.set _ZL13mul_mat_vec_qIL9ggml_type12ELi3ELb0ELb0EEvPKvS2_PKi31ggml_cuda_mm_fusion_args_devicePfj15HIP_vector_typeIjLj3EEjjjS8_jjjS8_jjjj.has_dyn_sized_stack, 0
	.set _ZL13mul_mat_vec_qIL9ggml_type12ELi3ELb0ELb0EEvPKvS2_PKi31ggml_cuda_mm_fusion_args_devicePfj15HIP_vector_typeIjLj3EEjjjS8_jjjS8_jjjj.has_recursion, 0
	.set _ZL13mul_mat_vec_qIL9ggml_type12ELi3ELb0ELb0EEvPKvS2_PKi31ggml_cuda_mm_fusion_args_devicePfj15HIP_vector_typeIjLj3EEjjjS8_jjjS8_jjjj.has_indirect_call, 0
	.section	.AMDGPU.csdata,"",@progbits
; Kernel info:
; codeLenInByte = 2304
; TotalNumSgprs: 28
; NumVgprs: 51
; ScratchSize: 0
; MemoryBound: 0
; FloatMode: 240
; IeeeMode: 1
; LDSByteSize: 0 bytes/workgroup (compile time only)
; SGPRBlocks: 0
; VGPRBlocks: 6
; NumSGPRsForWavesPerEU: 28
; NumVGPRsForWavesPerEU: 51
; Occupancy: 16
; WaveLimiterHint : 0
; COMPUTE_PGM_RSRC2:SCRATCH_EN: 0
; COMPUTE_PGM_RSRC2:USER_SGPR: 6
; COMPUTE_PGM_RSRC2:TRAP_HANDLER: 0
; COMPUTE_PGM_RSRC2:TGID_X_EN: 1
; COMPUTE_PGM_RSRC2:TGID_Y_EN: 1
; COMPUTE_PGM_RSRC2:TGID_Z_EN: 1
; COMPUTE_PGM_RSRC2:TIDIG_COMP_CNT: 1
	.section	.text._ZL13mul_mat_vec_qIL9ggml_type12ELi4ELb0ELb0EEvPKvS2_PKi31ggml_cuda_mm_fusion_args_devicePfj15HIP_vector_typeIjLj3EEjjjS8_jjjS8_jjjj,"axG",@progbits,_ZL13mul_mat_vec_qIL9ggml_type12ELi4ELb0ELb0EEvPKvS2_PKi31ggml_cuda_mm_fusion_args_devicePfj15HIP_vector_typeIjLj3EEjjjS8_jjjS8_jjjj,comdat
	.globl	_ZL13mul_mat_vec_qIL9ggml_type12ELi4ELb0ELb0EEvPKvS2_PKi31ggml_cuda_mm_fusion_args_devicePfj15HIP_vector_typeIjLj3EEjjjS8_jjjS8_jjjj ; -- Begin function _ZL13mul_mat_vec_qIL9ggml_type12ELi4ELb0ELb0EEvPKvS2_PKi31ggml_cuda_mm_fusion_args_devicePfj15HIP_vector_typeIjLj3EEjjjS8_jjjS8_jjjj
	.p2align	8
	.type	_ZL13mul_mat_vec_qIL9ggml_type12ELi4ELb0ELb0EEvPKvS2_PKi31ggml_cuda_mm_fusion_args_devicePfj15HIP_vector_typeIjLj3EEjjjS8_jjjS8_jjjj,@function
_ZL13mul_mat_vec_qIL9ggml_type12ELi4ELb0ELb0EEvPKvS2_PKi31ggml_cuda_mm_fusion_args_devicePfj15HIP_vector_typeIjLj3EEjjjS8_jjjS8_jjjj: ; @_ZL13mul_mat_vec_qIL9ggml_type12ELi4ELb0ELb0EEvPKvS2_PKi31ggml_cuda_mm_fusion_args_devicePfj15HIP_vector_typeIjLj3EEjjjS8_jjjS8_jjjj
; %bb.0:
	s_clause 0x5
	s_load_dword s9, s[4:5], 0x40
	s_load_dwordx4 s[0:3], s[4:5], 0x50
	s_load_dword s11, s[4:5], 0x60
	s_load_dwordx4 s[12:15], s[4:5], 0x68
	;; [unrolled: 2-line block ×3, first 2 shown]
	v_lshl_or_b32 v2, v1, 5, v0
	v_mov_b32_e32 v9, 0
	v_mov_b32_e32 v10, 0
	;; [unrolled: 1-line block ×4, first 2 shown]
	v_lshrrev_b32_e32 v12, 4, v2
	s_waitcnt lgkmcnt(0)
	s_lshr_b32 s10, s9, 8
	s_mov_b32 s9, exec_lo
	v_cmpx_gt_u32_e64 s10, v12
	s_cbranch_execz .LBB127_18
; %bb.1:
	s_load_dwordx4 s[20:23], s[4:5], 0x0
	v_lshlrev_b32_e32 v2, 1, v0
	v_bfe_u32 v4, v0, 2, 2
	s_mul_hi_u32 s3, s3, s7
	s_mul_hi_u32 s15, s15, s8
	s_mul_i32 s17, s17, s8
	v_and_b32_e32 v6, 30, v2
	v_bfe_u32 v10, v2, 3, 2
	v_mul_hi_u32_u24_e32 v3, 0x48, v4
	v_mul_u32_u24_e32 v2, 0x48, v4
	s_add_i32 s3, s7, s3
	s_add_i32 s15, s8, s15
	s_mul_i32 s13, s13, s7
	s_mul_hi_u32 s19, s17, 36
	v_mad_u64_u32 v[4:5], null, 0x120, v12, v[2:3]
	s_mul_i32 s17, s17, 36
	s_lshr_b32 s3, s3, s11
	s_lshr_b32 s11, s15, s24
	s_mul_hi_u32 s25, s13, 36
	s_mul_i32 s13, s13, 36
	s_mul_i32 s3, s3, s12
	s_waitcnt lgkmcnt(0)
	s_add_u32 s12, s22, s17
	s_addc_u32 s15, s23, s19
	s_mul_i32 s0, s0, s6
	s_add_u32 s12, s12, s13
	v_lshlrev_b32_e32 v2, 1, v10
	v_mov_b32_e32 v9, 0
	v_lshlrev_b32_e32 v8, 3, v12
	s_addc_u32 s13, s15, s25
	s_add_i32 s3, s3, s0
	v_add_co_u32 v4, s0, s12, v4
	v_and_b32_e32 v15, 3, v0
	v_add_co_ci_u32_e64 v5, null, s13, v5, s0
	v_cmp_lt_u32_e32 vcc_lo, 15, v6
	v_mad_u64_u32 v[2:3], null, v2, 36, s[12:13]
	v_mad_u64_u32 v[6:7], null, s1, 3, v[8:9]
	v_add_co_u32 v4, s0, v4, 36
	v_lshlrev_b32_e32 v14, 5, v10
	v_lshlrev_b32_e32 v16, 2, v15
	v_add_co_ci_u32_e64 v5, null, 0, v5, s0
	v_lshl_add_u32 v17, s1, 1, v8
	v_add_nc_u32_e32 v18, s1, v8
	v_lshlrev_b32_e32 v19, 1, v10
	v_mov_b32_e32 v20, 0xf0f
	v_mov_b32_e32 v21, 0x3f3f
	;; [unrolled: 1-line block ×6, first 2 shown]
	s_mul_i32 s11, s11, s16
	s_mov_b32 s1, 0
	s_add_i32 s3, s11, s3
	s_branch .LBB127_3
.LBB127_2:                              ;   in Loop: Header=BB127_3 Depth=1
	s_or_b32 exec_lo, exec_lo, s0
	s_waitcnt vmcnt(26)
	v_and_b32_e32 v7, 0xf0f0f0f, v43
	v_lshrrev_b32_e32 v8, 4, v43
	v_mov_b32_e32 v43, 0
	v_mov_b32_e32 v44, 0
	s_waitcnt vmcnt(25)
	v_lshrrev_b32_e32 v57, 4, v41
	v_and_b32_e32 v41, 0xf0f0f0f, v41
	v_and_b32_e32 v8, 0xf0f0f0f, v8
	s_waitcnt vmcnt(10)
	v_dot4c_i32_i8 v43, v7, v56
	v_dot4c_i32_i8 v44, 0x1010101, v56
	v_and_b32_e32 v56, 0xf0f0f0f, v57
	v_mov_b32_e32 v57, 0
	v_mov_b32_e32 v58, 0
	s_waitcnt vmcnt(9)
	v_dot4c_i32_i8 v43, v41, v55
	v_dot4c_i32_i8 v44, 0x1010101, v55
	v_and_b32_sdwa v55, v22, v48 dst_sel:DWORD dst_unused:UNUSED_PAD src0_sel:DWORD src1_sel:BYTE_0
	s_waitcnt vmcnt(8)
	v_dot4c_i32_i8 v57, v8, v53
	v_dot4c_i32_i8 v58, 0x1010101, v53
	v_and_b32_sdwa v53, v22, v50 dst_sel:DWORD dst_unused:UNUSED_PAD src0_sel:DWORD src1_sel:BYTE_0
	v_and_b32_sdwa v50, v22, v50 dst_sel:DWORD dst_unused:UNUSED_PAD src0_sel:DWORD src1_sel:BYTE_1
	v_mul_lo_u32 v43, v43, v55
	s_waitcnt vmcnt(7)
	v_dot4c_i32_i8 v57, v56, v51
	v_dot4c_i32_i8 v58, 0x1010101, v51
	v_mul_lo_u32 v44, v44, v53
	v_and_b32_sdwa v48, v22, v48 dst_sel:DWORD dst_unused:UNUSED_PAD src0_sel:DWORD src1_sel:BYTE_1
	v_mov_b32_e32 v55, 0
	v_mov_b32_e32 v53, 0
	v_mul_lo_u32 v50, v58, v50
	v_cvt_f32_i32_e32 v43, v43
	v_mul_lo_u32 v48, v57, v48
	v_dot4c_i32_i8 v55, v7, v40
	v_cvt_f32_i32_e32 v44, v44
	s_waitcnt vmcnt(4)
	v_dot4c_i32_i8 v53, 0x1010101, v54
	v_fma_mix_f32 v43, v49, v43, 0 op_sel_hi:[1,0,0]
	v_cvt_f32_f16_sdwa v51, v23 dst_sel:DWORD dst_unused:UNUSED_PAD src0_sel:WORD_1
	v_dot4c_i32_i8 v55, v41, v37
	v_fma_mix_f32 v44, v49, v44, 0 op_sel_hi:[1,0,0]
	v_cvt_f32_i32_e32 v49, v50
	v_cvt_f32_i32_e32 v48, v48
	v_mov_b32_e32 v50, 0
	s_waitcnt vmcnt(3)
	v_dot4c_i32_i8 v53, 0x1010101, v52
	v_add_nc_u32_e32 v12, 2, v12
	v_fma_mix_f32 v44, v46, v49, v44 op_sel_hi:[1,0,0]
	v_fma_mix_f32 v43, v46, v48, v43 op_sel_hi:[1,0,0]
	v_mov_b32_e32 v46, 0
	v_dot4c_i32_i8 v50, v7, v54
	v_mov_b32_e32 v48, 0
	v_mov_b32_e32 v49, 0
	v_mul_f32_e32 v44, v44, v51
	v_dot4c_i32_i8 v46, 0x1010101, v40
	v_and_b32_sdwa v40, v22, v39 dst_sel:DWORD dst_unused:UNUSED_PAD src0_sel:DWORD src1_sel:BYTE_0
	v_dot4c_i32_i8 v50, v41, v52
	v_mov_b32_e32 v52, 0
	v_dot4c_i32_i8 v48, v8, v36
	v_dot4c_i32_i8 v46, 0x1010101, v37
	v_mul_lo_u32 v37, v55, v40
	v_and_b32_sdwa v40, v22, v38 dst_sel:DWORD dst_unused:UNUSED_PAD src0_sel:DWORD src1_sel:BYTE_0
	v_dot4c_i32_i8 v52, 0x1010101, v36
	v_dot4c_i32_i8 v48, v56, v33
	v_and_b32_sdwa v36, v22, v39 dst_sel:DWORD dst_unused:UNUSED_PAD src0_sel:DWORD src1_sel:BYTE_1
	v_mov_b32_e32 v39, 0
	v_mul_lo_u32 v40, v46, v40
	v_dot4c_i32_i8 v52, 0x1010101, v33
	v_cvt_f32_i32_e32 v33, v37
	v_mul_lo_u32 v36, v48, v36
	v_and_b32_sdwa v37, v22, v38 dst_sel:DWORD dst_unused:UNUSED_PAD src0_sel:DWORD src1_sel:BYTE_1
	s_waitcnt vmcnt(2)
	v_dot4c_i32_i8 v49, v8, v47
	v_dot4c_i32_i8 v39, 0x1010101, v47
	v_fma_mix_f32 v33, v32, v33, 0 op_sel_hi:[1,0,0]
	v_cvt_f32_i32_e32 v38, v40
	v_mov_b32_e32 v40, 0
	v_mul_lo_u32 v37, v52, v37
	v_cvt_f32_i32_e32 v36, v36
	s_waitcnt vmcnt(1)
	v_dot4c_i32_i8 v39, 0x1010101, v45
	v_fma_mix_f32 v32, v32, v38, 0 op_sel_hi:[1,0,0]
	v_dot4c_i32_i8 v40, v7, v30
	v_bfe_u32 v38, v27, 16, 8
	v_fma_mix_f32 v7, v31, v36, v33 op_sel_hi:[1,0,0]
	v_mov_b32_e32 v36, 0
	v_cvt_f32_i32_e32 v33, v37
	v_mov_b32_e32 v37, 0
	v_dot4c_i32_i8 v40, v41, v28
	v_mov_b32_e32 v41, 0
	v_dot4c_i32_i8 v36, 0x1010101, v30
	v_dot4c_i32_i8 v49, v56, v45
	v_dot4c_i32_i8 v37, v8, v29
	v_fma_mix_f32 v8, v31, v33, v32 op_sel_hi:[1,0,0]
	v_dot4c_i32_i8 v41, 0x1010101, v29
	v_and_b32_e32 v29, 0xff00ff, v42
	v_dot4c_i32_i8 v36, 0x1010101, v28
	v_and_b32_e32 v28, 0xff, v27
	v_pk_lshrrev_b16 v32, 8, v42 op_sel_hi:[0,1]
	v_mul_lo_u32 v30, v40, v38
	v_lshrrev_b32_e32 v31, 16, v29
	v_dot4c_i32_i8 v37, v56, v26
	v_mul_lo_u32 v28, v36, v28
	v_dot4c_i32_i8 v41, 0x1010101, v26
	v_and_b32_sdwa v26, v22, v27 dst_sel:DWORD dst_unused:UNUSED_PAD src0_sel:DWORD src1_sel:BYTE_1
	v_and_b32_e32 v29, 0xff, v29
	v_mul_lo_u32 v31, v53, v31
	v_lshrrev_b32_e32 v33, 16, v32
	v_cvt_f32_i32_e32 v30, v30
	v_lshrrev_b32_e32 v27, 24, v27
	v_cvt_f32_i32_e32 v28, v28
	v_mul_lo_u32 v26, v41, v26
	v_mul_lo_u32 v29, v50, v29
	v_and_b32_e32 v32, 0xff, v32
	v_mul_lo_u32 v33, v39, v33
	v_cvt_f32_i32_e32 v31, v31
	v_fma_mix_f32 v30, v25, v30, 0 op_sel_hi:[1,0,0]
	v_mul_lo_u32 v27, v37, v27
	v_fma_mix_f32 v25, v25, v28, 0 op_sel_hi:[1,0,0]
	v_mul_lo_u32 v28, v49, v32
	v_cvt_f32_i32_e32 v26, v26
	v_cvt_f32_i32_e32 v29, v29
	v_fma_mix_f32 v31, v34, v31, 0 op_sel_hi:[1,0,0]
	v_cvt_f32_i32_e32 v32, v33
	v_mul_f32_e32 v8, v8, v51
	v_cvt_f32_i32_e32 v27, v27
	v_fma_mix_f32 v25, v24, v26, v25 op_sel_hi:[1,0,0]
	v_fma_mix_f32 v26, v34, v29, 0 op_sel_hi:[1,0,0]
	v_cvt_f32_i32_e32 v28, v28
	s_waitcnt vmcnt(0)
	v_fma_mix_f32 v29, v35, v32, v31 op_sel_hi:[1,0,0]
	v_fma_mix_f32 v24, v24, v27, v30 op_sel_hi:[1,0,0]
	v_mul_f32_e32 v25, v25, v51
	v_fma_mix_f32 v7, v7, v23, -v8 op_sel_hi:[0,1,0]
	v_fma_mix_f32 v26, v35, v28, v26 op_sel_hi:[1,0,0]
	v_mul_f32_e32 v27, v29, v51
	v_fma_mix_f32 v28, v43, v23, -v44 op_sel_hi:[0,1,0]
	v_fma_mix_f32 v8, v24, v23, -v25 op_sel_hi:[0,1,0]
	v_add_co_u32 v4, s0, 0x240, v4
	v_fma_mix_f32 v23, v26, v23, -v27 op_sel_hi:[0,1,0]
	v_add_co_ci_u32_e64 v5, null, 0, v5, s0
	v_cmp_le_u32_e64 s0, s10, v12
	v_add_f32_e32 v10, v10, v28
	v_add_f32_e32 v11, v11, v7
	;; [unrolled: 1-line block ×4, first 2 shown]
	v_add_nc_u32_e32 v17, 16, v17
	v_add_nc_u32_e32 v6, 16, v6
	;; [unrolled: 1-line block ×3, first 2 shown]
	s_or_b32 s1, s0, s1
	s_andn2_b32 exec_lo, exec_lo, s1
	s_cbranch_execz .LBB127_17
.LBB127_3:                              ; =>This Inner Loop Header: Depth=1
	v_add_nc_u32_e32 v7, s3, v12
                                        ; implicit-def: $vgpr44
	v_mad_i64_i32 v[7:8], null, 0x90, v7, s[20:21]
	v_add_co_u32 v23, s0, v7, v14
	v_add_co_ci_u32_e64 v24, null, 0, v8, s0
	v_add_co_u32 v23, s0, v23, v16
	v_add_co_ci_u32_e64 v24, null, 0, v24, s0
	;; [unrolled: 2-line block ×3, first 2 shown]
	s_clause 0x2
	global_load_dword v43, v[23:24], off offset:16
	global_load_dword v41, v[23:24], off offset:32
	global_load_dword v23, v[7:8], off
	s_clause 0x5
	global_load_dword v25, v[4:5], off offset:-36
	global_load_dword v24, v[4:5], off
	global_load_dword v30, v[26:27], off offset:-32
	global_load_dword v28, v[26:27], off offset:-16
	global_load_dword v29, v[26:27], off offset:4
	global_load_dword v26, v[26:27], off offset:20
	v_add_co_u32 v7, s0, v7, v19
	v_add_co_ci_u32_e64 v8, null, 0, v8, s0
                                        ; implicit-def: $vgpr27
	s_and_saveexec_b32 s0, vcc_lo
	s_xor_b32 s0, exec_lo, s0
	s_cbranch_execz .LBB127_5
; %bb.4:                                ;   in Loop: Header=BB127_3 Depth=1
	s_clause 0x1
	global_load_ushort v27, v[7:8], off offset:8
	global_load_ushort v31, v[7:8], off offset:4
	s_waitcnt vmcnt(1)
	v_mov_b32_e32 v32, v27
	s_waitcnt vmcnt(0)
	v_perm_b32 v44, v27, v31, 0x5040100
	global_load_short_d16_hi v32, v[7:8], off
	v_pk_lshrrev_b16 v27, 2, v44
	v_and_b32_e32 v27, 0xf0f3030, v27
	s_waitcnt vmcnt(0)
	v_pk_lshrrev_b16 v31, 0x20004, v32
	v_and_or_b32 v27, 0x30300f0f, v31, v27
.LBB127_5:                              ;   in Loop: Header=BB127_3 Depth=1
	s_andn2_saveexec_b32 s0, s0
	s_cbranch_execz .LBB127_7
; %bb.6:                                ;   in Loop: Header=BB127_3 Depth=1
	s_clause 0x1
	global_load_ushort v31, v[7:8], off offset:4
	global_load_ushort v32, v[7:8], off offset:8
	s_waitcnt vmcnt(0)
	v_perm_b32 v27, v31, v32, 0x5040100
	v_perm_b32 v44, v32, v31, 0x5040100
	v_and_b32_e32 v27, 0x3f3f3f3f, v27
.LBB127_7:                              ;   in Loop: Header=BB127_3 Depth=1
	s_or_b32 exec_lo, exec_lo, s0
	v_mad_u64_u32 v[38:39], null, v18, 36, v[2:3]
	v_lshlrev_b32_e32 v34, 2, v15
	v_and_b32_sdwa v35, v44, v20 dst_sel:DWORD dst_unused:UNUSED_PAD src0_sel:WORD_1 src1_sel:DWORD
	v_add_co_u32 v45, s0, v38, v34
	v_add_co_ci_u32_e64 v46, null, 0, v39, s0
	s_clause 0x5
	global_load_dword v32, v[38:39], off
	global_load_dword v40, v[45:46], off offset:4
	global_load_dword v37, v[45:46], off offset:20
	;; [unrolled: 1-line block ×5, first 2 shown]
	v_lshrrev_b32_e32 v38, 20, v44
	v_lshrrev_b16 v45, 2, v44
                                        ; implicit-def: $vgpr39
	v_and_b32_e32 v42, 0xf0f, v38
                                        ; implicit-def: $vgpr38
	s_and_saveexec_b32 s0, vcc_lo
	s_xor_b32 s0, exec_lo, s0
	s_cbranch_execz .LBB127_9
; %bb.8:                                ;   in Loop: Header=BB127_3 Depth=1
	global_load_ushort v38, v[7:8], off
	v_and_b32_e32 v46, 0x3030, v45
	s_waitcnt vmcnt(0)
	v_lshrrev_b16 v38, 2, v38
	v_and_b32_e32 v38, 0x3030, v38
	v_or_b32_e32 v39, v38, v35
	v_or_b32_e32 v38, v46, v42
.LBB127_9:                              ;   in Loop: Header=BB127_3 Depth=1
	s_or_saveexec_b32 s0, s0
	v_and_b32_e32 v48, 0x3f3f, v44
	v_and_b32_sdwa v50, v44, v21 dst_sel:DWORD dst_unused:UNUSED_PAD src0_sel:WORD_1 src1_sel:DWORD
	s_xor_b32 exec_lo, exec_lo, s0
; %bb.10:                               ;   in Loop: Header=BB127_3 Depth=1
	v_and_b32_e32 v39, 0x3f3f, v44
	v_and_b32_sdwa v38, v44, v21 dst_sel:DWORD dst_unused:UNUSED_PAD src0_sel:WORD_1 src1_sel:DWORD
; %bb.11:                               ;   in Loop: Header=BB127_3 Depth=1
	s_or_b32 exec_lo, exec_lo, s0
	v_mad_u64_u32 v[46:47], null, v17, 36, v[2:3]
	v_add_co_u32 v51, s0, v46, v34
	v_add_co_ci_u32_e64 v52, null, 0, v47, s0
	s_clause 0x5
	global_load_dword v49, v[46:47], off
	global_load_dword v56, v[51:52], off offset:4
	global_load_dword v55, v[51:52], off offset:20
	;; [unrolled: 1-line block ×5, first 2 shown]
	s_and_saveexec_b32 s0, vcc_lo
	s_xor_b32 s0, exec_lo, s0
	s_cbranch_execz .LBB127_13
; %bb.12:                               ;   in Loop: Header=BB127_3 Depth=1
	global_load_ushort v47, v[7:8], off
	v_and_b32_e32 v45, 0x3030, v45
	v_or_b32_e32 v50, v45, v42
	s_waitcnt vmcnt(0)
	v_lshrrev_b16 v47, 2, v47
	v_and_b32_e32 v47, 0x3030, v47
	v_or_b32_e32 v48, v47, v35
.LBB127_13:                             ;   in Loop: Header=BB127_3 Depth=1
	s_andn2_saveexec_b32 s0, s0
	s_or_b32 exec_lo, exec_lo, s0
	v_mad_u64_u32 v[57:58], null, v6, 36, v[2:3]
                                        ; implicit-def: $vgpr42
	v_add_co_u32 v59, s0, v57, v34
	v_add_co_ci_u32_e64 v60, null, 0, v58, s0
	s_clause 0x5
	global_load_dword v34, v[57:58], off
	global_load_dword v54, v[59:60], off offset:4
	global_load_dword v52, v[59:60], off offset:20
	;; [unrolled: 1-line block ×5, first 2 shown]
	s_and_saveexec_b32 s0, vcc_lo
	s_xor_b32 s0, exec_lo, s0
	s_cbranch_execz .LBB127_15
; %bb.14:                               ;   in Loop: Header=BB127_3 Depth=1
	global_load_ushort v7, v[7:8], off
	v_pk_lshrrev_b16 v8, 4, v44 op_sel:[1,1] op_sel_hi:[0,1]
	v_and_b32_e32 v8, 0xf0f0f0f, v8
	s_waitcnt vmcnt(0)
	v_perm_b32 v7, v44, v7, 0x5040100
                                        ; implicit-def: $vgpr44
	v_pk_lshrrev_b16 v7, 2, v7 op_sel_hi:[0,1]
	v_and_or_b32 v42, 0x30303030, v7, v8
.LBB127_15:                             ;   in Loop: Header=BB127_3 Depth=1
	s_andn2_saveexec_b32 s0, s0
	s_cbranch_execz .LBB127_2
; %bb.16:                               ;   in Loop: Header=BB127_3 Depth=1
	v_and_b32_e32 v42, 0x3f3f3f3f, v44
	s_branch .LBB127_2
.LBB127_17:
	s_or_b32 exec_lo, exec_lo, s1
.LBB127_18:
	s_or_b32 exec_lo, exec_lo, s9
	s_mov_b32 s1, 0
	; wave barrier
	buffer_gl0_inv
	s_mov_b32 s0, exec_lo
	v_cmpx_eq_u32_e32 0, v1
	s_cbranch_execz .LBB127_27
; %bb.19:
	v_mbcnt_lo_u32_b32 v5, -1, 0
	s_load_dwordx2 s[4:5], s[4:5], 0x38
	s_mul_i32 s0, s14, s7
	s_mul_i32 s3, s18, s8
	s_add_i32 s0, s0, s6
	v_xor_b32_e32 v1, 16, v5
	v_xor_b32_e32 v2, 8, v5
	;; [unrolled: 1-line block ×3, first 2 shown]
	s_add_i32 s0, s0, s3
	s_lshl_b64 s[0:1], s[0:1], 2
	v_cmp_gt_i32_e32 vcc_lo, 32, v1
	v_cndmask_b32_e32 v1, v5, v1, vcc_lo
	v_cmp_gt_i32_e32 vcc_lo, 32, v2
	v_lshlrev_b32_e32 v1, 2, v1
	v_cndmask_b32_e32 v2, v5, v2, vcc_lo
	s_waitcnt lgkmcnt(0)
	s_add_u32 s0, s4, s0
	s_addc_u32 s1, s5, s1
	ds_bpermute_b32 v3, v1, v13
	v_lshlrev_b32_e32 v2, 2, v2
	s_waitcnt lgkmcnt(0)
	v_add_f32_e32 v4, v13, v3
	v_xor_b32_e32 v3, 4, v5
	ds_bpermute_b32 v6, v2, v4
	v_cmp_gt_i32_e32 vcc_lo, 32, v3
	v_cndmask_b32_e32 v3, v5, v3, vcc_lo
	v_lshlrev_b32_e32 v3, 2, v3
	s_waitcnt lgkmcnt(0)
	v_add_f32_e32 v6, v4, v6
	v_xor_b32_e32 v4, 2, v5
	ds_bpermute_b32 v7, v3, v6
	v_cmp_gt_i32_e32 vcc_lo, 32, v4
	v_cndmask_b32_e32 v4, v5, v4, vcc_lo
	v_cmp_gt_i32_e32 vcc_lo, 32, v8
	v_lshlrev_b32_e32 v4, 2, v4
	v_cndmask_b32_e32 v5, v5, v8, vcc_lo
	v_cmp_eq_u32_e32 vcc_lo, 0, v0
	v_lshlrev_b32_e32 v5, 2, v5
	s_waitcnt lgkmcnt(0)
	v_add_f32_e32 v6, v6, v7
	ds_bpermute_b32 v7, v4, v6
	s_waitcnt lgkmcnt(0)
	v_add_f32_e32 v6, v6, v7
	ds_bpermute_b32 v7, v5, v6
	s_and_saveexec_b32 s3, vcc_lo
	s_cbranch_execz .LBB127_21
; %bb.20:
	s_waitcnt lgkmcnt(0)
	v_add_f32_e32 v0, v6, v7
	v_mov_b32_e32 v6, 0
	global_store_dword v6, v0, s[0:1]
.LBB127_21:
	s_or_b32 exec_lo, exec_lo, s3
	ds_bpermute_b32 v0, v1, v11
	s_waitcnt lgkmcnt(0)
	v_add_f32_e32 v0, v11, v0
	ds_bpermute_b32 v6, v2, v0
	s_waitcnt lgkmcnt(0)
	v_add_f32_e32 v0, v0, v6
	;; [unrolled: 3-line block ×4, first 2 shown]
	ds_bpermute_b32 v6, v5, v0
	s_and_saveexec_b32 s4, vcc_lo
	s_cbranch_execz .LBB127_23
; %bb.22:
	s_mov_b32 s3, 0
	s_waitcnt lgkmcnt(0)
	v_add_f32_e32 v0, v0, v6
	s_lshl_b64 s[6:7], s[2:3], 2
	v_mov_b32_e32 v6, 0
	s_add_u32 s6, s0, s6
	s_addc_u32 s7, s1, s7
	global_store_dword v6, v0, s[6:7]
.LBB127_23:
	s_or_b32 exec_lo, exec_lo, s4
	ds_bpermute_b32 v0, v1, v10
	s_waitcnt lgkmcnt(0)
	v_add_f32_e32 v0, v10, v0
	ds_bpermute_b32 v6, v2, v0
	s_waitcnt lgkmcnt(0)
	v_add_f32_e32 v0, v0, v6
	;; [unrolled: 3-line block ×4, first 2 shown]
	ds_bpermute_b32 v6, v5, v0
	s_and_saveexec_b32 s3, vcc_lo
	s_cbranch_execz .LBB127_25
; %bb.24:
	s_lshl_b32 s4, s2, 1
	s_mov_b32 s5, 0
	s_waitcnt lgkmcnt(0)
	v_add_f32_e32 v0, v0, v6
	s_lshl_b64 s[4:5], s[4:5], 2
	v_mov_b32_e32 v6, 0
	s_add_u32 s4, s0, s4
	s_addc_u32 s5, s1, s5
	global_store_dword v6, v0, s[4:5]
.LBB127_25:
	s_or_b32 exec_lo, exec_lo, s3
	ds_bpermute_b32 v0, v1, v9
	s_waitcnt lgkmcnt(0)
	v_add_f32_e32 v0, v9, v0
	ds_bpermute_b32 v1, v2, v0
	s_waitcnt lgkmcnt(0)
	v_add_f32_e32 v0, v0, v1
	;; [unrolled: 3-line block ×4, first 2 shown]
	ds_bpermute_b32 v1, v5, v0
	s_and_b32 exec_lo, exec_lo, vcc_lo
	s_cbranch_execz .LBB127_27
; %bb.26:
	s_mul_i32 s2, s2, 3
	s_mov_b32 s3, 0
	s_waitcnt lgkmcnt(0)
	v_add_f32_e32 v0, v0, v1
	s_lshl_b64 s[2:3], s[2:3], 2
	v_mov_b32_e32 v1, 0
	s_add_u32 s0, s0, s2
	s_addc_u32 s1, s1, s3
	global_store_dword v1, v0, s[0:1]
.LBB127_27:
	s_endpgm
	.section	.rodata,"a",@progbits
	.p2align	6, 0x0
	.amdhsa_kernel _ZL13mul_mat_vec_qIL9ggml_type12ELi4ELb0ELb0EEvPKvS2_PKi31ggml_cuda_mm_fusion_args_devicePfj15HIP_vector_typeIjLj3EEjjjS8_jjjS8_jjjj
		.amdhsa_group_segment_fixed_size 0
		.amdhsa_private_segment_fixed_size 0
		.amdhsa_kernarg_size 144
		.amdhsa_user_sgpr_count 6
		.amdhsa_user_sgpr_private_segment_buffer 1
		.amdhsa_user_sgpr_dispatch_ptr 0
		.amdhsa_user_sgpr_queue_ptr 0
		.amdhsa_user_sgpr_kernarg_segment_ptr 1
		.amdhsa_user_sgpr_dispatch_id 0
		.amdhsa_user_sgpr_flat_scratch_init 0
		.amdhsa_user_sgpr_private_segment_size 0
		.amdhsa_wavefront_size32 1
		.amdhsa_uses_dynamic_stack 0
		.amdhsa_system_sgpr_private_segment_wavefront_offset 0
		.amdhsa_system_sgpr_workgroup_id_x 1
		.amdhsa_system_sgpr_workgroup_id_y 1
		.amdhsa_system_sgpr_workgroup_id_z 1
		.amdhsa_system_sgpr_workgroup_info 0
		.amdhsa_system_vgpr_workitem_id 1
		.amdhsa_next_free_vgpr 61
		.amdhsa_next_free_sgpr 26
		.amdhsa_reserve_vcc 1
		.amdhsa_reserve_flat_scratch 0
		.amdhsa_float_round_mode_32 0
		.amdhsa_float_round_mode_16_64 0
		.amdhsa_float_denorm_mode_32 3
		.amdhsa_float_denorm_mode_16_64 3
		.amdhsa_dx10_clamp 1
		.amdhsa_ieee_mode 1
		.amdhsa_fp16_overflow 0
		.amdhsa_workgroup_processor_mode 1
		.amdhsa_memory_ordered 1
		.amdhsa_forward_progress 1
		.amdhsa_shared_vgpr_count 0
		.amdhsa_exception_fp_ieee_invalid_op 0
		.amdhsa_exception_fp_denorm_src 0
		.amdhsa_exception_fp_ieee_div_zero 0
		.amdhsa_exception_fp_ieee_overflow 0
		.amdhsa_exception_fp_ieee_underflow 0
		.amdhsa_exception_fp_ieee_inexact 0
		.amdhsa_exception_int_div_zero 0
	.end_amdhsa_kernel
	.section	.text._ZL13mul_mat_vec_qIL9ggml_type12ELi4ELb0ELb0EEvPKvS2_PKi31ggml_cuda_mm_fusion_args_devicePfj15HIP_vector_typeIjLj3EEjjjS8_jjjS8_jjjj,"axG",@progbits,_ZL13mul_mat_vec_qIL9ggml_type12ELi4ELb0ELb0EEvPKvS2_PKi31ggml_cuda_mm_fusion_args_devicePfj15HIP_vector_typeIjLj3EEjjjS8_jjjS8_jjjj,comdat
.Lfunc_end127:
	.size	_ZL13mul_mat_vec_qIL9ggml_type12ELi4ELb0ELb0EEvPKvS2_PKi31ggml_cuda_mm_fusion_args_devicePfj15HIP_vector_typeIjLj3EEjjjS8_jjjS8_jjjj, .Lfunc_end127-_ZL13mul_mat_vec_qIL9ggml_type12ELi4ELb0ELb0EEvPKvS2_PKi31ggml_cuda_mm_fusion_args_devicePfj15HIP_vector_typeIjLj3EEjjjS8_jjjS8_jjjj
                                        ; -- End function
	.set _ZL13mul_mat_vec_qIL9ggml_type12ELi4ELb0ELb0EEvPKvS2_PKi31ggml_cuda_mm_fusion_args_devicePfj15HIP_vector_typeIjLj3EEjjjS8_jjjS8_jjjj.num_vgpr, 61
	.set _ZL13mul_mat_vec_qIL9ggml_type12ELi4ELb0ELb0EEvPKvS2_PKi31ggml_cuda_mm_fusion_args_devicePfj15HIP_vector_typeIjLj3EEjjjS8_jjjS8_jjjj.num_agpr, 0
	.set _ZL13mul_mat_vec_qIL9ggml_type12ELi4ELb0ELb0EEvPKvS2_PKi31ggml_cuda_mm_fusion_args_devicePfj15HIP_vector_typeIjLj3EEjjjS8_jjjS8_jjjj.numbered_sgpr, 26
	.set _ZL13mul_mat_vec_qIL9ggml_type12ELi4ELb0ELb0EEvPKvS2_PKi31ggml_cuda_mm_fusion_args_devicePfj15HIP_vector_typeIjLj3EEjjjS8_jjjS8_jjjj.num_named_barrier, 0
	.set _ZL13mul_mat_vec_qIL9ggml_type12ELi4ELb0ELb0EEvPKvS2_PKi31ggml_cuda_mm_fusion_args_devicePfj15HIP_vector_typeIjLj3EEjjjS8_jjjS8_jjjj.private_seg_size, 0
	.set _ZL13mul_mat_vec_qIL9ggml_type12ELi4ELb0ELb0EEvPKvS2_PKi31ggml_cuda_mm_fusion_args_devicePfj15HIP_vector_typeIjLj3EEjjjS8_jjjS8_jjjj.uses_vcc, 1
	.set _ZL13mul_mat_vec_qIL9ggml_type12ELi4ELb0ELb0EEvPKvS2_PKi31ggml_cuda_mm_fusion_args_devicePfj15HIP_vector_typeIjLj3EEjjjS8_jjjS8_jjjj.uses_flat_scratch, 0
	.set _ZL13mul_mat_vec_qIL9ggml_type12ELi4ELb0ELb0EEvPKvS2_PKi31ggml_cuda_mm_fusion_args_devicePfj15HIP_vector_typeIjLj3EEjjjS8_jjjS8_jjjj.has_dyn_sized_stack, 0
	.set _ZL13mul_mat_vec_qIL9ggml_type12ELi4ELb0ELb0EEvPKvS2_PKi31ggml_cuda_mm_fusion_args_devicePfj15HIP_vector_typeIjLj3EEjjjS8_jjjS8_jjjj.has_recursion, 0
	.set _ZL13mul_mat_vec_qIL9ggml_type12ELi4ELb0ELb0EEvPKvS2_PKi31ggml_cuda_mm_fusion_args_devicePfj15HIP_vector_typeIjLj3EEjjjS8_jjjS8_jjjj.has_indirect_call, 0
	.section	.AMDGPU.csdata,"",@progbits
; Kernel info:
; codeLenInByte = 2800
; TotalNumSgprs: 28
; NumVgprs: 61
; ScratchSize: 0
; MemoryBound: 0
; FloatMode: 240
; IeeeMode: 1
; LDSByteSize: 0 bytes/workgroup (compile time only)
; SGPRBlocks: 0
; VGPRBlocks: 7
; NumSGPRsForWavesPerEU: 28
; NumVGPRsForWavesPerEU: 61
; Occupancy: 16
; WaveLimiterHint : 0
; COMPUTE_PGM_RSRC2:SCRATCH_EN: 0
; COMPUTE_PGM_RSRC2:USER_SGPR: 6
; COMPUTE_PGM_RSRC2:TRAP_HANDLER: 0
; COMPUTE_PGM_RSRC2:TGID_X_EN: 1
; COMPUTE_PGM_RSRC2:TGID_Y_EN: 1
; COMPUTE_PGM_RSRC2:TGID_Z_EN: 1
; COMPUTE_PGM_RSRC2:TIDIG_COMP_CNT: 1
	.section	.text._ZL13mul_mat_vec_qIL9ggml_type12ELi5ELb0ELb0EEvPKvS2_PKi31ggml_cuda_mm_fusion_args_devicePfj15HIP_vector_typeIjLj3EEjjjS8_jjjS8_jjjj,"axG",@progbits,_ZL13mul_mat_vec_qIL9ggml_type12ELi5ELb0ELb0EEvPKvS2_PKi31ggml_cuda_mm_fusion_args_devicePfj15HIP_vector_typeIjLj3EEjjjS8_jjjS8_jjjj,comdat
	.globl	_ZL13mul_mat_vec_qIL9ggml_type12ELi5ELb0ELb0EEvPKvS2_PKi31ggml_cuda_mm_fusion_args_devicePfj15HIP_vector_typeIjLj3EEjjjS8_jjjS8_jjjj ; -- Begin function _ZL13mul_mat_vec_qIL9ggml_type12ELi5ELb0ELb0EEvPKvS2_PKi31ggml_cuda_mm_fusion_args_devicePfj15HIP_vector_typeIjLj3EEjjjS8_jjjS8_jjjj
	.p2align	8
	.type	_ZL13mul_mat_vec_qIL9ggml_type12ELi5ELb0ELb0EEvPKvS2_PKi31ggml_cuda_mm_fusion_args_devicePfj15HIP_vector_typeIjLj3EEjjjS8_jjjS8_jjjj,@function
_ZL13mul_mat_vec_qIL9ggml_type12ELi5ELb0ELb0EEvPKvS2_PKi31ggml_cuda_mm_fusion_args_devicePfj15HIP_vector_typeIjLj3EEjjjS8_jjjS8_jjjj: ; @_ZL13mul_mat_vec_qIL9ggml_type12ELi5ELb0ELb0EEvPKvS2_PKi31ggml_cuda_mm_fusion_args_devicePfj15HIP_vector_typeIjLj3EEjjjS8_jjjS8_jjjj
; %bb.0:
	s_clause 0x5
	s_load_dword s9, s[4:5], 0x40
	s_load_dwordx4 s[0:3], s[4:5], 0x50
	s_load_dword s11, s[4:5], 0x60
	s_load_dwordx4 s[12:15], s[4:5], 0x68
	;; [unrolled: 2-line block ×3, first 2 shown]
	v_lshl_or_b32 v2, v1, 5, v0
	v_mov_b32_e32 v9, 0
	v_mov_b32_e32 v10, 0
	;; [unrolled: 1-line block ×4, first 2 shown]
	v_lshrrev_b32_e32 v13, 4, v2
	v_mov_b32_e32 v14, 0
	s_waitcnt lgkmcnt(0)
	s_lshr_b32 s10, s9, 8
	s_mov_b32 s9, exec_lo
	v_cmpx_gt_u32_e64 s10, v13
	s_cbranch_execz .LBB128_22
; %bb.1:
	s_load_dwordx4 s[20:23], s[4:5], 0x0
	v_lshlrev_b32_e32 v2, 1, v0
	v_bfe_u32 v4, v0, 2, 2
	s_mul_hi_u32 s3, s3, s7
	s_mul_hi_u32 s15, s15, s8
	s_mul_i32 s17, s17, s8
	v_and_b32_e32 v6, 30, v2
	v_bfe_u32 v10, v2, 3, 2
	v_mul_hi_u32_u24_e32 v3, 0x48, v4
	v_mul_u32_u24_e32 v2, 0x48, v4
	s_add_i32 s3, s7, s3
	s_add_i32 s15, s8, s15
	s_mul_i32 s13, s13, s7
	s_mul_hi_u32 s19, s17, 36
	v_mad_u64_u32 v[4:5], null, 0x120, v13, v[2:3]
	s_mul_i32 s17, s17, 36
	s_lshr_b32 s3, s3, s11
	s_lshr_b32 s11, s15, s24
	s_mul_hi_u32 s25, s13, 36
	s_mul_i32 s13, s13, 36
	s_mul_i32 s3, s3, s12
	s_waitcnt lgkmcnt(0)
	s_add_u32 s12, s22, s17
	s_addc_u32 s15, s23, s19
	s_mul_i32 s0, s0, s6
	s_add_u32 s12, s12, s13
	v_lshlrev_b32_e32 v2, 1, v10
	v_mov_b32_e32 v9, 0
	v_lshlrev_b32_e32 v8, 3, v13
	s_addc_u32 s13, s15, s25
	s_add_i32 s3, s3, s0
	v_add_co_u32 v4, s0, s12, v4
	v_and_b32_e32 v16, 3, v0
	v_add_co_ci_u32_e64 v5, null, s13, v5, s0
	v_cmp_lt_u32_e32 vcc_lo, 15, v6
	v_mad_u64_u32 v[2:3], null, v2, 36, s[12:13]
	v_mad_u64_u32 v[6:7], null, s1, 3, v[8:9]
	v_add_co_u32 v4, s0, v4, 36
	v_lshlrev_b32_e32 v15, 5, v10
	v_lshlrev_b32_e32 v17, 2, v16
	v_add_co_ci_u32_e64 v5, null, 0, v5, s0
	v_lshl_add_u32 v18, s1, 1, v8
	v_lshl_add_u32 v19, s1, 2, v8
	v_add_nc_u32_e32 v20, s1, v8
	v_lshlrev_b32_e32 v21, 1, v10
	v_mov_b32_e32 v22, 0xf0f
	v_mov_b32_e32 v23, 0x3f3f
	;; [unrolled: 1-line block ×7, first 2 shown]
	s_mul_i32 s11, s11, s16
	s_mov_b32 s1, 0
	s_add_i32 s3, s11, s3
	s_branch .LBB128_3
.LBB128_2:                              ;   in Loop: Header=BB128_3 Depth=1
	s_or_b32 exec_lo, exec_lo, s0
	s_waitcnt vmcnt(32)
	v_and_b32_e32 v7, 0xf0f0f0f, v47
	v_lshrrev_b32_e32 v8, 4, v47
	v_mov_b32_e32 v47, 0
	v_mov_b32_e32 v67, 0
	s_waitcnt vmcnt(31)
	v_and_b32_e32 v54, 0xf0f0f0f, v45
	v_lshrrev_b32_e32 v45, 4, v45
	v_and_b32_e32 v8, 0xf0f0f0f, v8
	s_waitcnt vmcnt(10)
	v_dot4c_i32_i8 v47, 0x1010101, v66
	v_mov_b32_e32 v68, 0
	v_dot4c_i32_i8 v67, v7, v66
	v_mov_b32_e32 v66, 0
	v_and_b32_e32 v45, 0xf0f0f0f, v45
	s_waitcnt vmcnt(9)
	v_dot4c_i32_i8 v47, 0x1010101, v63
	s_waitcnt vmcnt(8)
	v_dot4c_i32_i8 v68, 0x1010101, v64
	v_and_b32_sdwa v69, v24, v56 dst_sel:DWORD dst_unused:UNUSED_PAD src0_sel:DWORD src1_sel:BYTE_0
	v_dot4c_i32_i8 v67, v54, v63
	v_dot4c_i32_i8 v66, v8, v64
	v_and_b32_sdwa v63, v24, v55 dst_sel:DWORD dst_unused:UNUSED_PAD src0_sel:DWORD src1_sel:BYTE_0
	s_waitcnt vmcnt(7)
	v_dot4c_i32_i8 v68, 0x1010101, v61
	v_mul_lo_u32 v47, v47, v69
	v_and_b32_sdwa v56, v24, v56 dst_sel:DWORD dst_unused:UNUSED_PAD src0_sel:DWORD src1_sel:BYTE_1
	v_dot4c_i32_i8 v66, v45, v61
	v_mul_lo_u32 v63, v67, v63
	v_and_b32_sdwa v55, v24, v55 dst_sel:DWORD dst_unused:UNUSED_PAD src0_sel:DWORD src1_sel:BYTE_1
	v_mov_b32_e32 v64, 0
	v_mul_lo_u32 v56, v68, v56
	v_add_nc_u32_e32 v13, 2, v13
	v_cvt_f32_i32_e32 v47, v47
	v_mul_lo_u32 v55, v66, v55
	v_and_b32_sdwa v66, v24, v49 dst_sel:DWORD dst_unused:UNUSED_PAD src0_sel:DWORD src1_sel:BYTE_0
	v_cvt_f32_i32_e32 v61, v63
	s_waitcnt vmcnt(2)
	v_dot4c_i32_i8 v64, v8, v60
	v_fma_mix_f32 v47, v59, v47, 0 op_sel_hi:[1,0,0]
	v_cvt_f32_i32_e32 v56, v56
	v_and_b32_sdwa v49, v24, v49 dst_sel:DWORD dst_unused:UNUSED_PAD src0_sel:DWORD src1_sel:BYTE_1
	v_fma_mix_f32 v59, v59, v61, 0 op_sel_hi:[1,0,0]
	v_cvt_f32_i32_e32 v55, v55
	v_mov_b32_e32 v61, 0
	v_fma_mix_f32 v47, v57, v56, v47 op_sel_hi:[1,0,0]
	v_mov_b32_e32 v56, 0
	s_waitcnt vmcnt(1)
	v_dot4c_i32_i8 v64, v45, v58
	v_fma_mix_f32 v55, v57, v55, v59 op_sel_hi:[1,0,0]
	v_mov_b32_e32 v57, 0
	v_mov_b32_e32 v59, 0
	v_dot4c_i32_i8 v61, v7, v65
	v_dot4c_i32_i8 v56, 0x1010101, v65
	v_mov_b32_e32 v65, 0
	v_dot4c_i32_i8 v57, v7, v53
	v_dot4c_i32_i8 v59, 0x1010101, v53
	v_dot4c_i32_i8 v61, v54, v62
	v_dot4c_i32_i8 v56, 0x1010101, v62
	v_and_b32_sdwa v62, v24, v48 dst_sel:DWORD dst_unused:UNUSED_PAD src0_sel:DWORD src1_sel:BYTE_0
	v_dot4c_i32_i8 v57, v54, v52
	v_dot4c_i32_i8 v59, 0x1010101, v52
	v_mov_b32_e32 v52, 0
	v_dot4c_i32_i8 v65, 0x1010101, v51
	v_mov_b32_e32 v53, 0
	v_mul_lo_u32 v57, v57, v62
	v_and_b32_sdwa v48, v24, v48 dst_sel:DWORD dst_unused:UNUSED_PAD src0_sel:DWORD src1_sel:BYTE_1
	v_dot4c_i32_i8 v52, v8, v51
	v_mul_lo_u32 v51, v59, v66
	v_dot4c_i32_i8 v53, 0x1010101, v60
	v_dot4c_i32_i8 v65, 0x1010101, v50
	v_cvt_f32_f16_sdwa v63, v25 dst_sel:DWORD dst_unused:UNUSED_PAD src0_sel:WORD_1
	v_dot4c_i32_i8 v52, v45, v50
	v_mov_b32_e32 v50, 0
	v_cvt_f32_i32_e32 v57, v57
	v_dot4c_i32_i8 v53, 0x1010101, v58
	v_cvt_f32_i32_e32 v51, v51
	v_mov_b32_e32 v58, 0
	v_dot4c_i32_i8 v50, v7, v40
	v_fma_mix_f32 v57, v44, v57, 0 op_sel_hi:[1,0,0]
	v_mul_lo_u32 v48, v52, v48
	v_fma_mix_f32 v44, v44, v51, 0 op_sel_hi:[1,0,0]
	v_mov_b32_e32 v51, 0
	v_dot4c_i32_i8 v50, v54, v37
	v_dot4c_i32_i8 v58, 0x1010101, v40
	v_and_b32_sdwa v40, v24, v39 dst_sel:DWORD dst_unused:UNUSED_PAD src0_sel:DWORD src1_sel:BYTE_0
	v_mov_b32_e32 v52, 0
	v_dot4c_i32_i8 v51, v8, v36
	v_mul_lo_u32 v49, v65, v49
	v_dot4c_i32_i8 v58, 0x1010101, v37
	v_mul_lo_u32 v37, v50, v40
	v_dot4c_i32_i8 v52, 0x1010101, v36
	v_dot4c_i32_i8 v51, v45, v35
	v_and_b32_sdwa v36, v24, v39 dst_sel:DWORD dst_unused:UNUSED_PAD src0_sel:DWORD src1_sel:BYTE_1
	v_and_b32_sdwa v40, v24, v38 dst_sel:DWORD dst_unused:UNUSED_PAD src0_sel:DWORD src1_sel:BYTE_0
	v_mul_f32_e32 v47, v47, v63
	v_cvt_f32_i32_e32 v39, v49
	v_dot4c_i32_i8 v52, 0x1010101, v35
	v_mul_lo_u32 v36, v51, v36
	v_cvt_f32_i32_e32 v35, v37
	v_and_b32_sdwa v37, v24, v38 dst_sel:DWORD dst_unused:UNUSED_PAD src0_sel:DWORD src1_sel:BYTE_1
	v_mul_lo_u32 v40, v58, v40
	v_fma_mix_f32 v39, v41, v39, v44 op_sel_hi:[1,0,0]
	v_mov_b32_e32 v44, 0
	v_fma_mix_f32 v35, v34, v35, 0 op_sel_hi:[1,0,0]
	v_mul_lo_u32 v37, v52, v37
	v_cvt_f32_i32_e32 v36, v36
	v_cvt_f32_i32_e32 v38, v48
	v_dot4c_i32_i8 v44, v7, v32
	v_cvt_f32_i32_e32 v40, v40
	v_mul_f32_e32 v39, v39, v63
	v_fma_mix_f32 v7, v33, v36, v35 op_sel_hi:[1,0,0]
	v_mov_b32_e32 v36, 0
	v_fma_mix_f32 v38, v41, v38, v57 op_sel_hi:[1,0,0]
	v_cvt_f32_i32_e32 v35, v37
	v_mov_b32_e32 v37, 0
	v_mov_b32_e32 v41, 0
	v_dot4c_i32_i8 v36, 0x1010101, v32
	v_fma_mix_f32 v34, v34, v40, 0 op_sel_hi:[1,0,0]
	v_dot4c_i32_i8 v44, v54, v30
	v_dot4c_i32_i8 v37, v8, v31
	v_dot4c_i32_i8 v41, 0x1010101, v31
	v_and_b32_e32 v31, 0xff00ff, v46
	v_bfe_u32 v40, v29, 16, 8
	v_dot4c_i32_i8 v36, 0x1010101, v30
	v_and_b32_e32 v30, 0xff, v29
	v_fma_mix_f32 v8, v33, v35, v34 op_sel_hi:[1,0,0]
	v_lshrrev_b32_e32 v33, 16, v31
	v_pk_lshrrev_b16 v34, 8, v46 op_sel_hi:[0,1]
	v_mul_lo_u32 v32, v44, v40
	v_mul_lo_u32 v30, v36, v30
	v_dot4c_i32_i8 v37, v45, v28
	v_dot4c_i32_i8 v41, 0x1010101, v28
	v_and_b32_sdwa v28, v24, v29 dst_sel:DWORD dst_unused:UNUSED_PAD src0_sel:DWORD src1_sel:BYTE_1
	v_and_b32_e32 v31, 0xff, v31
	v_mul_lo_u32 v33, v56, v33
	v_lshrrev_b32_e32 v35, 16, v34
	v_cvt_f32_i32_e32 v32, v32
	v_lshrrev_b32_e32 v29, 24, v29
	v_cvt_f32_i32_e32 v30, v30
	v_mul_lo_u32 v28, v41, v28
	v_mul_lo_u32 v31, v61, v31
	v_and_b32_e32 v34, 0xff, v34
	v_mul_lo_u32 v35, v53, v35
	v_cvt_f32_i32_e32 v33, v33
	v_fma_mix_f32 v32, v27, v32, 0 op_sel_hi:[1,0,0]
	v_mul_lo_u32 v29, v37, v29
	v_fma_mix_f32 v27, v27, v30, 0 op_sel_hi:[1,0,0]
	v_mul_lo_u32 v30, v64, v34
	v_cvt_f32_i32_e32 v28, v28
	v_cvt_f32_i32_e32 v31, v31
	v_fma_mix_f32 v33, v42, v33, 0 op_sel_hi:[1,0,0]
	v_cvt_f32_i32_e32 v34, v35
	v_mul_f32_e32 v8, v8, v63
	v_cvt_f32_i32_e32 v29, v29
	v_fma_mix_f32 v27, v26, v28, v27 op_sel_hi:[1,0,0]
	v_fma_mix_f32 v28, v42, v31, 0 op_sel_hi:[1,0,0]
	v_cvt_f32_i32_e32 v30, v30
	s_waitcnt vmcnt(0)
	v_fma_mix_f32 v31, v43, v34, v33 op_sel_hi:[1,0,0]
	v_fma_mix_f32 v26, v26, v29, v32 op_sel_hi:[1,0,0]
	v_mul_f32_e32 v27, v27, v63
	v_fma_mix_f32 v7, v7, v25, -v8 op_sel_hi:[0,1,0]
	v_fma_mix_f32 v28, v43, v30, v28 op_sel_hi:[1,0,0]
	v_mul_f32_e32 v29, v31, v63
	v_fma_mix_f32 v30, v55, v25, -v47 op_sel_hi:[0,1,0]
	v_fma_mix_f32 v31, v38, v25, -v39 op_sel_hi:[0,1,0]
	;; [unrolled: 1-line block ×3, first 2 shown]
	v_add_co_u32 v4, s0, 0x240, v4
	v_fma_mix_f32 v25, v28, v25, -v29 op_sel_hi:[0,1,0]
	v_add_co_ci_u32_e64 v5, null, 0, v5, s0
	v_cmp_le_u32_e64 s0, s10, v13
	v_add_f32_e32 v10, v10, v30
	v_add_f32_e32 v11, v11, v31
	;; [unrolled: 1-line block ×5, first 2 shown]
	v_add_nc_u32_e32 v18, 16, v18
	v_add_nc_u32_e32 v6, 16, v6
	;; [unrolled: 1-line block ×4, first 2 shown]
	s_or_b32 s1, s0, s1
	s_andn2_b32 exec_lo, exec_lo, s1
	s_cbranch_execz .LBB128_21
.LBB128_3:                              ; =>This Inner Loop Header: Depth=1
	v_add_nc_u32_e32 v7, s3, v13
                                        ; implicit-def: $vgpr54
	v_mad_i64_i32 v[7:8], null, 0x90, v7, s[20:21]
	v_add_co_u32 v25, s0, v7, v15
	v_add_co_ci_u32_e64 v26, null, 0, v8, s0
	v_add_co_u32 v25, s0, v25, v17
	v_add_co_ci_u32_e64 v26, null, 0, v26, s0
	v_add_co_u32 v28, s0, v4, v17
	v_add_co_ci_u32_e64 v29, null, 0, v5, s0
	s_clause 0x2
	global_load_dword v47, v[25:26], off offset:16
	global_load_dword v45, v[25:26], off offset:32
	global_load_dword v25, v[7:8], off
	s_clause 0x5
	global_load_dword v27, v[4:5], off offset:-36
	global_load_dword v26, v[4:5], off
	global_load_dword v32, v[28:29], off offset:-32
	global_load_dword v30, v[28:29], off offset:-16
	global_load_dword v31, v[28:29], off offset:4
	global_load_dword v28, v[28:29], off offset:20
	v_add_co_u32 v7, s0, v7, v21
	v_add_co_ci_u32_e64 v8, null, 0, v8, s0
                                        ; implicit-def: $vgpr29
	s_and_saveexec_b32 s0, vcc_lo
	s_xor_b32 s0, exec_lo, s0
	s_cbranch_execz .LBB128_5
; %bb.4:                                ;   in Loop: Header=BB128_3 Depth=1
	s_clause 0x1
	global_load_ushort v29, v[7:8], off offset:8
	global_load_ushort v33, v[7:8], off offset:4
	s_waitcnt vmcnt(1)
	v_mov_b32_e32 v34, v29
	s_waitcnt vmcnt(0)
	v_perm_b32 v54, v29, v33, 0x5040100
	global_load_short_d16_hi v34, v[7:8], off
	v_pk_lshrrev_b16 v29, 2, v54
	v_and_b32_e32 v29, 0xf0f3030, v29
	s_waitcnt vmcnt(0)
	v_pk_lshrrev_b16 v33, 0x20004, v34
	v_and_or_b32 v29, 0x30300f0f, v33, v29
.LBB128_5:                              ;   in Loop: Header=BB128_3 Depth=1
	s_andn2_saveexec_b32 s0, s0
	s_cbranch_execz .LBB128_7
; %bb.6:                                ;   in Loop: Header=BB128_3 Depth=1
	s_clause 0x1
	global_load_ushort v33, v[7:8], off offset:4
	global_load_ushort v34, v[7:8], off offset:8
	s_waitcnt vmcnt(0)
	v_perm_b32 v29, v33, v34, 0x5040100
	v_perm_b32 v54, v34, v33, 0x5040100
	v_and_b32_e32 v29, 0x3f3f3f3f, v29
.LBB128_7:                              ;   in Loop: Header=BB128_3 Depth=1
	s_or_b32 exec_lo, exec_lo, s0
	v_mad_u64_u32 v[38:39], null, v20, 36, v[2:3]
	v_lshlrev_b32_e32 v42, 2, v16
	v_lshrrev_b16 v58, 2, v54
	v_add_co_u32 v43, s0, v38, v42
	v_add_co_ci_u32_e64 v44, null, 0, v39, s0
	s_clause 0x5
	global_load_dword v34, v[38:39], off
	global_load_dword v40, v[43:44], off offset:4
	global_load_dword v37, v[43:44], off offset:20
	;; [unrolled: 1-line block ×5, first 2 shown]
	v_lshrrev_b32_e32 v38, 20, v54
	v_and_b32_sdwa v43, v54, v22 dst_sel:DWORD dst_unused:UNUSED_PAD src0_sel:WORD_1 src1_sel:DWORD
                                        ; implicit-def: $vgpr39
	v_and_b32_e32 v46, 0xf0f, v38
                                        ; implicit-def: $vgpr38
	s_and_saveexec_b32 s0, vcc_lo
	s_xor_b32 s0, exec_lo, s0
	s_cbranch_execz .LBB128_9
; %bb.8:                                ;   in Loop: Header=BB128_3 Depth=1
	global_load_ushort v38, v[7:8], off
	v_and_b32_e32 v41, 0x3030, v58
	s_waitcnt vmcnt(0)
	v_lshrrev_b16 v38, 2, v38
	v_and_b32_e32 v38, 0x3030, v38
	v_or_b32_e32 v39, v38, v43
	v_or_b32_e32 v38, v41, v46
.LBB128_9:                              ;   in Loop: Header=BB128_3 Depth=1
	s_or_saveexec_b32 s0, s0
	v_and_b32_e32 v55, 0x3f3f, v54
	v_and_b32_sdwa v56, v54, v23 dst_sel:DWORD dst_unused:UNUSED_PAD src0_sel:WORD_1 src1_sel:DWORD
	s_xor_b32 exec_lo, exec_lo, s0
; %bb.10:                               ;   in Loop: Header=BB128_3 Depth=1
	v_and_b32_e32 v39, 0x3f3f, v54
	v_and_b32_sdwa v38, v54, v23 dst_sel:DWORD dst_unused:UNUSED_PAD src0_sel:WORD_1 src1_sel:DWORD
; %bb.11:                               ;   in Loop: Header=BB128_3 Depth=1
	s_or_b32 exec_lo, exec_lo, s0
	v_mad_u64_u32 v[48:49], null, v18, 36, v[2:3]
	v_add_co_u32 v59, s0, v48, v42
	v_add_co_ci_u32_e64 v60, null, 0, v49, s0
	s_clause 0x5
	global_load_dword v44, v[48:49], off
	global_load_dword v53, v[59:60], off offset:4
	global_load_dword v52, v[59:60], off offset:20
	global_load_dword v51, v[59:60], off offset:40
	global_load_dword v50, v[59:60], off offset:56
	global_load_dword v41, v[48:49], off offset:36
                                        ; implicit-def: $vgpr48
                                        ; implicit-def: $vgpr49
	s_and_saveexec_b32 s0, vcc_lo
	s_xor_b32 s0, exec_lo, s0
	s_cbranch_execz .LBB128_13
; %bb.12:                               ;   in Loop: Header=BB128_3 Depth=1
	global_load_ushort v48, v[7:8], off
	v_and_b32_e32 v49, 0x3030, v58
	v_or_b32_e32 v49, v49, v46
	s_waitcnt vmcnt(0)
	v_lshrrev_b16 v48, 2, v48
	v_and_b32_e32 v48, 0x3030, v48
	v_or_b32_e32 v48, v48, v43
.LBB128_13:                             ;   in Loop: Header=BB128_3 Depth=1
	s_andn2_saveexec_b32 s0, s0
; %bb.14:                               ;   in Loop: Header=BB128_3 Depth=1
	v_and_b32_e32 v48, 0x3f3f, v54
	v_and_b32_sdwa v49, v54, v23 dst_sel:DWORD dst_unused:UNUSED_PAD src0_sel:WORD_1 src1_sel:DWORD
; %bb.15:                               ;   in Loop: Header=BB128_3 Depth=1
	s_or_b32 exec_lo, exec_lo, s0
	v_mad_u64_u32 v[67:68], null, v6, 36, v[2:3]
	v_add_co_u32 v60, s0, v67, v42
	v_add_co_ci_u32_e64 v61, null, 0, v68, s0
	s_clause 0x5
	global_load_dword v59, v[67:68], off
	global_load_dword v66, v[60:61], off offset:4
	global_load_dword v63, v[60:61], off offset:20
	;; [unrolled: 1-line block ×5, first 2 shown]
	s_and_saveexec_b32 s0, vcc_lo
	s_xor_b32 s0, exec_lo, s0
	s_cbranch_execz .LBB128_17
; %bb.16:                               ;   in Loop: Header=BB128_3 Depth=1
	global_load_ushort v55, v[7:8], off
	v_and_b32_e32 v56, 0x3030, v58
	v_or_b32_e32 v56, v56, v46
	s_waitcnt vmcnt(0)
	v_lshrrev_b16 v55, 2, v55
	v_and_b32_e32 v55, 0x3030, v55
	v_or_b32_e32 v55, v55, v43
.LBB128_17:                             ;   in Loop: Header=BB128_3 Depth=1
	s_andn2_saveexec_b32 s0, s0
	s_or_b32 exec_lo, exec_lo, s0
	v_mad_u64_u32 v[67:68], null, v19, 36, v[2:3]
                                        ; implicit-def: $vgpr46
	v_add_co_u32 v69, s0, v67, v42
	v_add_co_ci_u32_e64 v70, null, 0, v68, s0
	s_clause 0x5
	global_load_dword v42, v[67:68], off
	global_load_dword v65, v[69:70], off offset:4
	global_load_dword v62, v[69:70], off offset:20
	;; [unrolled: 1-line block ×5, first 2 shown]
	s_and_saveexec_b32 s0, vcc_lo
	s_xor_b32 s0, exec_lo, s0
	s_cbranch_execz .LBB128_19
; %bb.18:                               ;   in Loop: Header=BB128_3 Depth=1
	global_load_ushort v7, v[7:8], off
	v_pk_lshrrev_b16 v8, 4, v54 op_sel:[1,1] op_sel_hi:[0,1]
	v_and_b32_e32 v8, 0xf0f0f0f, v8
	s_waitcnt vmcnt(0)
	v_perm_b32 v7, v54, v7, 0x5040100
                                        ; implicit-def: $vgpr54
	v_pk_lshrrev_b16 v7, 2, v7 op_sel_hi:[0,1]
	v_and_or_b32 v46, 0x30303030, v7, v8
.LBB128_19:                             ;   in Loop: Header=BB128_3 Depth=1
	s_andn2_saveexec_b32 s0, s0
	s_cbranch_execz .LBB128_2
; %bb.20:                               ;   in Loop: Header=BB128_3 Depth=1
	v_and_b32_e32 v46, 0x3f3f3f3f, v54
	s_branch .LBB128_2
.LBB128_21:
	s_or_b32 exec_lo, exec_lo, s1
.LBB128_22:
	s_or_b32 exec_lo, exec_lo, s9
	s_mov_b32 s1, 0
	; wave barrier
	buffer_gl0_inv
	s_mov_b32 s0, exec_lo
	v_cmpx_eq_u32_e32 0, v1
	s_cbranch_execz .LBB128_33
; %bb.23:
	v_mbcnt_lo_u32_b32 v5, -1, 0
	s_load_dwordx2 s[4:5], s[4:5], 0x38
	s_mul_i32 s0, s14, s7
	s_mul_i32 s3, s18, s8
	s_add_i32 s0, s0, s6
	v_xor_b32_e32 v1, 16, v5
	v_xor_b32_e32 v2, 8, v5
	;; [unrolled: 1-line block ×3, first 2 shown]
	s_add_i32 s0, s0, s3
	s_lshl_b64 s[0:1], s[0:1], 2
	v_cmp_gt_i32_e32 vcc_lo, 32, v1
	v_cndmask_b32_e32 v1, v5, v1, vcc_lo
	v_cmp_gt_i32_e32 vcc_lo, 32, v2
	v_lshlrev_b32_e32 v1, 2, v1
	v_cndmask_b32_e32 v2, v5, v2, vcc_lo
	s_waitcnt lgkmcnt(0)
	s_add_u32 s0, s4, s0
	s_addc_u32 s1, s5, s1
	ds_bpermute_b32 v3, v1, v14
	v_lshlrev_b32_e32 v2, 2, v2
	s_waitcnt lgkmcnt(0)
	v_add_f32_e32 v4, v14, v3
	v_xor_b32_e32 v3, 4, v5
	ds_bpermute_b32 v6, v2, v4
	v_cmp_gt_i32_e32 vcc_lo, 32, v3
	v_cndmask_b32_e32 v3, v5, v3, vcc_lo
	v_lshlrev_b32_e32 v3, 2, v3
	s_waitcnt lgkmcnt(0)
	v_add_f32_e32 v6, v4, v6
	v_xor_b32_e32 v4, 2, v5
	ds_bpermute_b32 v7, v3, v6
	v_cmp_gt_i32_e32 vcc_lo, 32, v4
	v_cndmask_b32_e32 v4, v5, v4, vcc_lo
	v_cmp_gt_i32_e32 vcc_lo, 32, v8
	v_lshlrev_b32_e32 v4, 2, v4
	v_cndmask_b32_e32 v5, v5, v8, vcc_lo
	v_cmp_eq_u32_e32 vcc_lo, 0, v0
	v_lshlrev_b32_e32 v5, 2, v5
	s_waitcnt lgkmcnt(0)
	v_add_f32_e32 v6, v6, v7
	ds_bpermute_b32 v7, v4, v6
	s_waitcnt lgkmcnt(0)
	v_add_f32_e32 v6, v6, v7
	ds_bpermute_b32 v7, v5, v6
	s_and_saveexec_b32 s3, vcc_lo
	s_cbranch_execz .LBB128_25
; %bb.24:
	s_waitcnt lgkmcnt(0)
	v_add_f32_e32 v0, v6, v7
	v_mov_b32_e32 v6, 0
	global_store_dword v6, v0, s[0:1]
.LBB128_25:
	s_or_b32 exec_lo, exec_lo, s3
	ds_bpermute_b32 v0, v1, v12
	s_waitcnt lgkmcnt(0)
	v_add_f32_e32 v0, v12, v0
	ds_bpermute_b32 v6, v2, v0
	s_waitcnt lgkmcnt(0)
	v_add_f32_e32 v0, v0, v6
	;; [unrolled: 3-line block ×4, first 2 shown]
	ds_bpermute_b32 v6, v5, v0
	s_and_saveexec_b32 s4, vcc_lo
	s_cbranch_execz .LBB128_27
; %bb.26:
	s_mov_b32 s3, 0
	s_waitcnt lgkmcnt(0)
	v_add_f32_e32 v0, v0, v6
	s_lshl_b64 s[6:7], s[2:3], 2
	v_mov_b32_e32 v6, 0
	s_add_u32 s6, s0, s6
	s_addc_u32 s7, s1, s7
	global_store_dword v6, v0, s[6:7]
.LBB128_27:
	s_or_b32 exec_lo, exec_lo, s4
	ds_bpermute_b32 v0, v1, v11
	s_waitcnt lgkmcnt(0)
	v_add_f32_e32 v0, v11, v0
	ds_bpermute_b32 v6, v2, v0
	s_waitcnt lgkmcnt(0)
	v_add_f32_e32 v0, v0, v6
	ds_bpermute_b32 v6, v3, v0
	s_waitcnt lgkmcnt(0)
	v_add_f32_e32 v0, v0, v6
	ds_bpermute_b32 v6, v4, v0
	s_waitcnt lgkmcnt(0)
	v_add_f32_e32 v0, v0, v6
	ds_bpermute_b32 v6, v5, v0
	s_and_saveexec_b32 s3, vcc_lo
	s_cbranch_execz .LBB128_29
; %bb.28:
	s_lshl_b32 s4, s2, 1
	s_mov_b32 s5, 0
	s_waitcnt lgkmcnt(0)
	v_add_f32_e32 v0, v0, v6
	s_lshl_b64 s[4:5], s[4:5], 2
	v_mov_b32_e32 v6, 0
	s_add_u32 s4, s0, s4
	s_addc_u32 s5, s1, s5
	global_store_dword v6, v0, s[4:5]
.LBB128_29:
	s_or_b32 exec_lo, exec_lo, s3
	ds_bpermute_b32 v0, v1, v10
	s_waitcnt lgkmcnt(0)
	v_add_f32_e32 v0, v10, v0
	ds_bpermute_b32 v6, v2, v0
	s_waitcnt lgkmcnt(0)
	v_add_f32_e32 v0, v0, v6
	;; [unrolled: 3-line block ×4, first 2 shown]
	ds_bpermute_b32 v6, v5, v0
	s_and_saveexec_b32 s3, vcc_lo
	s_cbranch_execz .LBB128_31
; %bb.30:
	s_mul_i32 s4, s2, 3
	s_mov_b32 s5, 0
	s_waitcnt lgkmcnt(0)
	v_add_f32_e32 v0, v0, v6
	s_lshl_b64 s[4:5], s[4:5], 2
	v_mov_b32_e32 v6, 0
	s_add_u32 s4, s0, s4
	s_addc_u32 s5, s1, s5
	global_store_dword v6, v0, s[4:5]
.LBB128_31:
	s_or_b32 exec_lo, exec_lo, s3
	ds_bpermute_b32 v0, v1, v9
	s_waitcnt lgkmcnt(0)
	v_add_f32_e32 v0, v9, v0
	ds_bpermute_b32 v1, v2, v0
	s_waitcnt lgkmcnt(0)
	v_add_f32_e32 v0, v0, v1
	;; [unrolled: 3-line block ×4, first 2 shown]
	ds_bpermute_b32 v1, v5, v0
	s_and_b32 exec_lo, exec_lo, vcc_lo
	s_cbranch_execz .LBB128_33
; %bb.32:
	s_lshl_b32 s2, s2, 2
	s_mov_b32 s3, 0
	s_waitcnt lgkmcnt(0)
	v_add_f32_e32 v0, v0, v1
	s_lshl_b64 s[2:3], s[2:3], 2
	v_mov_b32_e32 v1, 0
	s_add_u32 s0, s0, s2
	s_addc_u32 s1, s1, s3
	global_store_dword v1, v0, s[0:1]
.LBB128_33:
	s_endpgm
	.section	.rodata,"a",@progbits
	.p2align	6, 0x0
	.amdhsa_kernel _ZL13mul_mat_vec_qIL9ggml_type12ELi5ELb0ELb0EEvPKvS2_PKi31ggml_cuda_mm_fusion_args_devicePfj15HIP_vector_typeIjLj3EEjjjS8_jjjS8_jjjj
		.amdhsa_group_segment_fixed_size 0
		.amdhsa_private_segment_fixed_size 0
		.amdhsa_kernarg_size 144
		.amdhsa_user_sgpr_count 6
		.amdhsa_user_sgpr_private_segment_buffer 1
		.amdhsa_user_sgpr_dispatch_ptr 0
		.amdhsa_user_sgpr_queue_ptr 0
		.amdhsa_user_sgpr_kernarg_segment_ptr 1
		.amdhsa_user_sgpr_dispatch_id 0
		.amdhsa_user_sgpr_flat_scratch_init 0
		.amdhsa_user_sgpr_private_segment_size 0
		.amdhsa_wavefront_size32 1
		.amdhsa_uses_dynamic_stack 0
		.amdhsa_system_sgpr_private_segment_wavefront_offset 0
		.amdhsa_system_sgpr_workgroup_id_x 1
		.amdhsa_system_sgpr_workgroup_id_y 1
		.amdhsa_system_sgpr_workgroup_id_z 1
		.amdhsa_system_sgpr_workgroup_info 0
		.amdhsa_system_vgpr_workitem_id 1
		.amdhsa_next_free_vgpr 71
		.amdhsa_next_free_sgpr 26
		.amdhsa_reserve_vcc 1
		.amdhsa_reserve_flat_scratch 0
		.amdhsa_float_round_mode_32 0
		.amdhsa_float_round_mode_16_64 0
		.amdhsa_float_denorm_mode_32 3
		.amdhsa_float_denorm_mode_16_64 3
		.amdhsa_dx10_clamp 1
		.amdhsa_ieee_mode 1
		.amdhsa_fp16_overflow 0
		.amdhsa_workgroup_processor_mode 1
		.amdhsa_memory_ordered 1
		.amdhsa_forward_progress 1
		.amdhsa_shared_vgpr_count 0
		.amdhsa_exception_fp_ieee_invalid_op 0
		.amdhsa_exception_fp_denorm_src 0
		.amdhsa_exception_fp_ieee_div_zero 0
		.amdhsa_exception_fp_ieee_overflow 0
		.amdhsa_exception_fp_ieee_underflow 0
		.amdhsa_exception_fp_ieee_inexact 0
		.amdhsa_exception_int_div_zero 0
	.end_amdhsa_kernel
	.section	.text._ZL13mul_mat_vec_qIL9ggml_type12ELi5ELb0ELb0EEvPKvS2_PKi31ggml_cuda_mm_fusion_args_devicePfj15HIP_vector_typeIjLj3EEjjjS8_jjjS8_jjjj,"axG",@progbits,_ZL13mul_mat_vec_qIL9ggml_type12ELi5ELb0ELb0EEvPKvS2_PKi31ggml_cuda_mm_fusion_args_devicePfj15HIP_vector_typeIjLj3EEjjjS8_jjjS8_jjjj,comdat
.Lfunc_end128:
	.size	_ZL13mul_mat_vec_qIL9ggml_type12ELi5ELb0ELb0EEvPKvS2_PKi31ggml_cuda_mm_fusion_args_devicePfj15HIP_vector_typeIjLj3EEjjjS8_jjjS8_jjjj, .Lfunc_end128-_ZL13mul_mat_vec_qIL9ggml_type12ELi5ELb0ELb0EEvPKvS2_PKi31ggml_cuda_mm_fusion_args_devicePfj15HIP_vector_typeIjLj3EEjjjS8_jjjS8_jjjj
                                        ; -- End function
	.set _ZL13mul_mat_vec_qIL9ggml_type12ELi5ELb0ELb0EEvPKvS2_PKi31ggml_cuda_mm_fusion_args_devicePfj15HIP_vector_typeIjLj3EEjjjS8_jjjS8_jjjj.num_vgpr, 71
	.set _ZL13mul_mat_vec_qIL9ggml_type12ELi5ELb0ELb0EEvPKvS2_PKi31ggml_cuda_mm_fusion_args_devicePfj15HIP_vector_typeIjLj3EEjjjS8_jjjS8_jjjj.num_agpr, 0
	.set _ZL13mul_mat_vec_qIL9ggml_type12ELi5ELb0ELb0EEvPKvS2_PKi31ggml_cuda_mm_fusion_args_devicePfj15HIP_vector_typeIjLj3EEjjjS8_jjjS8_jjjj.numbered_sgpr, 26
	.set _ZL13mul_mat_vec_qIL9ggml_type12ELi5ELb0ELb0EEvPKvS2_PKi31ggml_cuda_mm_fusion_args_devicePfj15HIP_vector_typeIjLj3EEjjjS8_jjjS8_jjjj.num_named_barrier, 0
	.set _ZL13mul_mat_vec_qIL9ggml_type12ELi5ELb0ELb0EEvPKvS2_PKi31ggml_cuda_mm_fusion_args_devicePfj15HIP_vector_typeIjLj3EEjjjS8_jjjS8_jjjj.private_seg_size, 0
	.set _ZL13mul_mat_vec_qIL9ggml_type12ELi5ELb0ELb0EEvPKvS2_PKi31ggml_cuda_mm_fusion_args_devicePfj15HIP_vector_typeIjLj3EEjjjS8_jjjS8_jjjj.uses_vcc, 1
	.set _ZL13mul_mat_vec_qIL9ggml_type12ELi5ELb0ELb0EEvPKvS2_PKi31ggml_cuda_mm_fusion_args_devicePfj15HIP_vector_typeIjLj3EEjjjS8_jjjS8_jjjj.uses_flat_scratch, 0
	.set _ZL13mul_mat_vec_qIL9ggml_type12ELi5ELb0ELb0EEvPKvS2_PKi31ggml_cuda_mm_fusion_args_devicePfj15HIP_vector_typeIjLj3EEjjjS8_jjjS8_jjjj.has_dyn_sized_stack, 0
	.set _ZL13mul_mat_vec_qIL9ggml_type12ELi5ELb0ELb0EEvPKvS2_PKi31ggml_cuda_mm_fusion_args_devicePfj15HIP_vector_typeIjLj3EEjjjS8_jjjS8_jjjj.has_recursion, 0
	.set _ZL13mul_mat_vec_qIL9ggml_type12ELi5ELb0ELb0EEvPKvS2_PKi31ggml_cuda_mm_fusion_args_devicePfj15HIP_vector_typeIjLj3EEjjjS8_jjjS8_jjjj.has_indirect_call, 0
	.section	.AMDGPU.csdata,"",@progbits
; Kernel info:
; codeLenInByte = 3284
; TotalNumSgprs: 28
; NumVgprs: 71
; ScratchSize: 0
; MemoryBound: 0
; FloatMode: 240
; IeeeMode: 1
; LDSByteSize: 0 bytes/workgroup (compile time only)
; SGPRBlocks: 0
; VGPRBlocks: 8
; NumSGPRsForWavesPerEU: 28
; NumVGPRsForWavesPerEU: 71
; Occupancy: 12
; WaveLimiterHint : 0
; COMPUTE_PGM_RSRC2:SCRATCH_EN: 0
; COMPUTE_PGM_RSRC2:USER_SGPR: 6
; COMPUTE_PGM_RSRC2:TRAP_HANDLER: 0
; COMPUTE_PGM_RSRC2:TGID_X_EN: 1
; COMPUTE_PGM_RSRC2:TGID_Y_EN: 1
; COMPUTE_PGM_RSRC2:TGID_Z_EN: 1
; COMPUTE_PGM_RSRC2:TIDIG_COMP_CNT: 1
	.section	.text._ZL13mul_mat_vec_qIL9ggml_type12ELi6ELb0ELb0EEvPKvS2_PKi31ggml_cuda_mm_fusion_args_devicePfj15HIP_vector_typeIjLj3EEjjjS8_jjjS8_jjjj,"axG",@progbits,_ZL13mul_mat_vec_qIL9ggml_type12ELi6ELb0ELb0EEvPKvS2_PKi31ggml_cuda_mm_fusion_args_devicePfj15HIP_vector_typeIjLj3EEjjjS8_jjjS8_jjjj,comdat
	.globl	_ZL13mul_mat_vec_qIL9ggml_type12ELi6ELb0ELb0EEvPKvS2_PKi31ggml_cuda_mm_fusion_args_devicePfj15HIP_vector_typeIjLj3EEjjjS8_jjjS8_jjjj ; -- Begin function _ZL13mul_mat_vec_qIL9ggml_type12ELi6ELb0ELb0EEvPKvS2_PKi31ggml_cuda_mm_fusion_args_devicePfj15HIP_vector_typeIjLj3EEjjjS8_jjjS8_jjjj
	.p2align	8
	.type	_ZL13mul_mat_vec_qIL9ggml_type12ELi6ELb0ELb0EEvPKvS2_PKi31ggml_cuda_mm_fusion_args_devicePfj15HIP_vector_typeIjLj3EEjjjS8_jjjS8_jjjj,@function
_ZL13mul_mat_vec_qIL9ggml_type12ELi6ELb0ELb0EEvPKvS2_PKi31ggml_cuda_mm_fusion_args_devicePfj15HIP_vector_typeIjLj3EEjjjS8_jjjS8_jjjj: ; @_ZL13mul_mat_vec_qIL9ggml_type12ELi6ELb0ELb0EEvPKvS2_PKi31ggml_cuda_mm_fusion_args_devicePfj15HIP_vector_typeIjLj3EEjjjS8_jjjS8_jjjj
; %bb.0:
	s_clause 0x5
	s_load_dword s9, s[4:5], 0x40
	s_load_dwordx4 s[0:3], s[4:5], 0x50
	s_load_dword s11, s[4:5], 0x60
	s_load_dwordx4 s[12:15], s[4:5], 0x68
	;; [unrolled: 2-line block ×3, first 2 shown]
	v_lshl_or_b32 v2, v1, 5, v0
	v_mov_b32_e32 v10, 0
	v_mov_b32_e32 v11, 0
	;; [unrolled: 1-line block ×4, first 2 shown]
	v_lshrrev_b32_e32 v15, 4, v2
	v_mov_b32_e32 v14, 0
	v_mov_b32_e32 v16, 0
	s_waitcnt lgkmcnt(0)
	s_lshr_b32 s10, s9, 8
	s_mov_b32 s9, exec_lo
	v_cmpx_gt_u32_e64 s10, v15
	s_cbranch_execz .LBB129_26
; %bb.1:
	s_load_dwordx4 s[20:23], s[4:5], 0x0
	v_lshlrev_b32_e32 v2, 1, v0
	v_bfe_u32 v4, v0, 2, 2
	s_mul_hi_u32 s3, s3, s7
	s_mul_hi_u32 s15, s15, s8
	s_mul_i32 s17, s17, s8
	v_and_b32_e32 v6, 30, v2
	v_bfe_u32 v11, v2, 3, 2
	v_mul_hi_u32_u24_e32 v3, 0x48, v4
	v_mul_u32_u24_e32 v2, 0x48, v4
	s_add_i32 s3, s7, s3
	s_add_i32 s15, s8, s15
	s_mul_i32 s13, s13, s7
	s_mul_hi_u32 s19, s17, 36
	v_mad_u64_u32 v[4:5], null, 0x120, v15, v[2:3]
	s_mul_i32 s17, s17, 36
	s_lshr_b32 s3, s3, s11
	s_lshr_b32 s11, s15, s24
	s_mul_hi_u32 s25, s13, 36
	s_mul_i32 s13, s13, 36
	s_mul_i32 s3, s3, s12
	s_waitcnt lgkmcnt(0)
	s_add_u32 s12, s22, s17
	s_addc_u32 s15, s23, s19
	s_mul_i32 s0, s0, s6
	s_add_u32 s12, s12, s13
	v_mov_b32_e32 v10, 0
	v_lshlrev_b32_e32 v9, 3, v15
	v_lshlrev_b32_e32 v2, 1, v11
	s_addc_u32 s13, s15, s25
	s_add_i32 s3, s3, s0
	v_add_co_u32 v4, s0, s12, v4
	v_and_b32_e32 v18, 3, v0
	v_add_co_ci_u32_e64 v5, null, s13, v5, s0
	v_cmp_lt_u32_e32 vcc_lo, 15, v6
	v_mad_u64_u32 v[6:7], null, s1, 3, v[9:10]
	v_mad_u64_u32 v[2:3], null, v2, 36, s[12:13]
	;; [unrolled: 1-line block ×3, first 2 shown]
	v_add_co_u32 v4, s0, v4, 36
	v_lshlrev_b32_e32 v17, 5, v11
	v_lshlrev_b32_e32 v19, 2, v18
	v_add_co_ci_u32_e64 v5, null, 0, v5, s0
	v_lshl_add_u32 v20, s1, 1, v9
	v_lshl_add_u32 v21, s1, 2, v9
	v_add_nc_u32_e32 v22, s1, v9
	v_lshlrev_b32_e32 v23, 1, v11
	v_mov_b32_e32 v24, 0xf0f
	v_mov_b32_e32 v25, 0x3f3f
	v_mov_b32_e32 v26, 0xffff
	v_mov_b32_e32 v11, 0
	v_mov_b32_e32 v12, 0
	v_mov_b32_e32 v13, 0
	v_mov_b32_e32 v14, 0
	v_mov_b32_e32 v16, 0
	s_mul_i32 s11, s11, s16
	s_mov_b32 s1, 0
	s_add_i32 s3, s11, s3
	s_branch .LBB129_3
.LBB129_2:                              ;   in Loop: Header=BB129_3 Depth=1
	s_or_b32 exec_lo, exec_lo, s0
	s_waitcnt vmcnt(38)
	v_and_b32_e32 v8, 0xf0f0f0f, v55
	v_mov_b32_e32 v58, 0
	v_mov_b32_e32 v77, 0
	v_lshrrev_b32_e32 v9, 4, v55
	s_waitcnt vmcnt(37)
	v_and_b32_e32 v55, 0xf0f0f0f, v54
	v_mov_b32_e32 v78, 0
	s_waitcnt vmcnt(10)
	v_dot4c_i32_i8 v58, v8, v76
	v_dot4c_i32_i8 v77, 0x1010101, v76
	v_lshrrev_b32_e32 v54, 4, v54
	v_and_b32_e32 v9, 0xf0f0f0f, v9
	v_mov_b32_e32 v76, 0
	s_waitcnt vmcnt(8)
	v_dot4c_i32_i8 v78, 0x1010101, v73
	v_dot4c_i32_i8 v58, v55, v75
	;; [unrolled: 1-line block ×3, first 2 shown]
	v_and_b32_sdwa v75, v26, v64 dst_sel:DWORD dst_unused:UNUSED_PAD src0_sel:DWORD src1_sel:BYTE_0
	v_and_b32_e32 v54, 0xf0f0f0f, v54
	v_dot4c_i32_i8 v76, v9, v73
	s_waitcnt vmcnt(7)
	v_dot4c_i32_i8 v78, 0x1010101, v71
	v_and_b32_sdwa v73, v26, v61 dst_sel:DWORD dst_unused:UNUSED_PAD src0_sel:DWORD src1_sel:BYTE_0
	v_and_b32_sdwa v64, v26, v64 dst_sel:DWORD dst_unused:UNUSED_PAD src0_sel:DWORD src1_sel:BYTE_1
	v_mul_lo_u32 v75, v77, v75
	v_dot4c_i32_i8 v76, v54, v71
	v_and_b32_sdwa v61, v26, v61 dst_sel:DWORD dst_unused:UNUSED_PAD src0_sel:DWORD src1_sel:BYTE_1
	v_mul_lo_u32 v58, v58, v73
	v_mul_lo_u32 v64, v78, v64
	v_cvt_f32_f16_sdwa v73, v27 dst_sel:DWORD dst_unused:UNUSED_PAD src0_sel:WORD_1
	v_add_nc_u32_e32 v15, 2, v15
	v_mul_lo_u32 v61, v76, v61
	v_cvt_f32_i32_e32 v71, v75
	v_mov_b32_e32 v75, 0
	v_add_co_u32 v4, s0, 0x240, v4
	v_cvt_f32_i32_e32 v58, v58
	v_cvt_f32_i32_e32 v64, v64
	v_fma_mix_f32 v71, v70, v71, 0 op_sel_hi:[1,0,0]
	v_cvt_f32_i32_e32 v61, v61
	s_waitcnt vmcnt(2)
	v_dot4c_i32_i8 v75, v9, v69
	v_fma_mix_f32 v58, v70, v58, 0 op_sel_hi:[1,0,0]
	v_mov_b32_e32 v70, 0
	v_fma_mix_f32 v64, v68, v64, v71 op_sel_hi:[1,0,0]
	v_mov_b32_e32 v71, 0
	s_waitcnt vmcnt(1)
	v_dot4c_i32_i8 v75, v54, v67
	v_fma_mix_f32 v58, v68, v61, v58 op_sel_hi:[1,0,0]
	v_mov_b32_e32 v68, 0
	v_mul_f32_e32 v61, v64, v73
	v_mov_b32_e32 v64, 0
	v_dot4c_i32_i8 v70, v8, v74
	v_dot4c_i32_i8 v71, 0x1010101, v74
	;; [unrolled: 1-line block ×3, first 2 shown]
	v_fma_mix_f32 v58, v58, v27, -v61 op_sel_hi:[0,1,0]
	v_mov_b32_e32 v61, 0
	v_dot4c_i32_i8 v64, v8, v66
	v_and_b32_sdwa v66, v26, v63 dst_sel:DWORD dst_unused:UNUSED_PAD src0_sel:DWORD src1_sel:BYTE_0
	v_dot4c_i32_i8 v68, 0x1010101, v60
	v_add_f32_e32 v11, v11, v58
	v_mov_b32_e32 v58, 0
	v_dot4c_i32_i8 v61, 0x1010101, v62
	v_dot4c_i32_i8 v64, v55, v60
	v_and_b32_sdwa v63, v26, v63 dst_sel:DWORD dst_unused:UNUSED_PAD src0_sel:DWORD src1_sel:BYTE_1
	v_dot4c_i32_i8 v70, v55, v72
	v_dot4c_i32_i8 v58, v9, v62
	v_and_b32_sdwa v62, v26, v65 dst_sel:DWORD dst_unused:UNUSED_PAD src0_sel:DWORD src1_sel:BYTE_0
	v_dot4c_i32_i8 v61, 0x1010101, v59
	v_mul_lo_u32 v60, v64, v66
	v_and_b32_sdwa v64, v26, v48 dst_sel:DWORD dst_unused:UNUSED_PAD src0_sel:DWORD src1_sel:BYTE_0
	v_dot4c_i32_i8 v58, v54, v59
	v_and_b32_sdwa v59, v26, v65 dst_sel:DWORD dst_unused:UNUSED_PAD src0_sel:DWORD src1_sel:BYTE_1
	v_mul_lo_u32 v62, v68, v62
	v_and_b32_sdwa v48, v26, v48 dst_sel:DWORD dst_unused:UNUSED_PAD src0_sel:DWORD src1_sel:BYTE_1
	v_dot4c_i32_i8 v71, 0x1010101, v72
	v_mul_lo_u32 v58, v58, v63
	v_mul_lo_u32 v59, v61, v59
	v_mov_b32_e32 v61, 0
	v_mov_b32_e32 v63, 0
	v_cvt_f32_i32_e32 v60, v60
	v_cvt_f32_i32_e32 v62, v62
	v_mov_b32_e32 v72, 0
	v_dot4c_i32_i8 v61, v8, v52
	v_dot4c_i32_i8 v63, 0x1010101, v52
	v_fma_mix_f32 v60, v57, v60, 0 op_sel_hi:[1,0,0]
	v_fma_mix_f32 v52, v57, v62, 0 op_sel_hi:[1,0,0]
	v_cvt_f32_i32_e32 v57, v58
	v_cvt_f32_i32_e32 v58, v59
	v_dot4c_i32_i8 v61, v55, v51
	v_dot4c_i32_i8 v63, 0x1010101, v51
	v_mov_b32_e32 v51, 0
	v_and_b32_sdwa v59, v26, v47 dst_sel:DWORD dst_unused:UNUSED_PAD src0_sel:DWORD src1_sel:BYTE_0
	v_mov_b32_e32 v62, 0
	v_fma_mix_f32 v52, v56, v58, v52 op_sel_hi:[1,0,0]
	v_fma_mix_f32 v56, v56, v57, v60 op_sel_hi:[1,0,0]
	v_dot4c_i32_i8 v51, v9, v50
	v_mul_lo_u32 v58, v61, v59
	v_dot4c_i32_i8 v62, 0x1010101, v50
	v_mul_lo_u32 v50, v63, v64
	v_and_b32_sdwa v47, v26, v47 dst_sel:DWORD dst_unused:UNUSED_PAD src0_sel:DWORD src1_sel:BYTE_1
	v_dot4c_i32_i8 v51, v54, v49
	v_dot4c_i32_i8 v72, 0x1010101, v69
	;; [unrolled: 1-line block ×3, first 2 shown]
	v_mov_b32_e32 v49, 0
	v_cvt_f32_i32_e32 v57, v58
	v_mov_b32_e32 v58, 0
	v_cvt_f32_i32_e32 v50, v50
	v_mul_lo_u32 v47, v51, v47
	v_dot4c_i32_i8 v49, v8, v42
	v_fma_mix_f32 v57, v44, v57, 0 op_sel_hi:[1,0,0]
	v_dot4c_i32_i8 v58, 0x1010101, v42
	v_fma_mix_f32 v44, v44, v50, 0 op_sel_hi:[1,0,0]
	v_mov_b32_e32 v50, 0
	v_dot4c_i32_i8 v49, v55, v39
	v_and_b32_sdwa v42, v26, v41 dst_sel:DWORD dst_unused:UNUSED_PAD src0_sel:DWORD src1_sel:BYTE_0
	v_mov_b32_e32 v51, 0
	v_mul_lo_u32 v48, v62, v48
	v_dot4c_i32_i8 v50, v9, v38
	v_dot4c_i32_i8 v58, 0x1010101, v39
	v_mul_lo_u32 v39, v49, v42
	v_dot4c_i32_i8 v51, 0x1010101, v38
	v_and_b32_sdwa v38, v26, v41 dst_sel:DWORD dst_unused:UNUSED_PAD src0_sel:DWORD src1_sel:BYTE_1
	v_dot4c_i32_i8 v50, v54, v37
	v_and_b32_sdwa v42, v26, v40 dst_sel:DWORD dst_unused:UNUSED_PAD src0_sel:DWORD src1_sel:BYTE_0
	v_cvt_f32_i32_e32 v41, v48
	v_dot4c_i32_i8 v51, 0x1010101, v37
	v_dot4c_i32_i8 v72, 0x1010101, v67
	v_mul_lo_u32 v38, v50, v38
	v_cvt_f32_i32_e32 v37, v39
	v_and_b32_sdwa v39, v26, v40 dst_sel:DWORD dst_unused:UNUSED_PAD src0_sel:DWORD src1_sel:BYTE_1
	v_mul_lo_u32 v42, v58, v42
	v_fma_mix_f32 v41, v43, v41, v44 op_sel_hi:[1,0,0]
	v_mov_b32_e32 v44, 0
	v_fma_mix_f32 v37, v36, v37, 0 op_sel_hi:[1,0,0]
	v_mul_lo_u32 v39, v51, v39
	v_cvt_f32_i32_e32 v38, v38
	v_cvt_f32_i32_e32 v40, v47
	v_dot4c_i32_i8 v44, v8, v34
	v_cvt_f32_i32_e32 v42, v42
	v_mul_f32_e32 v52, v52, v73
	v_fma_mix_f32 v8, v35, v38, v37 op_sel_hi:[1,0,0]
	v_mov_b32_e32 v38, 0
	v_fma_mix_f32 v40, v43, v40, v57 op_sel_hi:[1,0,0]
	v_cvt_f32_i32_e32 v37, v39
	v_mov_b32_e32 v39, 0
	v_mov_b32_e32 v43, 0
	v_dot4c_i32_i8 v38, 0x1010101, v34
	v_fma_mix_f32 v36, v36, v42, 0 op_sel_hi:[1,0,0]
	v_dot4c_i32_i8 v44, v55, v32
	v_dot4c_i32_i8 v39, v9, v33
	;; [unrolled: 1-line block ×3, first 2 shown]
	v_and_b32_e32 v33, 0xff00ff, v53
	v_bfe_u32 v42, v31, 16, 8
	v_dot4c_i32_i8 v38, 0x1010101, v32
	v_and_b32_e32 v32, 0xff, v31
	v_fma_mix_f32 v9, v35, v37, v36 op_sel_hi:[1,0,0]
	v_lshrrev_b32_e32 v35, 16, v33
	v_pk_lshrrev_b16 v36, 8, v53 op_sel_hi:[0,1]
	v_mul_lo_u32 v34, v44, v42
	v_mul_lo_u32 v32, v38, v32
	v_dot4c_i32_i8 v39, v54, v30
	v_dot4c_i32_i8 v43, 0x1010101, v30
	v_and_b32_sdwa v30, v26, v31 dst_sel:DWORD dst_unused:UNUSED_PAD src0_sel:DWORD src1_sel:BYTE_1
	v_and_b32_e32 v33, 0xff, v33
	v_mul_lo_u32 v35, v71, v35
	v_lshrrev_b32_e32 v37, 16, v36
	v_cvt_f32_i32_e32 v34, v34
	v_lshrrev_b32_e32 v31, 24, v31
	v_cvt_f32_i32_e32 v32, v32
	v_mul_lo_u32 v30, v43, v30
	v_mul_lo_u32 v33, v70, v33
	v_and_b32_e32 v36, 0xff, v36
	v_mul_lo_u32 v37, v72, v37
	v_cvt_f32_i32_e32 v35, v35
	v_fma_mix_f32 v34, v29, v34, 0 op_sel_hi:[1,0,0]
	v_mul_lo_u32 v31, v39, v31
	v_fma_mix_f32 v29, v29, v32, 0 op_sel_hi:[1,0,0]
	v_mul_lo_u32 v32, v75, v36
	v_cvt_f32_i32_e32 v30, v30
	v_cvt_f32_i32_e32 v33, v33
	v_fma_mix_f32 v35, v45, v35, 0 op_sel_hi:[1,0,0]
	v_cvt_f32_i32_e32 v36, v37
	v_mul_f32_e32 v41, v41, v73
	v_cvt_f32_i32_e32 v31, v31
	v_fma_mix_f32 v29, v28, v30, v29 op_sel_hi:[1,0,0]
	v_fma_mix_f32 v30, v45, v33, 0 op_sel_hi:[1,0,0]
	v_cvt_f32_i32_e32 v32, v32
	s_waitcnt vmcnt(0)
	v_fma_mix_f32 v33, v46, v36, v35 op_sel_hi:[1,0,0]
	v_mul_f32_e32 v9, v9, v73
	v_fma_mix_f32 v28, v28, v31, v34 op_sel_hi:[1,0,0]
	v_mul_f32_e32 v29, v29, v73
	;; [unrolled: 2-line block ×3, first 2 shown]
	v_fma_mix_f32 v32, v56, v27, -v52 op_sel_hi:[0,1,0]
	v_fma_mix_f32 v33, v40, v27, -v41 op_sel_hi:[0,1,0]
	;; [unrolled: 1-line block ×5, first 2 shown]
	v_add_co_ci_u32_e64 v5, null, 0, v5, s0
	v_cmp_le_u32_e64 s0, s10, v15
	v_add_f32_e32 v12, v12, v32
	v_add_f32_e32 v13, v13, v33
	;; [unrolled: 1-line block ×5, first 2 shown]
	v_add_nc_u32_e32 v20, 16, v20
	v_add_nc_u32_e32 v6, 16, v6
	;; [unrolled: 1-line block ×5, first 2 shown]
	s_or_b32 s1, s0, s1
	s_andn2_b32 exec_lo, exec_lo, s1
	s_cbranch_execz .LBB129_25
.LBB129_3:                              ; =>This Inner Loop Header: Depth=1
	v_add_nc_u32_e32 v8, s3, v15
                                        ; implicit-def: $vgpr58
	v_mad_i64_i32 v[8:9], null, 0x90, v8, s[20:21]
	v_add_co_u32 v27, s0, v8, v17
	v_add_co_ci_u32_e64 v28, null, 0, v9, s0
	v_add_co_u32 v27, s0, v27, v19
	v_add_co_ci_u32_e64 v28, null, 0, v28, s0
	;; [unrolled: 2-line block ×3, first 2 shown]
	s_clause 0x2
	global_load_dword v55, v[27:28], off offset:16
	global_load_dword v54, v[27:28], off offset:32
	global_load_dword v27, v[8:9], off
	s_clause 0x5
	global_load_dword v29, v[4:5], off offset:-36
	global_load_dword v28, v[4:5], off
	global_load_dword v34, v[30:31], off offset:-32
	global_load_dword v32, v[30:31], off offset:-16
	global_load_dword v33, v[30:31], off offset:4
	global_load_dword v30, v[30:31], off offset:20
	v_add_co_u32 v8, s0, v8, v23
	v_add_co_ci_u32_e64 v9, null, 0, v9, s0
                                        ; implicit-def: $vgpr31
	s_and_saveexec_b32 s0, vcc_lo
	s_xor_b32 s0, exec_lo, s0
	s_cbranch_execz .LBB129_5
; %bb.4:                                ;   in Loop: Header=BB129_3 Depth=1
	s_clause 0x1
	global_load_ushort v31, v[8:9], off offset:8
	global_load_ushort v35, v[8:9], off offset:4
	s_waitcnt vmcnt(1)
	v_mov_b32_e32 v36, v31
	s_waitcnt vmcnt(0)
	v_perm_b32 v58, v31, v35, 0x5040100
	global_load_short_d16_hi v36, v[8:9], off
	v_pk_lshrrev_b16 v31, 2, v58
	v_and_b32_e32 v31, 0xf0f3030, v31
	s_waitcnt vmcnt(0)
	v_pk_lshrrev_b16 v35, 0x20004, v36
	v_and_or_b32 v31, 0x30300f0f, v35, v31
.LBB129_5:                              ;   in Loop: Header=BB129_3 Depth=1
	s_andn2_saveexec_b32 s0, s0
	s_cbranch_execz .LBB129_7
; %bb.6:                                ;   in Loop: Header=BB129_3 Depth=1
	s_clause 0x1
	global_load_ushort v35, v[8:9], off offset:4
	global_load_ushort v36, v[8:9], off offset:8
	s_waitcnt vmcnt(0)
	v_perm_b32 v31, v35, v36, 0x5040100
	v_perm_b32 v58, v36, v35, 0x5040100
	v_and_b32_e32 v31, 0x3f3f3f3f, v31
.LBB129_7:                              ;   in Loop: Header=BB129_3 Depth=1
	s_or_b32 exec_lo, exec_lo, s0
	v_mad_u64_u32 v[40:41], null, v22, 36, v[2:3]
	v_lshlrev_b32_e32 v45, 2, v18
	v_and_b32_sdwa v46, v58, v24 dst_sel:DWORD dst_unused:UNUSED_PAD src0_sel:WORD_1 src1_sel:DWORD
	v_lshrrev_b16 v67, 2, v58
	v_add_co_u32 v43, s0, v40, v45
	v_add_co_ci_u32_e64 v44, null, 0, v41, s0
	s_clause 0x5
	global_load_dword v36, v[40:41], off
	global_load_dword v42, v[43:44], off offset:4
	global_load_dword v39, v[43:44], off offset:20
	;; [unrolled: 1-line block ×5, first 2 shown]
	v_lshrrev_b32_e32 v40, 20, v58
                                        ; implicit-def: $vgpr41
	v_and_b32_e32 v53, 0xf0f, v40
                                        ; implicit-def: $vgpr40
	s_and_saveexec_b32 s0, vcc_lo
	s_xor_b32 s0, exec_lo, s0
	s_cbranch_execz .LBB129_9
; %bb.8:                                ;   in Loop: Header=BB129_3 Depth=1
	global_load_ushort v40, v[8:9], off
	v_and_b32_e32 v43, 0x3030, v67
	s_waitcnt vmcnt(0)
	v_lshrrev_b16 v40, 2, v40
	v_and_b32_e32 v40, 0x3030, v40
	v_or_b32_e32 v41, v40, v46
	v_or_b32_e32 v40, v43, v53
.LBB129_9:                              ;   in Loop: Header=BB129_3 Depth=1
	s_or_saveexec_b32 s0, s0
	v_and_b32_e32 v61, 0x3f3f, v58
	v_and_b32_sdwa v64, v58, v25 dst_sel:DWORD dst_unused:UNUSED_PAD src0_sel:WORD_1 src1_sel:DWORD
	s_xor_b32 exec_lo, exec_lo, s0
; %bb.10:                               ;   in Loop: Header=BB129_3 Depth=1
	v_and_b32_e32 v41, 0x3f3f, v58
	v_and_b32_sdwa v40, v58, v25 dst_sel:DWORD dst_unused:UNUSED_PAD src0_sel:WORD_1 src1_sel:DWORD
; %bb.11:                               ;   in Loop: Header=BB129_3 Depth=1
	s_or_b32 exec_lo, exec_lo, s0
	v_mad_u64_u32 v[47:48], null, v20, 36, v[2:3]
	v_add_co_u32 v56, s0, v47, v45
	v_add_co_ci_u32_e64 v57, null, 0, v48, s0
	s_clause 0x5
	global_load_dword v44, v[47:48], off
	global_load_dword v52, v[56:57], off offset:4
	global_load_dword v51, v[56:57], off offset:20
	;; [unrolled: 1-line block ×5, first 2 shown]
                                        ; implicit-def: $vgpr47
                                        ; implicit-def: $vgpr48
	s_and_saveexec_b32 s0, vcc_lo
	s_xor_b32 s0, exec_lo, s0
	s_cbranch_execz .LBB129_13
; %bb.12:                               ;   in Loop: Header=BB129_3 Depth=1
	global_load_ushort v47, v[8:9], off
	v_and_b32_e32 v48, 0x3030, v67
	v_or_b32_e32 v48, v48, v53
	s_waitcnt vmcnt(0)
	v_lshrrev_b16 v47, 2, v47
	v_and_b32_e32 v47, 0x3030, v47
	v_or_b32_e32 v47, v47, v46
.LBB129_13:                             ;   in Loop: Header=BB129_3 Depth=1
	s_andn2_saveexec_b32 s0, s0
; %bb.14:                               ;   in Loop: Header=BB129_3 Depth=1
	v_and_b32_e32 v47, 0x3f3f, v58
	v_and_b32_sdwa v48, v58, v25 dst_sel:DWORD dst_unused:UNUSED_PAD src0_sel:WORD_1 src1_sel:DWORD
; %bb.15:                               ;   in Loop: Header=BB129_3 Depth=1
	s_or_b32 exec_lo, exec_lo, s0
	v_mad_u64_u32 v[68:69], null, v6, 36, v[2:3]
                                        ; implicit-def: $vgpr63
                                        ; implicit-def: $vgpr65
	v_add_co_u32 v70, s0, v68, v45
	v_add_co_ci_u32_e64 v71, null, 0, v69, s0
	s_clause 0x5
	global_load_dword v57, v[68:69], off
	global_load_dword v66, v[70:71], off offset:4
	global_load_dword v60, v[70:71], off offset:20
	;; [unrolled: 1-line block ×5, first 2 shown]
	s_and_saveexec_b32 s0, vcc_lo
	s_xor_b32 s0, exec_lo, s0
	s_cbranch_execz .LBB129_17
; %bb.16:                               ;   in Loop: Header=BB129_3 Depth=1
	global_load_ushort v63, v[8:9], off
	v_and_b32_e32 v65, 0x3030, v67
	v_or_b32_e32 v65, v65, v53
	s_waitcnt vmcnt(0)
	v_lshrrev_b16 v63, 2, v63
	v_and_b32_e32 v63, 0x3030, v63
	v_or_b32_e32 v63, v63, v46
.LBB129_17:                             ;   in Loop: Header=BB129_3 Depth=1
	s_andn2_saveexec_b32 s0, s0
; %bb.18:                               ;   in Loop: Header=BB129_3 Depth=1
	v_and_b32_e32 v63, 0x3f3f, v58
	v_and_b32_sdwa v65, v58, v25 dst_sel:DWORD dst_unused:UNUSED_PAD src0_sel:WORD_1 src1_sel:DWORD
; %bb.19:                               ;   in Loop: Header=BB129_3 Depth=1
	s_or_b32 exec_lo, exec_lo, s0
	v_mad_u64_u32 v[68:69], null, v21, 36, v[2:3]
	v_add_co_u32 v71, s0, v68, v45
	v_add_co_ci_u32_e64 v72, null, 0, v69, s0
	s_clause 0x5
	global_load_dword v70, v[68:69], off
	global_load_dword v76, v[71:72], off offset:4
	global_load_dword v75, v[71:72], off offset:20
	;; [unrolled: 1-line block ×5, first 2 shown]
	s_and_saveexec_b32 s0, vcc_lo
	s_xor_b32 s0, exec_lo, s0
	s_cbranch_execz .LBB129_21
; %bb.20:                               ;   in Loop: Header=BB129_3 Depth=1
	global_load_ushort v61, v[8:9], off
	v_and_b32_e32 v64, 0x3030, v67
	v_or_b32_e32 v64, v64, v53
	s_waitcnt vmcnt(0)
	v_lshrrev_b16 v61, 2, v61
	v_and_b32_e32 v61, 0x3030, v61
	v_or_b32_e32 v61, v61, v46
.LBB129_21:                             ;   in Loop: Header=BB129_3 Depth=1
	s_andn2_saveexec_b32 s0, s0
	s_or_b32 exec_lo, exec_lo, s0
	v_mad_u64_u32 v[77:78], null, v7, 36, v[2:3]
                                        ; implicit-def: $vgpr53
	v_add_co_u32 v79, s0, v77, v45
	v_add_co_ci_u32_e64 v80, null, 0, v78, s0
	s_clause 0x5
	global_load_dword v45, v[77:78], off
	global_load_dword v74, v[79:80], off offset:4
	global_load_dword v72, v[79:80], off offset:20
	;; [unrolled: 1-line block ×5, first 2 shown]
	s_and_saveexec_b32 s0, vcc_lo
	s_xor_b32 s0, exec_lo, s0
	s_cbranch_execz .LBB129_23
; %bb.22:                               ;   in Loop: Header=BB129_3 Depth=1
	global_load_ushort v8, v[8:9], off
	v_pk_lshrrev_b16 v9, 4, v58 op_sel:[1,1] op_sel_hi:[0,1]
	v_and_b32_e32 v9, 0xf0f0f0f, v9
	s_waitcnt vmcnt(0)
	v_perm_b32 v8, v58, v8, 0x5040100
                                        ; implicit-def: $vgpr58
	v_pk_lshrrev_b16 v8, 2, v8 op_sel_hi:[0,1]
	v_and_or_b32 v53, 0x30303030, v8, v9
.LBB129_23:                             ;   in Loop: Header=BB129_3 Depth=1
	s_andn2_saveexec_b32 s0, s0
	s_cbranch_execz .LBB129_2
; %bb.24:                               ;   in Loop: Header=BB129_3 Depth=1
	v_and_b32_e32 v53, 0x3f3f3f3f, v58
	s_branch .LBB129_2
.LBB129_25:
	s_or_b32 exec_lo, exec_lo, s1
.LBB129_26:
	s_or_b32 exec_lo, exec_lo, s9
	s_mov_b32 s1, 0
	; wave barrier
	buffer_gl0_inv
	s_mov_b32 s0, exec_lo
	v_cmpx_eq_u32_e32 0, v1
	s_cbranch_execz .LBB129_39
; %bb.27:
	v_mbcnt_lo_u32_b32 v5, -1, 0
	s_load_dwordx2 s[4:5], s[4:5], 0x38
	s_mul_i32 s0, s14, s7
	s_mul_i32 s3, s18, s8
	s_add_i32 s0, s0, s6
	v_xor_b32_e32 v1, 16, v5
	v_xor_b32_e32 v2, 8, v5
	;; [unrolled: 1-line block ×3, first 2 shown]
	s_add_i32 s0, s0, s3
	s_lshl_b64 s[0:1], s[0:1], 2
	v_cmp_gt_i32_e32 vcc_lo, 32, v1
	v_cndmask_b32_e32 v1, v5, v1, vcc_lo
	v_cmp_gt_i32_e32 vcc_lo, 32, v2
	v_lshlrev_b32_e32 v1, 2, v1
	v_cndmask_b32_e32 v2, v5, v2, vcc_lo
	s_waitcnt lgkmcnt(0)
	s_add_u32 s0, s4, s0
	s_addc_u32 s1, s5, s1
	ds_bpermute_b32 v3, v1, v16
	v_lshlrev_b32_e32 v2, 2, v2
	s_waitcnt lgkmcnt(0)
	v_add_f32_e32 v4, v16, v3
	v_xor_b32_e32 v3, 4, v5
	ds_bpermute_b32 v6, v2, v4
	v_cmp_gt_i32_e32 vcc_lo, 32, v3
	v_cndmask_b32_e32 v3, v5, v3, vcc_lo
	v_lshlrev_b32_e32 v3, 2, v3
	s_waitcnt lgkmcnt(0)
	v_add_f32_e32 v6, v4, v6
	v_xor_b32_e32 v4, 2, v5
	ds_bpermute_b32 v7, v3, v6
	v_cmp_gt_i32_e32 vcc_lo, 32, v4
	v_cndmask_b32_e32 v4, v5, v4, vcc_lo
	v_cmp_gt_i32_e32 vcc_lo, 32, v8
	v_lshlrev_b32_e32 v4, 2, v4
	v_cndmask_b32_e32 v5, v5, v8, vcc_lo
	v_cmp_eq_u32_e32 vcc_lo, 0, v0
	v_lshlrev_b32_e32 v5, 2, v5
	s_waitcnt lgkmcnt(0)
	v_add_f32_e32 v6, v6, v7
	ds_bpermute_b32 v7, v4, v6
	s_waitcnt lgkmcnt(0)
	v_add_f32_e32 v6, v6, v7
	ds_bpermute_b32 v7, v5, v6
	s_and_saveexec_b32 s3, vcc_lo
	s_cbranch_execz .LBB129_29
; %bb.28:
	s_waitcnt lgkmcnt(0)
	v_add_f32_e32 v0, v6, v7
	v_mov_b32_e32 v6, 0
	global_store_dword v6, v0, s[0:1]
.LBB129_29:
	s_or_b32 exec_lo, exec_lo, s3
	ds_bpermute_b32 v0, v1, v14
	s_waitcnt lgkmcnt(0)
	v_add_f32_e32 v0, v14, v0
	ds_bpermute_b32 v6, v2, v0
	s_waitcnt lgkmcnt(0)
	v_add_f32_e32 v0, v0, v6
	;; [unrolled: 3-line block ×4, first 2 shown]
	ds_bpermute_b32 v6, v5, v0
	s_and_saveexec_b32 s4, vcc_lo
	s_cbranch_execz .LBB129_31
; %bb.30:
	s_mov_b32 s3, 0
	s_waitcnt lgkmcnt(0)
	v_add_f32_e32 v0, v0, v6
	s_lshl_b64 s[6:7], s[2:3], 2
	v_mov_b32_e32 v6, 0
	s_add_u32 s6, s0, s6
	s_addc_u32 s7, s1, s7
	global_store_dword v6, v0, s[6:7]
.LBB129_31:
	s_or_b32 exec_lo, exec_lo, s4
	ds_bpermute_b32 v0, v1, v13
	s_waitcnt lgkmcnt(0)
	v_add_f32_e32 v0, v13, v0
	ds_bpermute_b32 v6, v2, v0
	s_waitcnt lgkmcnt(0)
	v_add_f32_e32 v0, v0, v6
	;; [unrolled: 3-line block ×4, first 2 shown]
	ds_bpermute_b32 v6, v5, v0
	s_and_saveexec_b32 s3, vcc_lo
	s_cbranch_execz .LBB129_33
; %bb.32:
	s_lshl_b32 s4, s2, 1
	s_mov_b32 s5, 0
	s_waitcnt lgkmcnt(0)
	v_add_f32_e32 v0, v0, v6
	s_lshl_b64 s[4:5], s[4:5], 2
	v_mov_b32_e32 v6, 0
	s_add_u32 s4, s0, s4
	s_addc_u32 s5, s1, s5
	global_store_dword v6, v0, s[4:5]
.LBB129_33:
	s_or_b32 exec_lo, exec_lo, s3
	ds_bpermute_b32 v0, v1, v12
	s_waitcnt lgkmcnt(0)
	v_add_f32_e32 v0, v12, v0
	ds_bpermute_b32 v6, v2, v0
	s_waitcnt lgkmcnt(0)
	v_add_f32_e32 v0, v0, v6
	ds_bpermute_b32 v6, v3, v0
	s_waitcnt lgkmcnt(0)
	v_add_f32_e32 v0, v0, v6
	ds_bpermute_b32 v6, v4, v0
	s_waitcnt lgkmcnt(0)
	v_add_f32_e32 v0, v0, v6
	ds_bpermute_b32 v6, v5, v0
	s_and_saveexec_b32 s3, vcc_lo
	s_cbranch_execz .LBB129_35
; %bb.34:
	s_mul_i32 s4, s2, 3
	s_mov_b32 s5, 0
	s_waitcnt lgkmcnt(0)
	v_add_f32_e32 v0, v0, v6
	s_lshl_b64 s[4:5], s[4:5], 2
	v_mov_b32_e32 v6, 0
	s_add_u32 s4, s0, s4
	s_addc_u32 s5, s1, s5
	global_store_dword v6, v0, s[4:5]
.LBB129_35:
	s_or_b32 exec_lo, exec_lo, s3
	ds_bpermute_b32 v0, v1, v11
	s_waitcnt lgkmcnt(0)
	v_add_f32_e32 v0, v11, v0
	ds_bpermute_b32 v6, v2, v0
	s_waitcnt lgkmcnt(0)
	v_add_f32_e32 v0, v0, v6
	;; [unrolled: 3-line block ×4, first 2 shown]
	ds_bpermute_b32 v6, v5, v0
	s_and_saveexec_b32 s3, vcc_lo
	s_cbranch_execz .LBB129_37
; %bb.36:
	s_lshl_b32 s4, s2, 2
	s_mov_b32 s5, 0
	s_waitcnt lgkmcnt(0)
	v_add_f32_e32 v0, v0, v6
	s_lshl_b64 s[4:5], s[4:5], 2
	v_mov_b32_e32 v6, 0
	s_add_u32 s4, s0, s4
	s_addc_u32 s5, s1, s5
	global_store_dword v6, v0, s[4:5]
.LBB129_37:
	s_or_b32 exec_lo, exec_lo, s3
	ds_bpermute_b32 v0, v1, v10
	s_waitcnt lgkmcnt(0)
	v_add_f32_e32 v0, v10, v0
	ds_bpermute_b32 v1, v2, v0
	s_waitcnt lgkmcnt(0)
	v_add_f32_e32 v0, v0, v1
	;; [unrolled: 3-line block ×4, first 2 shown]
	ds_bpermute_b32 v1, v5, v0
	s_and_b32 exec_lo, exec_lo, vcc_lo
	s_cbranch_execz .LBB129_39
; %bb.38:
	s_mul_i32 s2, s2, 5
	s_mov_b32 s3, 0
	s_waitcnt lgkmcnt(0)
	v_add_f32_e32 v0, v0, v1
	s_lshl_b64 s[2:3], s[2:3], 2
	v_mov_b32_e32 v1, 0
	s_add_u32 s0, s0, s2
	s_addc_u32 s1, s1, s3
	global_store_dword v1, v0, s[0:1]
.LBB129_39:
	s_endpgm
	.section	.rodata,"a",@progbits
	.p2align	6, 0x0
	.amdhsa_kernel _ZL13mul_mat_vec_qIL9ggml_type12ELi6ELb0ELb0EEvPKvS2_PKi31ggml_cuda_mm_fusion_args_devicePfj15HIP_vector_typeIjLj3EEjjjS8_jjjS8_jjjj
		.amdhsa_group_segment_fixed_size 0
		.amdhsa_private_segment_fixed_size 0
		.amdhsa_kernarg_size 144
		.amdhsa_user_sgpr_count 6
		.amdhsa_user_sgpr_private_segment_buffer 1
		.amdhsa_user_sgpr_dispatch_ptr 0
		.amdhsa_user_sgpr_queue_ptr 0
		.amdhsa_user_sgpr_kernarg_segment_ptr 1
		.amdhsa_user_sgpr_dispatch_id 0
		.amdhsa_user_sgpr_flat_scratch_init 0
		.amdhsa_user_sgpr_private_segment_size 0
		.amdhsa_wavefront_size32 1
		.amdhsa_uses_dynamic_stack 0
		.amdhsa_system_sgpr_private_segment_wavefront_offset 0
		.amdhsa_system_sgpr_workgroup_id_x 1
		.amdhsa_system_sgpr_workgroup_id_y 1
		.amdhsa_system_sgpr_workgroup_id_z 1
		.amdhsa_system_sgpr_workgroup_info 0
		.amdhsa_system_vgpr_workitem_id 1
		.amdhsa_next_free_vgpr 81
		.amdhsa_next_free_sgpr 26
		.amdhsa_reserve_vcc 1
		.amdhsa_reserve_flat_scratch 0
		.amdhsa_float_round_mode_32 0
		.amdhsa_float_round_mode_16_64 0
		.amdhsa_float_denorm_mode_32 3
		.amdhsa_float_denorm_mode_16_64 3
		.amdhsa_dx10_clamp 1
		.amdhsa_ieee_mode 1
		.amdhsa_fp16_overflow 0
		.amdhsa_workgroup_processor_mode 1
		.amdhsa_memory_ordered 1
		.amdhsa_forward_progress 1
		.amdhsa_shared_vgpr_count 0
		.amdhsa_exception_fp_ieee_invalid_op 0
		.amdhsa_exception_fp_denorm_src 0
		.amdhsa_exception_fp_ieee_div_zero 0
		.amdhsa_exception_fp_ieee_overflow 0
		.amdhsa_exception_fp_ieee_underflow 0
		.amdhsa_exception_fp_ieee_inexact 0
		.amdhsa_exception_int_div_zero 0
	.end_amdhsa_kernel
	.section	.text._ZL13mul_mat_vec_qIL9ggml_type12ELi6ELb0ELb0EEvPKvS2_PKi31ggml_cuda_mm_fusion_args_devicePfj15HIP_vector_typeIjLj3EEjjjS8_jjjS8_jjjj,"axG",@progbits,_ZL13mul_mat_vec_qIL9ggml_type12ELi6ELb0ELb0EEvPKvS2_PKi31ggml_cuda_mm_fusion_args_devicePfj15HIP_vector_typeIjLj3EEjjjS8_jjjS8_jjjj,comdat
.Lfunc_end129:
	.size	_ZL13mul_mat_vec_qIL9ggml_type12ELi6ELb0ELb0EEvPKvS2_PKi31ggml_cuda_mm_fusion_args_devicePfj15HIP_vector_typeIjLj3EEjjjS8_jjjS8_jjjj, .Lfunc_end129-_ZL13mul_mat_vec_qIL9ggml_type12ELi6ELb0ELb0EEvPKvS2_PKi31ggml_cuda_mm_fusion_args_devicePfj15HIP_vector_typeIjLj3EEjjjS8_jjjS8_jjjj
                                        ; -- End function
	.set _ZL13mul_mat_vec_qIL9ggml_type12ELi6ELb0ELb0EEvPKvS2_PKi31ggml_cuda_mm_fusion_args_devicePfj15HIP_vector_typeIjLj3EEjjjS8_jjjS8_jjjj.num_vgpr, 81
	.set _ZL13mul_mat_vec_qIL9ggml_type12ELi6ELb0ELb0EEvPKvS2_PKi31ggml_cuda_mm_fusion_args_devicePfj15HIP_vector_typeIjLj3EEjjjS8_jjjS8_jjjj.num_agpr, 0
	.set _ZL13mul_mat_vec_qIL9ggml_type12ELi6ELb0ELb0EEvPKvS2_PKi31ggml_cuda_mm_fusion_args_devicePfj15HIP_vector_typeIjLj3EEjjjS8_jjjS8_jjjj.numbered_sgpr, 26
	.set _ZL13mul_mat_vec_qIL9ggml_type12ELi6ELb0ELb0EEvPKvS2_PKi31ggml_cuda_mm_fusion_args_devicePfj15HIP_vector_typeIjLj3EEjjjS8_jjjS8_jjjj.num_named_barrier, 0
	.set _ZL13mul_mat_vec_qIL9ggml_type12ELi6ELb0ELb0EEvPKvS2_PKi31ggml_cuda_mm_fusion_args_devicePfj15HIP_vector_typeIjLj3EEjjjS8_jjjS8_jjjj.private_seg_size, 0
	.set _ZL13mul_mat_vec_qIL9ggml_type12ELi6ELb0ELb0EEvPKvS2_PKi31ggml_cuda_mm_fusion_args_devicePfj15HIP_vector_typeIjLj3EEjjjS8_jjjS8_jjjj.uses_vcc, 1
	.set _ZL13mul_mat_vec_qIL9ggml_type12ELi6ELb0ELb0EEvPKvS2_PKi31ggml_cuda_mm_fusion_args_devicePfj15HIP_vector_typeIjLj3EEjjjS8_jjjS8_jjjj.uses_flat_scratch, 0
	.set _ZL13mul_mat_vec_qIL9ggml_type12ELi6ELb0ELb0EEvPKvS2_PKi31ggml_cuda_mm_fusion_args_devicePfj15HIP_vector_typeIjLj3EEjjjS8_jjjS8_jjjj.has_dyn_sized_stack, 0
	.set _ZL13mul_mat_vec_qIL9ggml_type12ELi6ELb0ELb0EEvPKvS2_PKi31ggml_cuda_mm_fusion_args_devicePfj15HIP_vector_typeIjLj3EEjjjS8_jjjS8_jjjj.has_recursion, 0
	.set _ZL13mul_mat_vec_qIL9ggml_type12ELi6ELb0ELb0EEvPKvS2_PKi31ggml_cuda_mm_fusion_args_devicePfj15HIP_vector_typeIjLj3EEjjjS8_jjjS8_jjjj.has_indirect_call, 0
	.section	.AMDGPU.csdata,"",@progbits
; Kernel info:
; codeLenInByte = 3772
; TotalNumSgprs: 28
; NumVgprs: 81
; ScratchSize: 0
; MemoryBound: 0
; FloatMode: 240
; IeeeMode: 1
; LDSByteSize: 0 bytes/workgroup (compile time only)
; SGPRBlocks: 0
; VGPRBlocks: 10
; NumSGPRsForWavesPerEU: 28
; NumVGPRsForWavesPerEU: 81
; Occupancy: 10
; WaveLimiterHint : 0
; COMPUTE_PGM_RSRC2:SCRATCH_EN: 0
; COMPUTE_PGM_RSRC2:USER_SGPR: 6
; COMPUTE_PGM_RSRC2:TRAP_HANDLER: 0
; COMPUTE_PGM_RSRC2:TGID_X_EN: 1
; COMPUTE_PGM_RSRC2:TGID_Y_EN: 1
; COMPUTE_PGM_RSRC2:TGID_Z_EN: 1
; COMPUTE_PGM_RSRC2:TIDIG_COMP_CNT: 1
	.section	.text._ZL13mul_mat_vec_qIL9ggml_type12ELi7ELb0ELb0EEvPKvS2_PKi31ggml_cuda_mm_fusion_args_devicePfj15HIP_vector_typeIjLj3EEjjjS8_jjjS8_jjjj,"axG",@progbits,_ZL13mul_mat_vec_qIL9ggml_type12ELi7ELb0ELb0EEvPKvS2_PKi31ggml_cuda_mm_fusion_args_devicePfj15HIP_vector_typeIjLj3EEjjjS8_jjjS8_jjjj,comdat
	.globl	_ZL13mul_mat_vec_qIL9ggml_type12ELi7ELb0ELb0EEvPKvS2_PKi31ggml_cuda_mm_fusion_args_devicePfj15HIP_vector_typeIjLj3EEjjjS8_jjjS8_jjjj ; -- Begin function _ZL13mul_mat_vec_qIL9ggml_type12ELi7ELb0ELb0EEvPKvS2_PKi31ggml_cuda_mm_fusion_args_devicePfj15HIP_vector_typeIjLj3EEjjjS8_jjjS8_jjjj
	.p2align	8
	.type	_ZL13mul_mat_vec_qIL9ggml_type12ELi7ELb0ELb0EEvPKvS2_PKi31ggml_cuda_mm_fusion_args_devicePfj15HIP_vector_typeIjLj3EEjjjS8_jjjS8_jjjj,@function
_ZL13mul_mat_vec_qIL9ggml_type12ELi7ELb0ELb0EEvPKvS2_PKi31ggml_cuda_mm_fusion_args_devicePfj15HIP_vector_typeIjLj3EEjjjS8_jjjS8_jjjj: ; @_ZL13mul_mat_vec_qIL9ggml_type12ELi7ELb0ELb0EEvPKvS2_PKi31ggml_cuda_mm_fusion_args_devicePfj15HIP_vector_typeIjLj3EEjjjS8_jjjS8_jjjj
; %bb.0:
	s_clause 0x5
	s_load_dword s9, s[4:5], 0x40
	s_load_dwordx4 s[12:15], s[4:5], 0x50
	s_load_dword s11, s[4:5], 0x60
	s_load_dwordx4 s[0:3], s[4:5], 0x68
	;; [unrolled: 2-line block ×3, first 2 shown]
	v_lshl_or_b32 v2, v1, 5, v0
	v_mov_b32_e32 v8, 0
	v_mov_b32_e32 v9, 0
	;; [unrolled: 1-line block ×4, first 2 shown]
	v_lshrrev_b32_e32 v14, 4, v2
	v_mov_b32_e32 v12, 0
	v_mov_b32_e32 v13, 0
	;; [unrolled: 1-line block ×3, first 2 shown]
	s_waitcnt lgkmcnt(0)
	s_lshr_b32 s10, s9, 8
	s_mov_b32 s9, exec_lo
	v_cmpx_gt_u32_e64 s10, v14
	s_cbranch_execz .LBB130_30
; %bb.1:
	s_load_dwordx4 s[20:23], s[4:5], 0x0
	v_bfe_u32 v2, v0, 2, 2
	s_mul_hi_u32 s15, s15, s7
	v_lshlrev_b32_e32 v4, 1, v0
	s_mul_hi_u32 s3, s3, s8
	s_mul_i32 s17, s17, s8
	v_mul_hi_u32_u24_e32 v3, 0x48, v2
	v_mul_u32_u24_e32 v2, 0x48, v2
	s_add_i32 s15, s7, s15
	s_add_i32 s3, s8, s3
	s_mul_i32 s1, s1, s7
	s_mul_hi_u32 s19, s17, 36
	v_mad_u64_u32 v[2:3], null, 0x120, v14, v[2:3]
	s_mul_i32 s17, s17, 36
	s_lshr_b32 s11, s15, s11
	s_lshr_b32 s3, s3, s24
	v_bfe_u32 v6, v4, 3, 2
	s_mul_hi_u32 s25, s1, 36
	s_mul_i32 s1, s1, 36
	v_and_b32_e32 v5, 30, v4
	s_mul_i32 s0, s11, s0
	s_waitcnt lgkmcnt(0)
	s_add_u32 s11, s22, s17
	s_mul_i32 s12, s12, s6
	s_addc_u32 s15, s23, s19
	s_mul_i32 s3, s3, s16
	s_add_u32 s16, s11, s1
	s_addc_u32 s17, s15, s25
	s_add_i32 s0, s0, s12
	v_lshlrev_b32_e32 v4, 1, v6
	s_add_i32 s3, s3, s0
	v_cmp_lt_u32_e32 vcc_lo, 15, v5
	v_add_co_u32 v5, s0, s16, v2
	v_and_b32_e32 v7, 3, v0
	v_add_co_ci_u32_e64 v9, null, s17, v3, s0
	v_mad_u64_u32 v[2:3], null, v4, 36, s[16:17]
	v_add_co_u32 v4, s0, v5, 36
	v_lshlrev_b32_e32 v16, 5, v6
	v_mov_b32_e32 v8, 0
	v_lshlrev_b32_e32 v17, 2, v7
	v_add_co_ci_u32_e64 v5, null, 0, v9, s0
	v_lshlrev_b32_e32 v18, 3, v14
	v_lshlrev_b32_e32 v19, 1, v6
	;; [unrolled: 1-line block ×3, first 2 shown]
	v_mov_b32_e32 v21, 0xf0f
	v_mov_b32_e32 v22, 0x3f3f
	;; [unrolled: 1-line block ×9, first 2 shown]
	s_lshl_b32 s11, s13, 1
	s_mul_i32 s12, s13, 3
	s_lshl_b32 s15, s13, 2
	s_mul_i32 s16, s13, 5
	s_mul_i32 s19, s13, 6
	s_mov_b32 s17, 0
	s_branch .LBB130_3
.LBB130_2:                              ;   in Loop: Header=BB130_3 Depth=1
	s_or_b32 exec_lo, exec_lo, s0
	s_waitcnt vmcnt(44)
	v_and_b32_e32 v6, 0xf0f0f0f, v54
	v_mov_b32_e32 v61, 0
	v_mov_b32_e32 v82, 0
	v_lshrrev_b32_e32 v7, 4, v54
	s_waitcnt vmcnt(43)
	v_and_b32_e32 v54, 0xf0f0f0f, v53
	v_mov_b32_e32 v83, 0
	s_waitcnt vmcnt(10)
	v_dot4c_i32_i8 v61, v6, v81
	v_dot4c_i32_i8 v82, 0x1010101, v81
	v_lshrrev_b32_e32 v53, 4, v53
	v_and_b32_e32 v7, 0xf0f0f0f, v7
	v_mov_b32_e32 v81, 0
	s_waitcnt vmcnt(7)
	v_dot4c_i32_i8 v83, 0x1010101, v79
	v_dot4c_i32_i8 v61, v54, v80
	;; [unrolled: 1-line block ×3, first 2 shown]
	v_and_b32_sdwa v80, v23, v64 dst_sel:DWORD dst_unused:UNUSED_PAD src0_sel:DWORD src1_sel:BYTE_0
	v_and_b32_e32 v53, 0xf0f0f0f, v53
	v_dot4c_i32_i8 v81, v7, v79
	s_waitcnt vmcnt(6)
	v_dot4c_i32_i8 v83, 0x1010101, v77
	v_and_b32_sdwa v79, v23, v63 dst_sel:DWORD dst_unused:UNUSED_PAD src0_sel:DWORD src1_sel:BYTE_0
	v_and_b32_sdwa v64, v23, v64 dst_sel:DWORD dst_unused:UNUSED_PAD src0_sel:DWORD src1_sel:BYTE_1
	v_mul_lo_u32 v80, v82, v80
	v_dot4c_i32_i8 v81, v53, v77
	v_and_b32_sdwa v63, v23, v63 dst_sel:DWORD dst_unused:UNUSED_PAD src0_sel:DWORD src1_sel:BYTE_1
	v_mul_lo_u32 v61, v61, v79
	v_mul_lo_u32 v64, v83, v64
	v_cvt_f32_f16_sdwa v79, v24 dst_sel:DWORD dst_unused:UNUSED_PAD src0_sel:WORD_1
	v_add_nc_u32_e32 v14, 2, v14
	v_mul_lo_u32 v63, v81, v63
	v_cvt_f32_i32_e32 v77, v80
	v_mov_b32_e32 v81, 0
	v_mov_b32_e32 v80, 0
	v_cvt_f32_i32_e32 v61, v61
	v_cvt_f32_i32_e32 v64, v64
	v_fma_mix_f32 v77, v73, v77, 0 op_sel_hi:[1,0,0]
	v_dot4c_i32_i8 v81, v7, v67
	v_cvt_f32_i32_e32 v63, v63
	v_fma_mix_f32 v61, v73, v61, 0 op_sel_hi:[1,0,0]
	v_mov_b32_e32 v73, 0
	v_fma_mix_f32 v64, v72, v64, v77 op_sel_hi:[1,0,0]
	v_dot4c_i32_i8 v81, v53, v66
	v_mov_b32_e32 v77, 0
	v_fma_mix_f32 v61, v72, v63, v61 op_sel_hi:[1,0,0]
	v_mov_b32_e32 v72, 0
	v_mul_f32_e32 v63, v64, v79
	v_mov_b32_e32 v64, 0
	s_waitcnt vmcnt(4)
	v_dot4c_i32_i8 v73, v6, v78
	v_dot4c_i32_i8 v77, 0x1010101, v78
	;; [unrolled: 1-line block ×3, first 2 shown]
	v_fma_mix_f32 v61, v61, v24, -v63 op_sel_hi:[0,1,0]
	v_dot4c_i32_i8 v64, v6, v71
	v_mov_b32_e32 v63, 0
	v_and_b32_sdwa v71, v23, v68 dst_sel:DWORD dst_unused:UNUSED_PAD src0_sel:DWORD src1_sel:BYTE_0
	v_dot4c_i32_i8 v72, 0x1010101, v70
	v_and_b32_sdwa v68, v23, v68 dst_sel:DWORD dst_unused:UNUSED_PAD src0_sel:DWORD src1_sel:BYTE_1
	v_dot4c_i32_i8 v64, v54, v70
	v_and_b32_sdwa v70, v23, v69 dst_sel:DWORD dst_unused:UNUSED_PAD src0_sel:DWORD src1_sel:BYTE_0
	v_dot4c_i32_i8 v63, 0x1010101, v67
	v_mul_lo_u32 v67, v72, v71
	v_and_b32_sdwa v69, v23, v69 dst_sel:DWORD dst_unused:UNUSED_PAD src0_sel:DWORD src1_sel:BYTE_1
	v_add_f32_e32 v9, v9, v61
	v_mul_lo_u32 v64, v64, v70
	v_dot4c_i32_i8 v63, 0x1010101, v66
	v_mov_b32_e32 v70, 0
	v_mul_lo_u32 v66, v81, v69
	v_mov_b32_e32 v69, 0
	v_cvt_f32_i32_e32 v67, v67
	v_mov_b32_e32 v61, 0
	v_dot4c_i32_i8 v70, 0x1010101, v60
	v_cvt_f32_i32_e32 v64, v64
	v_dot4c_i32_i8 v69, v6, v60
	v_mul_lo_u32 v60, v63, v68
	v_mov_b32_e32 v63, 0
	v_dot4c_i32_i8 v70, 0x1010101, v59
	v_fma_mix_f32 v64, v65, v64, 0 op_sel_hi:[1,0,0]
	v_fma_mix_f32 v65, v65, v67, 0 op_sel_hi:[1,0,0]
	v_mov_b32_e32 v67, 0
	v_dot4c_i32_i8 v69, v54, v59
	v_and_b32_sdwa v59, v23, v57 dst_sel:DWORD dst_unused:UNUSED_PAD src0_sel:DWORD src1_sel:BYTE_0
	v_dot4c_i32_i8 v63, v7, v56
	v_cvt_f32_i32_e32 v66, v66
	v_dot4c_i32_i8 v67, 0x1010101, v56
	v_and_b32_sdwa v56, v23, v58 dst_sel:DWORD dst_unused:UNUSED_PAD src0_sel:DWORD src1_sel:BYTE_0
	v_mul_lo_u32 v59, v69, v59
	v_dot4c_i32_i8 v63, v53, v55
	v_cvt_f32_i32_e32 v60, v60
	v_dot4c_i32_i8 v67, 0x1010101, v55
	v_mul_lo_u32 v55, v70, v56
	v_and_b32_sdwa v56, v23, v57 dst_sel:DWORD dst_unused:UNUSED_PAD src0_sel:DWORD src1_sel:BYTE_1
	v_and_b32_sdwa v57, v23, v58 dst_sel:DWORD dst_unused:UNUSED_PAD src0_sel:DWORD src1_sel:BYTE_1
	v_fma_mix_f32 v58, v62, v66, v64 op_sel_hi:[1,0,0]
	v_fma_mix_f32 v60, v62, v60, v65 op_sel_hi:[1,0,0]
	v_cvt_f32_i32_e32 v59, v59
	v_mul_lo_u32 v56, v63, v56
	v_mul_lo_u32 v57, v67, v57
	v_cvt_f32_i32_e32 v55, v55
	v_mov_b32_e32 v62, 0
	v_mov_b32_e32 v63, 0
	v_fma_mix_f32 v59, v50, v59, 0 op_sel_hi:[1,0,0]
	v_mul_f32_e32 v60, v60, v79
	v_fma_mix_f32 v50, v50, v55, 0 op_sel_hi:[1,0,0]
	v_cvt_f32_i32_e32 v55, v56
	v_cvt_f32_i32_e32 v56, v57
	v_dot4c_i32_i8 v62, v6, v47
	v_dot4c_i32_i8 v63, 0x1010101, v47
	v_and_b32_sdwa v57, v23, v43 dst_sel:DWORD dst_unused:UNUSED_PAD src0_sel:DWORD src1_sel:BYTE_0
	v_fma_mix_f32 v55, v51, v55, v59 op_sel_hi:[1,0,0]
	v_fma_mix_f32 v50, v51, v56, v50 op_sel_hi:[1,0,0]
	v_dot4c_i32_i8 v62, v54, v46
	v_dot4c_i32_i8 v63, 0x1010101, v46
	v_mov_b32_e32 v46, 0
	v_and_b32_sdwa v51, v23, v42 dst_sel:DWORD dst_unused:UNUSED_PAD src0_sel:DWORD src1_sel:BYTE_0
	v_mov_b32_e32 v56, 0
	v_fma_mix_f32 v47, v58, v24, -v60 op_sel_hi:[0,1,0]
	v_mul_f32_e32 v50, v50, v79
	v_dot4c_i32_i8 v46, v7, v45
	v_mul_lo_u32 v51, v62, v51
	v_dot4c_i32_i8 v56, 0x1010101, v45
	v_mul_lo_u32 v45, v63, v57
	v_add_f32_e32 v10, v10, v47
	v_fma_mix_f32 v47, v55, v24, -v50 op_sel_hi:[0,1,0]
	v_dot4c_i32_i8 v46, v53, v44
	v_dot4c_i32_i8 v56, 0x1010101, v44
	v_mov_b32_e32 v44, 0
	v_cvt_f32_i32_e32 v50, v51
	v_and_b32_sdwa v42, v23, v42 dst_sel:DWORD dst_unused:UNUSED_PAD src0_sel:DWORD src1_sel:BYTE_1
	v_cvt_f32_i32_e32 v45, v45
	v_mov_b32_e32 v51, 0
	v_dot4c_i32_i8 v44, v6, v39
	v_fma_mix_f32 v50, v41, v50, 0 op_sel_hi:[1,0,0]
	v_and_b32_sdwa v43, v23, v43 dst_sel:DWORD dst_unused:UNUSED_PAD src0_sel:DWORD src1_sel:BYTE_1
	v_fma_mix_f32 v41, v41, v45, 0 op_sel_hi:[1,0,0]
	v_mov_b32_e32 v45, 0
	v_mul_lo_u32 v42, v46, v42
	v_dot4c_i32_i8 v44, v54, v36
	v_dot4c_i32_i8 v51, 0x1010101, v39
	v_and_b32_sdwa v39, v23, v38 dst_sel:DWORD dst_unused:UNUSED_PAD src0_sel:DWORD src1_sel:BYTE_0
	v_mov_b32_e32 v46, 0
	v_dot4c_i32_i8 v45, v7, v35
	v_mul_lo_u32 v43, v56, v43
	v_dot4c_i32_i8 v51, 0x1010101, v36
	v_mul_lo_u32 v36, v44, v39
	v_dot4c_i32_i8 v46, 0x1010101, v35
	v_dot4c_i32_i8 v45, v53, v34
	v_and_b32_sdwa v35, v23, v38 dst_sel:DWORD dst_unused:UNUSED_PAD src0_sel:DWORD src1_sel:BYTE_1
	v_and_b32_sdwa v39, v23, v37 dst_sel:DWORD dst_unused:UNUSED_PAD src0_sel:DWORD src1_sel:BYTE_0
	s_waitcnt vmcnt(2)
	v_dot4c_i32_i8 v80, v7, v76
	v_cvt_f32_i32_e32 v38, v43
	v_dot4c_i32_i8 v46, 0x1010101, v34
	v_mul_lo_u32 v35, v45, v35
	v_cvt_f32_i32_e32 v34, v36
	v_and_b32_sdwa v36, v23, v37 dst_sel:DWORD dst_unused:UNUSED_PAD src0_sel:DWORD src1_sel:BYTE_1
	v_mul_lo_u32 v39, v51, v39
	v_fma_mix_f32 v38, v40, v38, v41 op_sel_hi:[1,0,0]
	v_mov_b32_e32 v41, 0
	v_fma_mix_f32 v34, v33, v34, 0 op_sel_hi:[1,0,0]
	v_mul_lo_u32 v36, v46, v36
	v_cvt_f32_i32_e32 v35, v35
	v_cvt_f32_i32_e32 v37, v42
	v_dot4c_i32_i8 v41, v6, v31
	v_cvt_f32_i32_e32 v39, v39
	v_dot4c_i32_i8 v61, 0x1010101, v76
	v_fma_mix_f32 v6, v32, v35, v34 op_sel_hi:[1,0,0]
	v_mov_b32_e32 v35, 0
	v_fma_mix_f32 v37, v40, v37, v50 op_sel_hi:[1,0,0]
	v_cvt_f32_i32_e32 v34, v36
	v_mov_b32_e32 v36, 0
	v_mov_b32_e32 v40, 0
	v_dot4c_i32_i8 v35, 0x1010101, v31
	v_fma_mix_f32 v33, v33, v39, 0 op_sel_hi:[1,0,0]
	v_dot4c_i32_i8 v41, v54, v29
	v_dot4c_i32_i8 v36, v7, v30
	;; [unrolled: 1-line block ×3, first 2 shown]
	v_and_b32_e32 v30, 0xff00ff, v52
	v_bfe_u32 v39, v28, 16, 8
	v_dot4c_i32_i8 v35, 0x1010101, v29
	v_and_b32_e32 v29, 0xff, v28
	v_dot4c_i32_i8 v77, 0x1010101, v74
	v_fma_mix_f32 v7, v32, v34, v33 op_sel_hi:[1,0,0]
	v_lshrrev_b32_e32 v32, 16, v30
	v_pk_lshrrev_b16 v33, 8, v52 op_sel_hi:[0,1]
	v_mul_lo_u32 v31, v41, v39
	v_mul_lo_u32 v29, v35, v29
	v_dot4c_i32_i8 v73, v54, v74
	s_waitcnt vmcnt(1)
	v_dot4c_i32_i8 v61, 0x1010101, v75
	v_dot4c_i32_i8 v36, v53, v27
	;; [unrolled: 1-line block ×3, first 2 shown]
	v_and_b32_sdwa v27, v23, v28 dst_sel:DWORD dst_unused:UNUSED_PAD src0_sel:DWORD src1_sel:BYTE_1
	v_and_b32_e32 v30, 0xff, v30
	v_mul_lo_u32 v32, v77, v32
	v_lshrrev_b32_e32 v34, 16, v33
	v_dot4c_i32_i8 v80, v53, v75
	v_cvt_f32_i32_e32 v31, v31
	v_lshrrev_b32_e32 v28, 24, v28
	v_cvt_f32_i32_e32 v29, v29
	v_mul_lo_u32 v27, v40, v27
	v_mul_lo_u32 v30, v73, v30
	v_and_b32_e32 v33, 0xff, v33
	v_mul_lo_u32 v34, v61, v34
	v_cvt_f32_i32_e32 v32, v32
	v_fma_mix_f32 v31, v26, v31, 0 op_sel_hi:[1,0,0]
	v_mul_lo_u32 v28, v36, v28
	v_fma_mix_f32 v26, v26, v29, 0 op_sel_hi:[1,0,0]
	v_mul_lo_u32 v29, v80, v33
	v_cvt_f32_i32_e32 v27, v27
	v_cvt_f32_i32_e32 v30, v30
	v_fma_mix_f32 v32, v48, v32, 0 op_sel_hi:[1,0,0]
	v_cvt_f32_i32_e32 v33, v34
	v_mul_f32_e32 v38, v38, v79
	v_cvt_f32_i32_e32 v28, v28
	v_fma_mix_f32 v26, v25, v27, v26 op_sel_hi:[1,0,0]
	v_fma_mix_f32 v27, v48, v30, 0 op_sel_hi:[1,0,0]
	v_cvt_f32_i32_e32 v29, v29
	s_waitcnt vmcnt(0)
	v_fma_mix_f32 v30, v49, v33, v32 op_sel_hi:[1,0,0]
	v_mul_f32_e32 v7, v7, v79
	v_fma_mix_f32 v25, v25, v28, v31 op_sel_hi:[1,0,0]
	v_mul_f32_e32 v26, v26, v79
	;; [unrolled: 2-line block ×3, first 2 shown]
	v_fma_mix_f32 v29, v37, v24, -v38 op_sel_hi:[0,1,0]
	v_fma_mix_f32 v6, v6, v24, -v7 op_sel_hi:[0,1,0]
	v_fma_mix_f32 v7, v25, v24, -v26 op_sel_hi:[0,1,0]
	v_cmp_le_u32_e64 s0, s10, v14
	v_fma_mix_f32 v24, v27, v24, -v28 op_sel_hi:[0,1,0]
	v_add_co_u32 v4, s1, 0x240, v4
	v_add_f32_e32 v11, v11, v47
	v_add_f32_e32 v12, v12, v29
	v_add_f32_e32 v13, v13, v6
	v_add_f32_e32 v15, v15, v7
	v_add_f32_e32 v8, v8, v24
	v_add_co_ci_u32_e64 v5, null, 0, v5, s1
	v_add_nc_u32_e32 v18, 16, v18
	s_or_b32 s17, s0, s17
	s_andn2_b32 exec_lo, exec_lo, s17
	s_cbranch_execz .LBB130_29
.LBB130_3:                              ; =>This Inner Loop Header: Depth=1
	v_add_nc_u32_e32 v6, s3, v14
                                        ; implicit-def: $vgpr61
	v_mad_i64_i32 v[6:7], null, 0x90, v6, s[20:21]
	v_add_co_u32 v24, s0, v6, v16
	v_add_co_ci_u32_e64 v25, null, 0, v7, s0
	v_add_co_u32 v24, s0, v24, v17
	v_add_co_ci_u32_e64 v25, null, 0, v25, s0
	;; [unrolled: 2-line block ×3, first 2 shown]
	s_clause 0x2
	global_load_dword v54, v[24:25], off offset:16
	global_load_dword v53, v[24:25], off offset:32
	global_load_dword v24, v[6:7], off
	s_clause 0x5
	global_load_dword v26, v[4:5], off offset:-36
	global_load_dword v25, v[4:5], off
	global_load_dword v31, v[27:28], off offset:-32
	global_load_dword v29, v[27:28], off offset:-16
	global_load_dword v30, v[27:28], off offset:4
	global_load_dword v27, v[27:28], off offset:20
	v_add_co_u32 v6, s0, v6, v19
	v_add_co_ci_u32_e64 v7, null, 0, v7, s0
                                        ; implicit-def: $vgpr28
	s_and_saveexec_b32 s0, vcc_lo
	s_xor_b32 s0, exec_lo, s0
	s_cbranch_execz .LBB130_5
; %bb.4:                                ;   in Loop: Header=BB130_3 Depth=1
	s_clause 0x1
	global_load_ushort v28, v[6:7], off offset:8
	global_load_ushort v32, v[6:7], off offset:4
	s_waitcnt vmcnt(1)
	v_mov_b32_e32 v33, v28
	s_waitcnt vmcnt(0)
	v_perm_b32 v61, v28, v32, 0x5040100
	global_load_short_d16_hi v33, v[6:7], off
	v_pk_lshrrev_b16 v28, 2, v61
	v_and_b32_e32 v28, 0xf0f3030, v28
	s_waitcnt vmcnt(0)
	v_pk_lshrrev_b16 v32, 0x20004, v33
	v_and_or_b32 v28, 0x30300f0f, v32, v28
.LBB130_5:                              ;   in Loop: Header=BB130_3 Depth=1
	s_andn2_saveexec_b32 s0, s0
	s_cbranch_execz .LBB130_7
; %bb.6:                                ;   in Loop: Header=BB130_3 Depth=1
	s_clause 0x1
	global_load_ushort v32, v[6:7], off offset:4
	global_load_ushort v33, v[6:7], off offset:8
	s_waitcnt vmcnt(0)
	v_perm_b32 v28, v32, v33, 0x5040100
	v_perm_b32 v61, v33, v32, 0x5040100
	v_and_b32_e32 v28, 0x3f3f3f3f, v28
.LBB130_7:                              ;   in Loop: Header=BB130_3 Depth=1
	s_or_b32 exec_lo, exec_lo, s0
	v_add_nc_u32_e32 v32, s13, v18
	v_and_b32_sdwa v48, v61, v21 dst_sel:DWORD dst_unused:UNUSED_PAD src0_sel:WORD_1 src1_sel:DWORD
	v_lshrrev_b16 v52, 2, v61
	v_mad_u64_u32 v[37:38], null, v32, 36, v[2:3]
	v_add_co_u32 v40, s0, v37, v20
	v_add_co_ci_u32_e64 v41, null, 0, v38, s0
	s_clause 0x5
	global_load_dword v33, v[37:38], off
	global_load_dword v39, v[40:41], off offset:4
	global_load_dword v36, v[40:41], off offset:20
	;; [unrolled: 1-line block ×5, first 2 shown]
	v_lshrrev_b32_e32 v37, 20, v61
                                        ; implicit-def: $vgpr38
	v_and_b32_e32 v49, 0xf0f, v37
                                        ; implicit-def: $vgpr37
	s_and_saveexec_b32 s0, vcc_lo
	s_xor_b32 s0, exec_lo, s0
	s_cbranch_execz .LBB130_9
; %bb.8:                                ;   in Loop: Header=BB130_3 Depth=1
	global_load_ushort v37, v[6:7], off
	v_and_b32_e32 v40, 0x3030, v52
	s_waitcnt vmcnt(0)
	v_lshrrev_b16 v37, 2, v37
	v_and_b32_e32 v37, 0x3030, v37
	v_or_b32_e32 v38, v37, v48
	v_or_b32_e32 v37, v40, v49
.LBB130_9:                              ;   in Loop: Header=BB130_3 Depth=1
	s_or_saveexec_b32 s0, s0
	v_and_b32_e32 v63, 0x3f3f, v61
	v_and_b32_sdwa v64, v61, v22 dst_sel:DWORD dst_unused:UNUSED_PAD src0_sel:WORD_1 src1_sel:DWORD
	s_xor_b32 exec_lo, exec_lo, s0
; %bb.10:                               ;   in Loop: Header=BB130_3 Depth=1
	v_and_b32_e32 v38, 0x3f3f, v61
	v_and_b32_sdwa v37, v61, v22 dst_sel:DWORD dst_unused:UNUSED_PAD src0_sel:WORD_1 src1_sel:DWORD
; %bb.11:                               ;   in Loop: Header=BB130_3 Depth=1
	s_or_b32 exec_lo, exec_lo, s0
	v_add_nc_u32_e32 v40, s11, v18
	v_mad_u64_u32 v[42:43], null, v40, 36, v[2:3]
	v_add_co_u32 v50, s0, v42, v20
	v_add_co_ci_u32_e64 v51, null, 0, v43, s0
	s_clause 0x5
	global_load_dword v41, v[42:43], off
	global_load_dword v47, v[50:51], off offset:4
	global_load_dword v46, v[50:51], off offset:20
	;; [unrolled: 1-line block ×5, first 2 shown]
                                        ; implicit-def: $vgpr42
                                        ; implicit-def: $vgpr43
	s_and_saveexec_b32 s0, vcc_lo
	s_xor_b32 s0, exec_lo, s0
	s_cbranch_execz .LBB130_13
; %bb.12:                               ;   in Loop: Header=BB130_3 Depth=1
	global_load_ushort v42, v[6:7], off
	v_and_b32_e32 v43, 0x3030, v52
	v_or_b32_e32 v43, v43, v49
	s_waitcnt vmcnt(0)
	v_lshrrev_b16 v42, 2, v42
	v_and_b32_e32 v42, 0x3030, v42
	v_or_b32_e32 v42, v42, v48
.LBB130_13:                             ;   in Loop: Header=BB130_3 Depth=1
	s_andn2_saveexec_b32 s0, s0
; %bb.14:                               ;   in Loop: Header=BB130_3 Depth=1
	v_and_b32_e32 v42, 0x3f3f, v61
	v_and_b32_sdwa v43, v61, v22 dst_sel:DWORD dst_unused:UNUSED_PAD src0_sel:WORD_1 src1_sel:DWORD
; %bb.15:                               ;   in Loop: Header=BB130_3 Depth=1
	s_or_b32 exec_lo, exec_lo, s0
	v_add_nc_u32_e32 v50, s12, v18
	v_mad_u64_u32 v[55:56], null, v50, 36, v[2:3]
	v_add_co_u32 v57, s0, v55, v20
	v_add_co_ci_u32_e64 v58, null, 0, v56, s0
	s_clause 0x5
	global_load_dword v50, v[55:56], off
	global_load_dword v60, v[57:58], off offset:4
	global_load_dword v59, v[57:58], off offset:20
	;; [unrolled: 1-line block ×5, first 2 shown]
                                        ; implicit-def: $vgpr57
                                        ; implicit-def: $vgpr58
	s_and_saveexec_b32 s0, vcc_lo
	s_xor_b32 s0, exec_lo, s0
	s_cbranch_execz .LBB130_17
; %bb.16:                               ;   in Loop: Header=BB130_3 Depth=1
	global_load_ushort v57, v[6:7], off
	v_and_b32_e32 v58, 0x3030, v52
	v_or_b32_e32 v58, v58, v49
	s_waitcnt vmcnt(0)
	v_lshrrev_b16 v57, 2, v57
	v_and_b32_e32 v57, 0x3030, v57
	v_or_b32_e32 v57, v57, v48
.LBB130_17:                             ;   in Loop: Header=BB130_3 Depth=1
	s_andn2_saveexec_b32 s0, s0
; %bb.18:                               ;   in Loop: Header=BB130_3 Depth=1
	v_and_b32_e32 v57, 0x3f3f, v61
	v_and_b32_sdwa v58, v61, v22 dst_sel:DWORD dst_unused:UNUSED_PAD src0_sel:WORD_1 src1_sel:DWORD
; %bb.19:                               ;   in Loop: Header=BB130_3 Depth=1
	s_or_b32 exec_lo, exec_lo, s0
	v_add_nc_u32_e32 v62, s15, v18
	v_mad_u64_u32 v[68:69], null, v62, 36, v[2:3]
	v_add_co_u32 v72, s0, v68, v20
	v_add_co_ci_u32_e64 v73, null, 0, v69, s0
	s_clause 0x5
	global_load_dword v65, v[68:69], off
	global_load_dword v71, v[72:73], off offset:4
	global_load_dword v70, v[72:73], off offset:20
	;; [unrolled: 1-line block ×5, first 2 shown]
                                        ; implicit-def: $vgpr69
                                        ; implicit-def: $vgpr68
	s_and_saveexec_b32 s0, vcc_lo
	s_xor_b32 s0, exec_lo, s0
	s_cbranch_execz .LBB130_21
; %bb.20:                               ;   in Loop: Header=BB130_3 Depth=1
	global_load_ushort v68, v[6:7], off
	v_and_b32_e32 v72, 0x3030, v52
	s_waitcnt vmcnt(0)
	v_lshrrev_b16 v68, 2, v68
	v_and_b32_e32 v68, 0x3030, v68
	v_or_b32_e32 v69, v68, v48
	v_or_b32_e32 v68, v72, v49
.LBB130_21:                             ;   in Loop: Header=BB130_3 Depth=1
	s_andn2_saveexec_b32 s0, s0
; %bb.22:                               ;   in Loop: Header=BB130_3 Depth=1
	v_and_b32_e32 v69, 0x3f3f, v61
	v_and_b32_sdwa v68, v61, v22 dst_sel:DWORD dst_unused:UNUSED_PAD src0_sel:WORD_1 src1_sel:DWORD
; %bb.23:                               ;   in Loop: Header=BB130_3 Depth=1
	s_or_b32 exec_lo, exec_lo, s0
	v_add_nc_u32_e32 v72, s16, v18
	v_mad_u64_u32 v[74:75], null, v72, 36, v[2:3]
	v_add_co_u32 v76, s0, v74, v20
	v_add_co_ci_u32_e64 v77, null, 0, v75, s0
	s_clause 0x5
	global_load_dword v73, v[74:75], off
	global_load_dword v81, v[76:77], off offset:4
	global_load_dword v80, v[76:77], off offset:20
	;; [unrolled: 1-line block ×5, first 2 shown]
	s_and_saveexec_b32 s0, vcc_lo
	s_xor_b32 s0, exec_lo, s0
	s_cbranch_execz .LBB130_25
; %bb.24:                               ;   in Loop: Header=BB130_3 Depth=1
	global_load_ushort v63, v[6:7], off
	v_and_b32_e32 v52, 0x3030, v52
	v_or_b32_e32 v64, v52, v49
	s_waitcnt vmcnt(0)
	v_lshrrev_b16 v63, 2, v63
	v_and_b32_e32 v63, 0x3030, v63
	v_or_b32_e32 v63, v63, v48
.LBB130_25:                             ;   in Loop: Header=BB130_3 Depth=1
	s_andn2_saveexec_b32 s0, s0
	s_or_b32 exec_lo, exec_lo, s0
	v_add_nc_u32_e32 v48, s19, v18
                                        ; implicit-def: $vgpr52
	v_mad_u64_u32 v[82:83], null, v48, 36, v[2:3]
	v_add_co_u32 v84, s0, v82, v20
	v_add_co_ci_u32_e64 v85, null, 0, v83, s0
	s_clause 0x5
	global_load_dword v48, v[82:83], off
	global_load_dword v78, v[84:85], off offset:4
	global_load_dword v74, v[84:85], off offset:20
	;; [unrolled: 1-line block ×5, first 2 shown]
	s_and_saveexec_b32 s0, vcc_lo
	s_xor_b32 s0, exec_lo, s0
	s_cbranch_execz .LBB130_27
; %bb.26:                               ;   in Loop: Header=BB130_3 Depth=1
	global_load_ushort v6, v[6:7], off
	v_pk_lshrrev_b16 v7, 4, v61 op_sel:[1,1] op_sel_hi:[0,1]
	v_and_b32_e32 v7, 0xf0f0f0f, v7
	s_waitcnt vmcnt(0)
	v_perm_b32 v6, v61, v6, 0x5040100
                                        ; implicit-def: $vgpr61
	v_pk_lshrrev_b16 v6, 2, v6 op_sel_hi:[0,1]
	v_and_or_b32 v52, 0x30303030, v6, v7
.LBB130_27:                             ;   in Loop: Header=BB130_3 Depth=1
	s_andn2_saveexec_b32 s0, s0
	s_cbranch_execz .LBB130_2
; %bb.28:                               ;   in Loop: Header=BB130_3 Depth=1
	v_and_b32_e32 v52, 0x3f3f3f3f, v61
	s_branch .LBB130_2
.LBB130_29:
	s_or_b32 exec_lo, exec_lo, s17
.LBB130_30:
	s_or_b32 exec_lo, exec_lo, s9
	s_mov_b32 s1, 0
	; wave barrier
	buffer_gl0_inv
	s_mov_b32 s0, exec_lo
	v_cmpx_eq_u32_e32 0, v1
	s_cbranch_execz .LBB130_45
; %bb.31:
	v_mbcnt_lo_u32_b32 v5, -1, 0
	s_load_dwordx2 s[4:5], s[4:5], 0x38
	s_mul_i32 s0, s2, s7
	s_mul_i32 s2, s18, s8
	s_add_i32 s0, s0, s6
	v_xor_b32_e32 v1, 16, v5
	v_xor_b32_e32 v2, 8, v5
	;; [unrolled: 1-line block ×3, first 2 shown]
	s_add_i32 s0, s0, s2
	s_lshl_b64 s[0:1], s[0:1], 2
	v_cmp_gt_i32_e32 vcc_lo, 32, v1
	v_cndmask_b32_e32 v1, v5, v1, vcc_lo
	v_cmp_gt_i32_e32 vcc_lo, 32, v2
	v_lshlrev_b32_e32 v1, 2, v1
	v_cndmask_b32_e32 v2, v5, v2, vcc_lo
	s_waitcnt lgkmcnt(0)
	s_add_u32 s0, s4, s0
	s_addc_u32 s1, s5, s1
	ds_bpermute_b32 v3, v1, v15
	v_lshlrev_b32_e32 v2, 2, v2
	s_waitcnt lgkmcnt(0)
	v_add_f32_e32 v4, v15, v3
	v_xor_b32_e32 v3, 4, v5
	ds_bpermute_b32 v6, v2, v4
	v_cmp_gt_i32_e32 vcc_lo, 32, v3
	v_cndmask_b32_e32 v3, v5, v3, vcc_lo
	v_lshlrev_b32_e32 v3, 2, v3
	s_waitcnt lgkmcnt(0)
	v_add_f32_e32 v6, v4, v6
	v_xor_b32_e32 v4, 2, v5
	ds_bpermute_b32 v7, v3, v6
	v_cmp_gt_i32_e32 vcc_lo, 32, v4
	v_cndmask_b32_e32 v4, v5, v4, vcc_lo
	v_cmp_gt_i32_e32 vcc_lo, 32, v14
	v_lshlrev_b32_e32 v4, 2, v4
	v_cndmask_b32_e32 v5, v5, v14, vcc_lo
	v_cmp_eq_u32_e32 vcc_lo, 0, v0
	v_lshlrev_b32_e32 v5, 2, v5
	s_waitcnt lgkmcnt(0)
	v_add_f32_e32 v6, v6, v7
	ds_bpermute_b32 v7, v4, v6
	s_waitcnt lgkmcnt(0)
	v_add_f32_e32 v6, v6, v7
	ds_bpermute_b32 v7, v5, v6
	s_and_saveexec_b32 s2, vcc_lo
	s_cbranch_execz .LBB130_33
; %bb.32:
	s_waitcnt lgkmcnt(0)
	v_add_f32_e32 v0, v6, v7
	v_mov_b32_e32 v6, 0
	global_store_dword v6, v0, s[0:1]
.LBB130_33:
	s_or_b32 exec_lo, exec_lo, s2
	ds_bpermute_b32 v0, v1, v13
	s_waitcnt lgkmcnt(0)
	v_add_f32_e32 v0, v13, v0
	ds_bpermute_b32 v6, v2, v0
	s_waitcnt lgkmcnt(0)
	v_add_f32_e32 v0, v0, v6
	;; [unrolled: 3-line block ×4, first 2 shown]
	ds_bpermute_b32 v6, v5, v0
	s_and_saveexec_b32 s2, vcc_lo
	s_cbranch_execz .LBB130_35
; %bb.34:
	s_mov_b32 s15, 0
	s_waitcnt lgkmcnt(0)
	v_add_f32_e32 v0, v0, v6
	s_lshl_b64 s[4:5], s[14:15], 2
	v_mov_b32_e32 v6, 0
	s_add_u32 s4, s0, s4
	s_addc_u32 s5, s1, s5
	global_store_dword v6, v0, s[4:5]
.LBB130_35:
	s_or_b32 exec_lo, exec_lo, s2
	ds_bpermute_b32 v0, v1, v12
	s_waitcnt lgkmcnt(0)
	v_add_f32_e32 v0, v12, v0
	ds_bpermute_b32 v6, v2, v0
	s_waitcnt lgkmcnt(0)
	v_add_f32_e32 v0, v0, v6
	ds_bpermute_b32 v6, v3, v0
	s_waitcnt lgkmcnt(0)
	v_add_f32_e32 v0, v0, v6
	ds_bpermute_b32 v6, v4, v0
	s_waitcnt lgkmcnt(0)
	v_add_f32_e32 v0, v0, v6
	ds_bpermute_b32 v6, v5, v0
	s_and_saveexec_b32 s2, vcc_lo
	s_cbranch_execz .LBB130_37
; %bb.36:
	s_lshl_b32 s4, s14, 1
	s_mov_b32 s5, 0
	s_waitcnt lgkmcnt(0)
	v_add_f32_e32 v0, v0, v6
	s_lshl_b64 s[4:5], s[4:5], 2
	v_mov_b32_e32 v6, 0
	s_add_u32 s4, s0, s4
	s_addc_u32 s5, s1, s5
	global_store_dword v6, v0, s[4:5]
.LBB130_37:
	s_or_b32 exec_lo, exec_lo, s2
	ds_bpermute_b32 v0, v1, v11
	s_waitcnt lgkmcnt(0)
	v_add_f32_e32 v0, v11, v0
	ds_bpermute_b32 v6, v2, v0
	s_waitcnt lgkmcnt(0)
	v_add_f32_e32 v0, v0, v6
	;; [unrolled: 3-line block ×4, first 2 shown]
	ds_bpermute_b32 v6, v5, v0
	s_and_saveexec_b32 s2, vcc_lo
	s_cbranch_execz .LBB130_39
; %bb.38:
	s_mul_i32 s4, s14, 3
	s_mov_b32 s5, 0
	s_waitcnt lgkmcnt(0)
	v_add_f32_e32 v0, v0, v6
	s_lshl_b64 s[4:5], s[4:5], 2
	v_mov_b32_e32 v6, 0
	s_add_u32 s4, s0, s4
	s_addc_u32 s5, s1, s5
	global_store_dword v6, v0, s[4:5]
.LBB130_39:
	s_or_b32 exec_lo, exec_lo, s2
	ds_bpermute_b32 v0, v1, v10
	s_waitcnt lgkmcnt(0)
	v_add_f32_e32 v0, v10, v0
	ds_bpermute_b32 v6, v2, v0
	s_waitcnt lgkmcnt(0)
	v_add_f32_e32 v0, v0, v6
	;; [unrolled: 3-line block ×4, first 2 shown]
	ds_bpermute_b32 v6, v5, v0
	s_and_saveexec_b32 s2, vcc_lo
	s_cbranch_execz .LBB130_41
; %bb.40:
	s_lshl_b32 s4, s14, 2
	s_mov_b32 s5, 0
	s_waitcnt lgkmcnt(0)
	v_add_f32_e32 v0, v0, v6
	s_lshl_b64 s[4:5], s[4:5], 2
	v_mov_b32_e32 v6, 0
	s_add_u32 s4, s0, s4
	s_addc_u32 s5, s1, s5
	global_store_dword v6, v0, s[4:5]
.LBB130_41:
	s_or_b32 exec_lo, exec_lo, s2
	ds_bpermute_b32 v0, v1, v9
	s_waitcnt lgkmcnt(0)
	v_add_f32_e32 v0, v9, v0
	ds_bpermute_b32 v6, v2, v0
	s_waitcnt lgkmcnt(0)
	v_add_f32_e32 v0, v0, v6
	;; [unrolled: 3-line block ×4, first 2 shown]
	ds_bpermute_b32 v6, v5, v0
	s_and_saveexec_b32 s2, vcc_lo
	s_cbranch_execz .LBB130_43
; %bb.42:
	s_mul_i32 s4, s14, 5
	s_mov_b32 s5, 0
	s_waitcnt lgkmcnt(0)
	v_add_f32_e32 v0, v0, v6
	s_lshl_b64 s[4:5], s[4:5], 2
	v_mov_b32_e32 v6, 0
	s_add_u32 s4, s0, s4
	s_addc_u32 s5, s1, s5
	global_store_dword v6, v0, s[4:5]
.LBB130_43:
	s_or_b32 exec_lo, exec_lo, s2
	ds_bpermute_b32 v0, v1, v8
	s_waitcnt lgkmcnt(0)
	v_add_f32_e32 v0, v8, v0
	ds_bpermute_b32 v1, v2, v0
	s_waitcnt lgkmcnt(0)
	v_add_f32_e32 v0, v0, v1
	;; [unrolled: 3-line block ×4, first 2 shown]
	ds_bpermute_b32 v1, v5, v0
	s_and_b32 exec_lo, exec_lo, vcc_lo
	s_cbranch_execz .LBB130_45
; %bb.44:
	s_mul_i32 s2, s14, 6
	s_mov_b32 s3, 0
	s_waitcnt lgkmcnt(0)
	v_add_f32_e32 v0, v0, v1
	s_lshl_b64 s[2:3], s[2:3], 2
	v_mov_b32_e32 v1, 0
	s_add_u32 s0, s0, s2
	s_addc_u32 s1, s1, s3
	global_store_dword v1, v0, s[0:1]
.LBB130_45:
	s_endpgm
	.section	.rodata,"a",@progbits
	.p2align	6, 0x0
	.amdhsa_kernel _ZL13mul_mat_vec_qIL9ggml_type12ELi7ELb0ELb0EEvPKvS2_PKi31ggml_cuda_mm_fusion_args_devicePfj15HIP_vector_typeIjLj3EEjjjS8_jjjS8_jjjj
		.amdhsa_group_segment_fixed_size 0
		.amdhsa_private_segment_fixed_size 0
		.amdhsa_kernarg_size 144
		.amdhsa_user_sgpr_count 6
		.amdhsa_user_sgpr_private_segment_buffer 1
		.amdhsa_user_sgpr_dispatch_ptr 0
		.amdhsa_user_sgpr_queue_ptr 0
		.amdhsa_user_sgpr_kernarg_segment_ptr 1
		.amdhsa_user_sgpr_dispatch_id 0
		.amdhsa_user_sgpr_flat_scratch_init 0
		.amdhsa_user_sgpr_private_segment_size 0
		.amdhsa_wavefront_size32 1
		.amdhsa_uses_dynamic_stack 0
		.amdhsa_system_sgpr_private_segment_wavefront_offset 0
		.amdhsa_system_sgpr_workgroup_id_x 1
		.amdhsa_system_sgpr_workgroup_id_y 1
		.amdhsa_system_sgpr_workgroup_id_z 1
		.amdhsa_system_sgpr_workgroup_info 0
		.amdhsa_system_vgpr_workitem_id 1
		.amdhsa_next_free_vgpr 86
		.amdhsa_next_free_sgpr 26
		.amdhsa_reserve_vcc 1
		.amdhsa_reserve_flat_scratch 0
		.amdhsa_float_round_mode_32 0
		.amdhsa_float_round_mode_16_64 0
		.amdhsa_float_denorm_mode_32 3
		.amdhsa_float_denorm_mode_16_64 3
		.amdhsa_dx10_clamp 1
		.amdhsa_ieee_mode 1
		.amdhsa_fp16_overflow 0
		.amdhsa_workgroup_processor_mode 1
		.amdhsa_memory_ordered 1
		.amdhsa_forward_progress 1
		.amdhsa_shared_vgpr_count 0
		.amdhsa_exception_fp_ieee_invalid_op 0
		.amdhsa_exception_fp_denorm_src 0
		.amdhsa_exception_fp_ieee_div_zero 0
		.amdhsa_exception_fp_ieee_overflow 0
		.amdhsa_exception_fp_ieee_underflow 0
		.amdhsa_exception_fp_ieee_inexact 0
		.amdhsa_exception_int_div_zero 0
	.end_amdhsa_kernel
	.section	.text._ZL13mul_mat_vec_qIL9ggml_type12ELi7ELb0ELb0EEvPKvS2_PKi31ggml_cuda_mm_fusion_args_devicePfj15HIP_vector_typeIjLj3EEjjjS8_jjjS8_jjjj,"axG",@progbits,_ZL13mul_mat_vec_qIL9ggml_type12ELi7ELb0ELb0EEvPKvS2_PKi31ggml_cuda_mm_fusion_args_devicePfj15HIP_vector_typeIjLj3EEjjjS8_jjjS8_jjjj,comdat
.Lfunc_end130:
	.size	_ZL13mul_mat_vec_qIL9ggml_type12ELi7ELb0ELb0EEvPKvS2_PKi31ggml_cuda_mm_fusion_args_devicePfj15HIP_vector_typeIjLj3EEjjjS8_jjjS8_jjjj, .Lfunc_end130-_ZL13mul_mat_vec_qIL9ggml_type12ELi7ELb0ELb0EEvPKvS2_PKi31ggml_cuda_mm_fusion_args_devicePfj15HIP_vector_typeIjLj3EEjjjS8_jjjS8_jjjj
                                        ; -- End function
	.set _ZL13mul_mat_vec_qIL9ggml_type12ELi7ELb0ELb0EEvPKvS2_PKi31ggml_cuda_mm_fusion_args_devicePfj15HIP_vector_typeIjLj3EEjjjS8_jjjS8_jjjj.num_vgpr, 86
	.set _ZL13mul_mat_vec_qIL9ggml_type12ELi7ELb0ELb0EEvPKvS2_PKi31ggml_cuda_mm_fusion_args_devicePfj15HIP_vector_typeIjLj3EEjjjS8_jjjS8_jjjj.num_agpr, 0
	.set _ZL13mul_mat_vec_qIL9ggml_type12ELi7ELb0ELb0EEvPKvS2_PKi31ggml_cuda_mm_fusion_args_devicePfj15HIP_vector_typeIjLj3EEjjjS8_jjjS8_jjjj.numbered_sgpr, 26
	.set _ZL13mul_mat_vec_qIL9ggml_type12ELi7ELb0ELb0EEvPKvS2_PKi31ggml_cuda_mm_fusion_args_devicePfj15HIP_vector_typeIjLj3EEjjjS8_jjjS8_jjjj.num_named_barrier, 0
	.set _ZL13mul_mat_vec_qIL9ggml_type12ELi7ELb0ELb0EEvPKvS2_PKi31ggml_cuda_mm_fusion_args_devicePfj15HIP_vector_typeIjLj3EEjjjS8_jjjS8_jjjj.private_seg_size, 0
	.set _ZL13mul_mat_vec_qIL9ggml_type12ELi7ELb0ELb0EEvPKvS2_PKi31ggml_cuda_mm_fusion_args_devicePfj15HIP_vector_typeIjLj3EEjjjS8_jjjS8_jjjj.uses_vcc, 1
	.set _ZL13mul_mat_vec_qIL9ggml_type12ELi7ELb0ELb0EEvPKvS2_PKi31ggml_cuda_mm_fusion_args_devicePfj15HIP_vector_typeIjLj3EEjjjS8_jjjS8_jjjj.uses_flat_scratch, 0
	.set _ZL13mul_mat_vec_qIL9ggml_type12ELi7ELb0ELb0EEvPKvS2_PKi31ggml_cuda_mm_fusion_args_devicePfj15HIP_vector_typeIjLj3EEjjjS8_jjjS8_jjjj.has_dyn_sized_stack, 0
	.set _ZL13mul_mat_vec_qIL9ggml_type12ELi7ELb0ELb0EEvPKvS2_PKi31ggml_cuda_mm_fusion_args_devicePfj15HIP_vector_typeIjLj3EEjjjS8_jjjS8_jjjj.has_recursion, 0
	.set _ZL13mul_mat_vec_qIL9ggml_type12ELi7ELb0ELb0EEvPKvS2_PKi31ggml_cuda_mm_fusion_args_devicePfj15HIP_vector_typeIjLj3EEjjjS8_jjjS8_jjjj.has_indirect_call, 0
	.section	.AMDGPU.csdata,"",@progbits
; Kernel info:
; codeLenInByte = 4248
; TotalNumSgprs: 28
; NumVgprs: 86
; ScratchSize: 0
; MemoryBound: 0
; FloatMode: 240
; IeeeMode: 1
; LDSByteSize: 0 bytes/workgroup (compile time only)
; SGPRBlocks: 0
; VGPRBlocks: 10
; NumSGPRsForWavesPerEU: 28
; NumVGPRsForWavesPerEU: 86
; Occupancy: 10
; WaveLimiterHint : 0
; COMPUTE_PGM_RSRC2:SCRATCH_EN: 0
; COMPUTE_PGM_RSRC2:USER_SGPR: 6
; COMPUTE_PGM_RSRC2:TRAP_HANDLER: 0
; COMPUTE_PGM_RSRC2:TGID_X_EN: 1
; COMPUTE_PGM_RSRC2:TGID_Y_EN: 1
; COMPUTE_PGM_RSRC2:TGID_Z_EN: 1
; COMPUTE_PGM_RSRC2:TIDIG_COMP_CNT: 1
	.section	.text._ZL13mul_mat_vec_qIL9ggml_type12ELi8ELb0ELb0EEvPKvS2_PKi31ggml_cuda_mm_fusion_args_devicePfj15HIP_vector_typeIjLj3EEjjjS8_jjjS8_jjjj,"axG",@progbits,_ZL13mul_mat_vec_qIL9ggml_type12ELi8ELb0ELb0EEvPKvS2_PKi31ggml_cuda_mm_fusion_args_devicePfj15HIP_vector_typeIjLj3EEjjjS8_jjjS8_jjjj,comdat
	.globl	_ZL13mul_mat_vec_qIL9ggml_type12ELi8ELb0ELb0EEvPKvS2_PKi31ggml_cuda_mm_fusion_args_devicePfj15HIP_vector_typeIjLj3EEjjjS8_jjjS8_jjjj ; -- Begin function _ZL13mul_mat_vec_qIL9ggml_type12ELi8ELb0ELb0EEvPKvS2_PKi31ggml_cuda_mm_fusion_args_devicePfj15HIP_vector_typeIjLj3EEjjjS8_jjjS8_jjjj
	.p2align	8
	.type	_ZL13mul_mat_vec_qIL9ggml_type12ELi8ELb0ELb0EEvPKvS2_PKi31ggml_cuda_mm_fusion_args_devicePfj15HIP_vector_typeIjLj3EEjjjS8_jjjS8_jjjj,@function
_ZL13mul_mat_vec_qIL9ggml_type12ELi8ELb0ELb0EEvPKvS2_PKi31ggml_cuda_mm_fusion_args_devicePfj15HIP_vector_typeIjLj3EEjjjS8_jjjS8_jjjj: ; @_ZL13mul_mat_vec_qIL9ggml_type12ELi8ELb0ELb0EEvPKvS2_PKi31ggml_cuda_mm_fusion_args_devicePfj15HIP_vector_typeIjLj3EEjjjS8_jjjS8_jjjj
; %bb.0:
	s_clause 0x5
	s_load_dword s9, s[4:5], 0x40
	s_load_dwordx4 s[12:15], s[4:5], 0x50
	s_load_dword s11, s[4:5], 0x60
	s_load_dwordx4 s[0:3], s[4:5], 0x68
	;; [unrolled: 2-line block ×3, first 2 shown]
	v_lshl_or_b32 v2, v1, 5, v0
	v_mov_b32_e32 v8, 0
	v_mov_b32_e32 v9, 0
	;; [unrolled: 1-line block ×4, first 2 shown]
	v_lshrrev_b32_e32 v15, 4, v2
	v_mov_b32_e32 v12, 0
	v_mov_b32_e32 v13, 0
	;; [unrolled: 1-line block ×4, first 2 shown]
	s_waitcnt lgkmcnt(0)
	s_lshr_b32 s10, s9, 8
	s_mov_b32 s9, exec_lo
	v_cmpx_gt_u32_e64 s10, v15
	s_cbranch_execz .LBB131_34
; %bb.1:
	s_load_dwordx4 s[20:23], s[4:5], 0x0
	v_bfe_u32 v2, v0, 2, 2
	s_mul_hi_u32 s15, s15, s7
	v_lshlrev_b32_e32 v4, 1, v0
	s_mul_hi_u32 s3, s3, s8
	s_mul_i32 s17, s17, s8
	v_mul_hi_u32_u24_e32 v3, 0x48, v2
	v_mul_u32_u24_e32 v2, 0x48, v2
	s_add_i32 s15, s7, s15
	s_add_i32 s3, s8, s3
	s_mul_i32 s1, s1, s7
	s_mul_hi_u32 s19, s17, 36
	v_mad_u64_u32 v[2:3], null, 0x120, v15, v[2:3]
	s_mul_i32 s17, s17, 36
	s_lshr_b32 s11, s15, s11
	s_lshr_b32 s3, s3, s24
	v_bfe_u32 v6, v4, 3, 2
	s_mul_hi_u32 s25, s1, 36
	s_mul_i32 s1, s1, 36
	v_and_b32_e32 v5, 30, v4
	s_mul_i32 s0, s11, s0
	s_waitcnt lgkmcnt(0)
	s_add_u32 s11, s22, s17
	s_mul_i32 s12, s12, s6
	s_addc_u32 s15, s23, s19
	s_mul_i32 s3, s3, s16
	s_add_u32 s16, s11, s1
	s_addc_u32 s17, s15, s25
	s_add_i32 s0, s0, s12
	v_lshlrev_b32_e32 v4, 1, v6
	s_add_i32 s3, s3, s0
	v_cmp_lt_u32_e32 vcc_lo, 15, v5
	v_add_co_u32 v5, s0, s16, v2
	v_and_b32_e32 v17, 3, v0
	v_add_co_ci_u32_e64 v7, null, s17, v3, s0
	v_mad_u64_u32 v[2:3], null, v4, 36, s[16:17]
	v_add_co_u32 v4, s0, v5, 36
	v_lshlrev_b32_e32 v18, 5, v6
	v_mov_b32_e32 v8, 0
	v_lshlrev_b32_e32 v19, 2, v17
	v_add_co_ci_u32_e64 v5, null, 0, v7, s0
	v_lshlrev_b32_e32 v20, 3, v15
	v_lshlrev_b32_e32 v21, 1, v6
	v_mov_b32_e32 v22, 0xf0f
	v_mov_b32_e32 v23, 0x3f3f
	;; [unrolled: 1-line block ×10, first 2 shown]
	s_lshl_b32 s11, s13, 1
	s_mul_i32 s12, s13, 3
	s_lshl_b32 s15, s13, 2
	s_mul_i32 s16, s13, 5
	s_mul_i32 s17, s13, 6
	;; [unrolled: 1-line block ×3, first 2 shown]
	s_mov_b32 s19, 0
	s_branch .LBB131_3
.LBB131_2:                              ;   in Loop: Header=BB131_3 Depth=1
	s_or_b32 exec_lo, exec_lo, s0
	s_waitcnt vmcnt(50)
	v_and_b32_e32 v6, 0xf0f0f0f, v62
	v_mov_b32_e32 v64, 0
	v_mov_b32_e32 v91, 0
	v_lshrrev_b32_e32 v7, 4, v62
	s_waitcnt vmcnt(49)
	v_and_b32_e32 v62, 0xf0f0f0f, v60
	v_mov_b32_e32 v92, 0
	s_waitcnt vmcnt(10)
	v_dot4c_i32_i8 v64, v6, v90
	v_dot4c_i32_i8 v91, 0x1010101, v90
	v_lshrrev_b32_e32 v60, 4, v60
	v_and_b32_e32 v7, 0xf0f0f0f, v7
	v_mov_b32_e32 v90, 0
	s_waitcnt vmcnt(8)
	v_dot4c_i32_i8 v92, 0x1010101, v88
	v_dot4c_i32_i8 v64, v62, v89
	;; [unrolled: 1-line block ×3, first 2 shown]
	v_and_b32_sdwa v89, v24, v70 dst_sel:DWORD dst_unused:UNUSED_PAD src0_sel:DWORD src1_sel:BYTE_0
	v_and_b32_e32 v60, 0xf0f0f0f, v60
	v_dot4c_i32_i8 v90, v7, v88
	s_waitcnt vmcnt(7)
	v_dot4c_i32_i8 v92, 0x1010101, v87
	v_and_b32_sdwa v88, v24, v68 dst_sel:DWORD dst_unused:UNUSED_PAD src0_sel:DWORD src1_sel:BYTE_0
	v_and_b32_sdwa v70, v24, v70 dst_sel:DWORD dst_unused:UNUSED_PAD src0_sel:DWORD src1_sel:BYTE_1
	v_mul_lo_u32 v89, v91, v89
	v_dot4c_i32_i8 v90, v60, v87
	v_and_b32_sdwa v68, v24, v68 dst_sel:DWORD dst_unused:UNUSED_PAD src0_sel:DWORD src1_sel:BYTE_1
	v_mul_lo_u32 v64, v64, v88
	v_mul_lo_u32 v70, v92, v70
	v_cvt_f32_f16_sdwa v88, v25 dst_sel:DWORD dst_unused:UNUSED_PAD src0_sel:WORD_1
	v_add_nc_u32_e32 v15, 2, v15
	v_mul_lo_u32 v68, v90, v68
	v_cvt_f32_i32_e32 v87, v89
	v_mov_b32_e32 v90, 0
	v_mov_b32_e32 v89, 0
	v_cvt_f32_i32_e32 v64, v64
	v_cvt_f32_i32_e32 v70, v70
	v_fma_mix_f32 v87, v85, v87, 0 op_sel_hi:[1,0,0]
	v_dot4c_i32_i8 v90, 0x1010101, v78
	v_cvt_f32_i32_e32 v68, v68
	v_fma_mix_f32 v64, v85, v64, 0 op_sel_hi:[1,0,0]
	v_mov_b32_e32 v85, 0
	s_waitcnt vmcnt(6)
	v_fma_mix_f32 v70, v84, v70, v87 op_sel_hi:[1,0,0]
	v_dot4c_i32_i8 v90, 0x1010101, v76
	v_mov_b32_e32 v87, 0
	v_fma_mix_f32 v64, v84, v68, v64 op_sel_hi:[1,0,0]
	v_mov_b32_e32 v84, 0
	v_mul_f32_e32 v68, v70, v88
	v_mov_b32_e32 v70, 0
	s_waitcnt vmcnt(4)
	v_dot4c_i32_i8 v85, v6, v86
	v_dot4c_i32_i8 v87, 0x1010101, v86
	;; [unrolled: 1-line block ×3, first 2 shown]
	v_fma_mix_f32 v64, v64, v25, -v68 op_sel_hi:[0,1,0]
	v_dot4c_i32_i8 v70, v6, v81
	v_and_b32_sdwa v68, v24, v80 dst_sel:DWORD dst_unused:UNUSED_PAD src0_sel:DWORD src1_sel:BYTE_0
	s_waitcnt vmcnt(3)
	v_dot4c_i32_i8 v87, 0x1010101, v83
	v_dot4c_i32_i8 v84, 0x1010101, v77
	v_add_f32_e32 v9, v9, v64
	v_mov_b32_e32 v64, 0
	v_dot4c_i32_i8 v70, v62, v77
	v_and_b32_sdwa v77, v24, v79 dst_sel:DWORD dst_unused:UNUSED_PAD src0_sel:DWORD src1_sel:BYTE_0
	v_mul_lo_u32 v68, v84, v68
	s_waitcnt vmcnt(2)
	v_dot4c_i32_i8 v89, v7, v82
	v_dot4c_i32_i8 v64, v7, v78
	v_and_b32_sdwa v78, v24, v80 dst_sel:DWORD dst_unused:UNUSED_PAD src0_sel:DWORD src1_sel:BYTE_1
	v_mul_lo_u32 v70, v70, v77
	v_mov_b32_e32 v80, 0
	v_dot4c_i32_i8 v85, v62, v83
	v_dot4c_i32_i8 v64, v60, v76
	v_and_b32_sdwa v76, v24, v79 dst_sel:DWORD dst_unused:UNUSED_PAD src0_sel:DWORD src1_sel:BYTE_1
	v_mul_lo_u32 v77, v90, v78
	v_cvt_f32_i32_e32 v68, v68
	v_mov_b32_e32 v78, 0
	v_cvt_f32_i32_e32 v70, v70
	v_mul_lo_u32 v64, v64, v76
	v_dot4c_i32_i8 v80, 0x1010101, v82
	v_fma_mix_f32 v68, v73, v68, 0 op_sel_hi:[1,0,0]
	v_dot4c_i32_i8 v78, 0x1010101, v72
	v_cvt_f32_i32_e32 v76, v77
	v_mov_b32_e32 v77, 0
	v_fma_mix_f32 v70, v73, v70, 0 op_sel_hi:[1,0,0]
	v_and_b32_sdwa v73, v24, v67 dst_sel:DWORD dst_unused:UNUSED_PAD src0_sel:DWORD src1_sel:BYTE_0
	v_cvt_f32_i32_e32 v64, v64
	v_fma_mix_f32 v68, v74, v76, v68 op_sel_hi:[1,0,0]
	v_dot4c_i32_i8 v77, v6, v72
	v_mov_b32_e32 v72, 0
	v_dot4c_i32_i8 v78, 0x1010101, v71
	v_fma_mix_f32 v64, v74, v64, v70 op_sel_hi:[1,0,0]
	v_mul_f32_e32 v68, v68, v88
	v_dot4c_i32_i8 v77, v62, v71
	v_mov_b32_e32 v70, 0
	v_and_b32_sdwa v71, v24, v69 dst_sel:DWORD dst_unused:UNUSED_PAD src0_sel:DWORD src1_sel:BYTE_0
	v_dot4c_i32_i8 v72, v7, v66
	v_fma_mix_f32 v64, v64, v25, -v68 op_sel_hi:[0,1,0]
	v_mul_lo_u32 v68, v78, v73
	v_dot4c_i32_i8 v70, 0x1010101, v66
	v_mul_lo_u32 v66, v77, v71
	v_dot4c_i32_i8 v72, v60, v65
	v_and_b32_sdwa v69, v24, v69 dst_sel:DWORD dst_unused:UNUSED_PAD src0_sel:DWORD src1_sel:BYTE_1
	v_add_f32_e32 v10, v10, v64
	v_dot4c_i32_i8 v70, 0x1010101, v65
	v_and_b32_sdwa v67, v24, v67 dst_sel:DWORD dst_unused:UNUSED_PAD src0_sel:DWORD src1_sel:BYTE_1
	s_waitcnt vmcnt(1)
	v_dot4c_i32_i8 v80, 0x1010101, v75
	v_mul_lo_u32 v64, v72, v69
	v_cvt_f32_i32_e32 v65, v66
	v_cvt_f32_i32_e32 v66, v68
	v_mov_b32_e32 v68, 0
	v_mov_b32_e32 v69, 0
	v_dot4c_i32_i8 v89, v60, v75
	v_fma_mix_f32 v65, v63, v65, 0 op_sel_hi:[1,0,0]
	v_fma_mix_f32 v63, v63, v66, 0 op_sel_hi:[1,0,0]
	v_dot4c_i32_i8 v68, v6, v58
	v_dot4c_i32_i8 v69, 0x1010101, v58
	v_mul_lo_u32 v58, v70, v67
	v_mov_b32_e32 v66, 0
	v_mov_b32_e32 v67, 0
	v_dot4c_i32_i8 v68, v62, v57
	v_dot4c_i32_i8 v69, 0x1010101, v57
	v_and_b32_sdwa v57, v24, v55 dst_sel:DWORD dst_unused:UNUSED_PAD src0_sel:DWORD src1_sel:BYTE_0
	v_dot4c_i32_i8 v66, v7, v54
	v_dot4c_i32_i8 v67, 0x1010101, v54
	v_and_b32_sdwa v54, v24, v56 dst_sel:DWORD dst_unused:UNUSED_PAD src0_sel:DWORD src1_sel:BYTE_0
	v_cvt_f32_i32_e32 v64, v64
	v_mul_lo_u32 v57, v68, v57
	v_dot4c_i32_i8 v66, v60, v53
	v_dot4c_i32_i8 v67, 0x1010101, v53
	v_mul_lo_u32 v53, v69, v54
	v_and_b32_sdwa v54, v24, v55 dst_sel:DWORD dst_unused:UNUSED_PAD src0_sel:DWORD src1_sel:BYTE_1
	v_and_b32_sdwa v55, v24, v56 dst_sel:DWORD dst_unused:UNUSED_PAD src0_sel:DWORD src1_sel:BYTE_1
	v_cvt_f32_i32_e32 v58, v58
	v_fma_mix_f32 v56, v61, v64, v65 op_sel_hi:[1,0,0]
	v_cvt_f32_i32_e32 v57, v57
	v_mul_lo_u32 v54, v66, v54
	v_mul_lo_u32 v55, v67, v55
	v_fma_mix_f32 v58, v61, v58, v63 op_sel_hi:[1,0,0]
	v_cvt_f32_i32_e32 v53, v53
	v_mov_b32_e32 v61, 0
	v_mov_b32_e32 v63, 0
	v_fma_mix_f32 v57, v49, v57, 0 op_sel_hi:[1,0,0]
	v_mul_f32_e32 v58, v58, v88
	v_fma_mix_f32 v49, v49, v53, 0 op_sel_hi:[1,0,0]
	v_cvt_f32_i32_e32 v53, v54
	v_cvt_f32_i32_e32 v54, v55
	v_dot4c_i32_i8 v61, v6, v48
	v_dot4c_i32_i8 v63, 0x1010101, v48
	v_and_b32_sdwa v55, v24, v44 dst_sel:DWORD dst_unused:UNUSED_PAD src0_sel:DWORD src1_sel:BYTE_0
	v_fma_mix_f32 v53, v50, v53, v57 op_sel_hi:[1,0,0]
	v_fma_mix_f32 v49, v50, v54, v49 op_sel_hi:[1,0,0]
	v_dot4c_i32_i8 v61, v62, v47
	v_dot4c_i32_i8 v63, 0x1010101, v47
	v_mov_b32_e32 v47, 0
	v_and_b32_sdwa v50, v24, v43 dst_sel:DWORD dst_unused:UNUSED_PAD src0_sel:DWORD src1_sel:BYTE_0
	v_mov_b32_e32 v54, 0
	v_fma_mix_f32 v48, v56, v25, -v58 op_sel_hi:[0,1,0]
	v_mul_f32_e32 v49, v49, v88
	v_dot4c_i32_i8 v47, v7, v46
	v_mul_lo_u32 v50, v61, v50
	v_dot4c_i32_i8 v54, 0x1010101, v46
	v_mul_lo_u32 v46, v63, v55
	v_add_f32_e32 v11, v11, v48
	v_fma_mix_f32 v48, v53, v25, -v49 op_sel_hi:[0,1,0]
	v_dot4c_i32_i8 v47, v60, v45
	v_dot4c_i32_i8 v54, 0x1010101, v45
	v_mov_b32_e32 v45, 0
	v_cvt_f32_i32_e32 v49, v50
	v_and_b32_sdwa v43, v24, v43 dst_sel:DWORD dst_unused:UNUSED_PAD src0_sel:DWORD src1_sel:BYTE_1
	v_cvt_f32_i32_e32 v46, v46
	v_mov_b32_e32 v50, 0
	v_dot4c_i32_i8 v45, v6, v40
	v_fma_mix_f32 v49, v42, v49, 0 op_sel_hi:[1,0,0]
	v_and_b32_sdwa v44, v24, v44 dst_sel:DWORD dst_unused:UNUSED_PAD src0_sel:DWORD src1_sel:BYTE_1
	v_fma_mix_f32 v42, v42, v46, 0 op_sel_hi:[1,0,0]
	v_mov_b32_e32 v46, 0
	v_mul_lo_u32 v43, v47, v43
	v_dot4c_i32_i8 v45, v62, v37
	v_dot4c_i32_i8 v50, 0x1010101, v40
	v_and_b32_sdwa v40, v24, v39 dst_sel:DWORD dst_unused:UNUSED_PAD src0_sel:DWORD src1_sel:BYTE_0
	v_mov_b32_e32 v47, 0
	v_dot4c_i32_i8 v46, v7, v36
	v_mul_lo_u32 v44, v54, v44
	v_dot4c_i32_i8 v50, 0x1010101, v37
	v_mul_lo_u32 v37, v45, v40
	v_dot4c_i32_i8 v47, 0x1010101, v36
	v_dot4c_i32_i8 v46, v60, v35
	v_and_b32_sdwa v36, v24, v39 dst_sel:DWORD dst_unused:UNUSED_PAD src0_sel:DWORD src1_sel:BYTE_1
	v_and_b32_sdwa v40, v24, v38 dst_sel:DWORD dst_unused:UNUSED_PAD src0_sel:DWORD src1_sel:BYTE_0
	v_cmp_le_u32_e64 s0, s10, v15
	v_cvt_f32_i32_e32 v39, v44
	v_dot4c_i32_i8 v47, 0x1010101, v35
	v_mul_lo_u32 v36, v46, v36
	v_cvt_f32_i32_e32 v35, v37
	v_and_b32_sdwa v37, v24, v38 dst_sel:DWORD dst_unused:UNUSED_PAD src0_sel:DWORD src1_sel:BYTE_1
	v_mul_lo_u32 v40, v50, v40
	v_fma_mix_f32 v39, v41, v39, v42 op_sel_hi:[1,0,0]
	v_mov_b32_e32 v42, 0
	v_fma_mix_f32 v35, v34, v35, 0 op_sel_hi:[1,0,0]
	v_mul_lo_u32 v37, v47, v37
	v_cvt_f32_i32_e32 v36, v36
	v_cvt_f32_i32_e32 v38, v43
	v_dot4c_i32_i8 v42, v6, v32
	v_cvt_f32_i32_e32 v40, v40
	v_mul_f32_e32 v39, v39, v88
	v_fma_mix_f32 v6, v33, v36, v35 op_sel_hi:[1,0,0]
	v_mov_b32_e32 v36, 0
	v_fma_mix_f32 v38, v41, v38, v49 op_sel_hi:[1,0,0]
	v_cvt_f32_i32_e32 v35, v37
	v_mov_b32_e32 v37, 0
	v_mov_b32_e32 v41, 0
	v_dot4c_i32_i8 v36, 0x1010101, v32
	v_fma_mix_f32 v34, v34, v40, 0 op_sel_hi:[1,0,0]
	v_dot4c_i32_i8 v42, v62, v30
	v_dot4c_i32_i8 v37, v7, v31
	;; [unrolled: 1-line block ×3, first 2 shown]
	v_and_b32_e32 v31, 0xff00ff, v59
	v_bfe_u32 v40, v29, 16, 8
	v_dot4c_i32_i8 v36, 0x1010101, v30
	v_and_b32_e32 v30, 0xff, v29
	v_fma_mix_f32 v7, v33, v35, v34 op_sel_hi:[1,0,0]
	v_lshrrev_b32_e32 v33, 16, v31
	v_pk_lshrrev_b16 v34, 8, v59 op_sel_hi:[0,1]
	v_mul_lo_u32 v32, v42, v40
	v_mul_lo_u32 v30, v36, v30
	v_dot4c_i32_i8 v37, v60, v28
	v_dot4c_i32_i8 v41, 0x1010101, v28
	v_and_b32_sdwa v28, v24, v29 dst_sel:DWORD dst_unused:UNUSED_PAD src0_sel:DWORD src1_sel:BYTE_1
	v_and_b32_e32 v31, 0xff, v31
	v_mul_lo_u32 v33, v87, v33
	v_lshrrev_b32_e32 v35, 16, v34
	v_cvt_f32_i32_e32 v32, v32
	v_lshrrev_b32_e32 v29, 24, v29
	v_cvt_f32_i32_e32 v30, v30
	v_mul_lo_u32 v28, v41, v28
	v_mul_lo_u32 v31, v85, v31
	v_and_b32_e32 v34, 0xff, v34
	v_mul_lo_u32 v35, v80, v35
	v_cvt_f32_i32_e32 v33, v33
	v_fma_mix_f32 v32, v27, v32, 0 op_sel_hi:[1,0,0]
	v_mul_lo_u32 v29, v37, v29
	v_fma_mix_f32 v27, v27, v30, 0 op_sel_hi:[1,0,0]
	v_mul_lo_u32 v30, v89, v34
	v_cvt_f32_i32_e32 v28, v28
	v_cvt_f32_i32_e32 v31, v31
	v_fma_mix_f32 v33, v51, v33, 0 op_sel_hi:[1,0,0]
	v_cvt_f32_i32_e32 v34, v35
	v_mul_f32_e32 v7, v7, v88
	v_cvt_f32_i32_e32 v29, v29
	v_fma_mix_f32 v27, v26, v28, v27 op_sel_hi:[1,0,0]
	v_fma_mix_f32 v28, v51, v31, 0 op_sel_hi:[1,0,0]
	v_cvt_f32_i32_e32 v30, v30
	s_waitcnt vmcnt(0)
	v_fma_mix_f32 v31, v52, v34, v33 op_sel_hi:[1,0,0]
	v_fma_mix_f32 v26, v26, v29, v32 op_sel_hi:[1,0,0]
	v_mul_f32_e32 v27, v27, v88
	v_fma_mix_f32 v6, v6, v25, -v7 op_sel_hi:[0,1,0]
	v_fma_mix_f32 v28, v52, v30, v28 op_sel_hi:[1,0,0]
	v_mul_f32_e32 v29, v31, v88
	v_fma_mix_f32 v30, v38, v25, -v39 op_sel_hi:[0,1,0]
	v_fma_mix_f32 v7, v26, v25, -v27 op_sel_hi:[0,1,0]
	v_add_co_u32 v4, s1, 0x240, v4
	v_fma_mix_f32 v25, v28, v25, -v29 op_sel_hi:[0,1,0]
	v_add_f32_e32 v12, v12, v48
	v_add_f32_e32 v13, v13, v30
	;; [unrolled: 1-line block ×5, first 2 shown]
	v_add_co_ci_u32_e64 v5, null, 0, v5, s1
	v_add_nc_u32_e32 v20, 16, v20
	s_or_b32 s19, s0, s19
	s_andn2_b32 exec_lo, exec_lo, s19
	s_cbranch_execz .LBB131_33
.LBB131_3:                              ; =>This Inner Loop Header: Depth=1
	v_add_nc_u32_e32 v6, s3, v15
                                        ; implicit-def: $vgpr64
	v_mad_i64_i32 v[6:7], null, 0x90, v6, s[20:21]
	v_add_co_u32 v25, s0, v6, v18
	v_add_co_ci_u32_e64 v26, null, 0, v7, s0
	v_add_co_u32 v25, s0, v25, v19
	v_add_co_ci_u32_e64 v26, null, 0, v26, s0
	;; [unrolled: 2-line block ×3, first 2 shown]
	s_clause 0x2
	global_load_dword v62, v[25:26], off offset:16
	global_load_dword v60, v[25:26], off offset:32
	global_load_dword v25, v[6:7], off
	s_clause 0x5
	global_load_dword v27, v[4:5], off offset:-36
	global_load_dword v26, v[4:5], off
	global_load_dword v32, v[28:29], off offset:-32
	global_load_dword v30, v[28:29], off offset:-16
	global_load_dword v31, v[28:29], off offset:4
	global_load_dword v28, v[28:29], off offset:20
	v_add_co_u32 v6, s0, v6, v21
	v_add_co_ci_u32_e64 v7, null, 0, v7, s0
                                        ; implicit-def: $vgpr29
	s_and_saveexec_b32 s0, vcc_lo
	s_xor_b32 s0, exec_lo, s0
	s_cbranch_execz .LBB131_5
; %bb.4:                                ;   in Loop: Header=BB131_3 Depth=1
	s_clause 0x1
	global_load_ushort v29, v[6:7], off offset:8
	global_load_ushort v33, v[6:7], off offset:4
	s_waitcnt vmcnt(1)
	v_mov_b32_e32 v34, v29
	s_waitcnt vmcnt(0)
	v_perm_b32 v64, v29, v33, 0x5040100
	global_load_short_d16_hi v34, v[6:7], off
	v_pk_lshrrev_b16 v29, 2, v64
	v_and_b32_e32 v29, 0xf0f3030, v29
	s_waitcnt vmcnt(0)
	v_pk_lshrrev_b16 v33, 0x20004, v34
	v_and_or_b32 v29, 0x30300f0f, v33, v29
.LBB131_5:                              ;   in Loop: Header=BB131_3 Depth=1
	s_andn2_saveexec_b32 s0, s0
	s_cbranch_execz .LBB131_7
; %bb.6:                                ;   in Loop: Header=BB131_3 Depth=1
	s_clause 0x1
	global_load_ushort v33, v[6:7], off offset:4
	global_load_ushort v34, v[6:7], off offset:8
	s_waitcnt vmcnt(0)
	v_perm_b32 v29, v33, v34, 0x5040100
	v_perm_b32 v64, v34, v33, 0x5040100
	v_and_b32_e32 v29, 0x3f3f3f3f, v29
.LBB131_7:                              ;   in Loop: Header=BB131_3 Depth=1
	s_or_b32 exec_lo, exec_lo, s0
	v_add_nc_u32_e32 v33, s13, v20
	v_lshlrev_b32_e32 v51, 2, v17
	v_and_b32_sdwa v52, v64, v22 dst_sel:DWORD dst_unused:UNUSED_PAD src0_sel:WORD_1 src1_sel:DWORD
	v_lshrrev_b16 v75, 2, v64
	v_mad_u64_u32 v[38:39], null, v33, 36, v[2:3]
	v_add_co_u32 v41, s0, v38, v51
	v_add_co_ci_u32_e64 v42, null, 0, v39, s0
	s_clause 0x5
	global_load_dword v34, v[38:39], off
	global_load_dword v40, v[41:42], off offset:4
	global_load_dword v37, v[41:42], off offset:20
	;; [unrolled: 1-line block ×5, first 2 shown]
	v_lshrrev_b32_e32 v38, 20, v64
                                        ; implicit-def: $vgpr39
	v_and_b32_e32 v59, 0xf0f, v38
                                        ; implicit-def: $vgpr38
	s_and_saveexec_b32 s0, vcc_lo
	s_xor_b32 s0, exec_lo, s0
	s_cbranch_execz .LBB131_9
; %bb.8:                                ;   in Loop: Header=BB131_3 Depth=1
	global_load_ushort v38, v[6:7], off
	v_and_b32_e32 v41, 0x3030, v75
	s_waitcnt vmcnt(0)
	v_lshrrev_b16 v38, 2, v38
	v_and_b32_e32 v38, 0x3030, v38
	v_or_b32_e32 v39, v38, v52
	v_or_b32_e32 v38, v41, v59
.LBB131_9:                              ;   in Loop: Header=BB131_3 Depth=1
	s_or_saveexec_b32 s0, s0
	v_and_b32_e32 v68, 0x3f3f, v64
	v_and_b32_sdwa v70, v64, v23 dst_sel:DWORD dst_unused:UNUSED_PAD src0_sel:WORD_1 src1_sel:DWORD
	s_xor_b32 exec_lo, exec_lo, s0
; %bb.10:                               ;   in Loop: Header=BB131_3 Depth=1
	v_and_b32_e32 v39, 0x3f3f, v64
	v_and_b32_sdwa v38, v64, v23 dst_sel:DWORD dst_unused:UNUSED_PAD src0_sel:WORD_1 src1_sel:DWORD
; %bb.11:                               ;   in Loop: Header=BB131_3 Depth=1
	s_or_b32 exec_lo, exec_lo, s0
	v_add_nc_u32_e32 v41, s11, v20
	v_mad_u64_u32 v[43:44], null, v41, 36, v[2:3]
	v_add_co_u32 v49, s0, v43, v51
	v_add_co_ci_u32_e64 v50, null, 0, v44, s0
	s_clause 0x5
	global_load_dword v42, v[43:44], off
	global_load_dword v48, v[49:50], off offset:4
	global_load_dword v47, v[49:50], off offset:20
	;; [unrolled: 1-line block ×5, first 2 shown]
                                        ; implicit-def: $vgpr43
                                        ; implicit-def: $vgpr44
	s_and_saveexec_b32 s0, vcc_lo
	s_xor_b32 s0, exec_lo, s0
	s_cbranch_execz .LBB131_13
; %bb.12:                               ;   in Loop: Header=BB131_3 Depth=1
	global_load_ushort v43, v[6:7], off
	v_and_b32_e32 v44, 0x3030, v75
	v_or_b32_e32 v44, v44, v59
	s_waitcnt vmcnt(0)
	v_lshrrev_b16 v43, 2, v43
	v_and_b32_e32 v43, 0x3030, v43
	v_or_b32_e32 v43, v43, v52
.LBB131_13:                             ;   in Loop: Header=BB131_3 Depth=1
	s_andn2_saveexec_b32 s0, s0
; %bb.14:                               ;   in Loop: Header=BB131_3 Depth=1
	v_and_b32_e32 v43, 0x3f3f, v64
	v_and_b32_sdwa v44, v64, v23 dst_sel:DWORD dst_unused:UNUSED_PAD src0_sel:WORD_1 src1_sel:DWORD
; %bb.15:                               ;   in Loop: Header=BB131_3 Depth=1
	s_or_b32 exec_lo, exec_lo, s0
	v_add_nc_u32_e32 v49, s12, v20
	v_mad_u64_u32 v[55:56], null, v49, 36, v[2:3]
	v_add_co_u32 v65, s0, v55, v51
	v_add_co_ci_u32_e64 v66, null, 0, v56, s0
	s_clause 0x5
	global_load_dword v49, v[55:56], off
	global_load_dword v58, v[65:66], off offset:4
	global_load_dword v57, v[65:66], off offset:20
	;; [unrolled: 1-line block ×5, first 2 shown]
                                        ; implicit-def: $vgpr55
                                        ; implicit-def: $vgpr56
	s_and_saveexec_b32 s0, vcc_lo
	s_xor_b32 s0, exec_lo, s0
	s_cbranch_execz .LBB131_17
; %bb.16:                               ;   in Loop: Header=BB131_3 Depth=1
	global_load_ushort v55, v[6:7], off
	v_and_b32_e32 v56, 0x3030, v75
	v_or_b32_e32 v56, v56, v59
	s_waitcnt vmcnt(0)
	v_lshrrev_b16 v55, 2, v55
	v_and_b32_e32 v55, 0x3030, v55
	v_or_b32_e32 v55, v55, v52
.LBB131_17:                             ;   in Loop: Header=BB131_3 Depth=1
	s_andn2_saveexec_b32 s0, s0
; %bb.18:                               ;   in Loop: Header=BB131_3 Depth=1
	v_and_b32_e32 v55, 0x3f3f, v64
	v_and_b32_sdwa v56, v64, v23 dst_sel:DWORD dst_unused:UNUSED_PAD src0_sel:WORD_1 src1_sel:DWORD
; %bb.19:                               ;   in Loop: Header=BB131_3 Depth=1
	s_or_b32 exec_lo, exec_lo, s0
	v_add_nc_u32_e32 v61, s15, v20
                                        ; implicit-def: $vgpr69
                                        ; implicit-def: $vgpr67
	v_mad_u64_u32 v[73:74], null, v61, 36, v[2:3]
	v_add_co_u32 v76, s0, v73, v51
	v_add_co_ci_u32_e64 v77, null, 0, v74, s0
	s_clause 0x5
	global_load_dword v63, v[73:74], off
	global_load_dword v72, v[76:77], off offset:4
	global_load_dword v71, v[76:77], off offset:20
	;; [unrolled: 1-line block ×5, first 2 shown]
	s_and_saveexec_b32 s0, vcc_lo
	s_xor_b32 s0, exec_lo, s0
	s_cbranch_execz .LBB131_21
; %bb.20:                               ;   in Loop: Header=BB131_3 Depth=1
	global_load_ushort v67, v[6:7], off
	v_and_b32_e32 v73, 0x3030, v75
	s_waitcnt vmcnt(0)
	v_lshrrev_b16 v67, 2, v67
	v_and_b32_e32 v67, 0x3030, v67
	v_or_b32_e32 v69, v67, v52
	v_or_b32_e32 v67, v73, v59
.LBB131_21:                             ;   in Loop: Header=BB131_3 Depth=1
	s_andn2_saveexec_b32 s0, s0
; %bb.22:                               ;   in Loop: Header=BB131_3 Depth=1
	v_and_b32_e32 v69, 0x3f3f, v64
	v_and_b32_sdwa v67, v64, v23 dst_sel:DWORD dst_unused:UNUSED_PAD src0_sel:WORD_1 src1_sel:DWORD
; %bb.23:                               ;   in Loop: Header=BB131_3 Depth=1
	s_or_b32 exec_lo, exec_lo, s0
	v_add_nc_u32_e32 v73, s16, v20
	v_mad_u64_u32 v[79:80], null, v73, 36, v[2:3]
	v_add_co_u32 v82, s0, v79, v51
	v_add_co_ci_u32_e64 v83, null, 0, v80, s0
	s_clause 0x5
	global_load_dword v73, v[79:80], off
	global_load_dword v81, v[82:83], off offset:4
	global_load_dword v77, v[82:83], off offset:20
	;; [unrolled: 1-line block ×5, first 2 shown]
                                        ; implicit-def: $vgpr79
                                        ; implicit-def: $vgpr80
	s_and_saveexec_b32 s0, vcc_lo
	s_xor_b32 s0, exec_lo, s0
	s_cbranch_execz .LBB131_25
; %bb.24:                               ;   in Loop: Header=BB131_3 Depth=1
	global_load_ushort v79, v[6:7], off
	v_and_b32_e32 v80, 0x3030, v75
	v_or_b32_e32 v80, v80, v59
	s_waitcnt vmcnt(0)
	v_lshrrev_b16 v79, 2, v79
	v_and_b32_e32 v79, 0x3030, v79
	v_or_b32_e32 v79, v79, v52
.LBB131_25:                             ;   in Loop: Header=BB131_3 Depth=1
	s_andn2_saveexec_b32 s0, s0
; %bb.26:                               ;   in Loop: Header=BB131_3 Depth=1
	v_and_b32_e32 v79, 0x3f3f, v64
	v_and_b32_sdwa v80, v64, v23 dst_sel:DWORD dst_unused:UNUSED_PAD src0_sel:WORD_1 src1_sel:DWORD
; %bb.27:                               ;   in Loop: Header=BB131_3 Depth=1
	s_or_b32 exec_lo, exec_lo, s0
	v_add_nc_u32_e32 v82, s17, v20
	v_mad_u64_u32 v[82:83], null, v82, 36, v[2:3]
	v_add_co_u32 v86, s0, v82, v51
	v_add_co_ci_u32_e64 v87, null, 0, v83, s0
	s_clause 0x5
	global_load_dword v85, v[82:83], off
	global_load_dword v90, v[86:87], off offset:4
	global_load_dword v89, v[86:87], off offset:20
	global_load_dword v88, v[86:87], off offset:40
	global_load_dword v87, v[86:87], off offset:56
	global_load_dword v84, v[82:83], off offset:36
	s_and_saveexec_b32 s0, vcc_lo
	s_xor_b32 s0, exec_lo, s0
	s_cbranch_execz .LBB131_29
; %bb.28:                               ;   in Loop: Header=BB131_3 Depth=1
	global_load_ushort v68, v[6:7], off
	v_and_b32_e32 v70, 0x3030, v75
	v_or_b32_e32 v70, v70, v59
	s_waitcnt vmcnt(0)
	v_lshrrev_b16 v68, 2, v68
	v_and_b32_e32 v68, 0x3030, v68
	v_or_b32_e32 v68, v68, v52
.LBB131_29:                             ;   in Loop: Header=BB131_3 Depth=1
	s_andn2_saveexec_b32 s0, s0
	s_or_b32 exec_lo, exec_lo, s0
	v_add_nc_u32_e32 v52, s22, v20
                                        ; implicit-def: $vgpr59
	v_mad_u64_u32 v[91:92], null, v52, 36, v[2:3]
	v_add_co_u32 v93, s0, v91, v51
	v_add_co_ci_u32_e64 v94, null, 0, v92, s0
	s_clause 0x5
	global_load_dword v51, v[91:92], off
	global_load_dword v86, v[93:94], off offset:4
	global_load_dword v83, v[93:94], off offset:20
	global_load_dword v82, v[93:94], off offset:40
	global_load_dword v75, v[93:94], off offset:56
	global_load_dword v52, v[91:92], off offset:36
	s_and_saveexec_b32 s0, vcc_lo
	s_xor_b32 s0, exec_lo, s0
	s_cbranch_execz .LBB131_31
; %bb.30:                               ;   in Loop: Header=BB131_3 Depth=1
	global_load_ushort v6, v[6:7], off
	v_pk_lshrrev_b16 v7, 4, v64 op_sel:[1,1] op_sel_hi:[0,1]
	v_and_b32_e32 v7, 0xf0f0f0f, v7
	s_waitcnt vmcnt(0)
	v_perm_b32 v6, v64, v6, 0x5040100
                                        ; implicit-def: $vgpr64
	v_pk_lshrrev_b16 v6, 2, v6 op_sel_hi:[0,1]
	v_and_or_b32 v59, 0x30303030, v6, v7
.LBB131_31:                             ;   in Loop: Header=BB131_3 Depth=1
	s_andn2_saveexec_b32 s0, s0
	s_cbranch_execz .LBB131_2
; %bb.32:                               ;   in Loop: Header=BB131_3 Depth=1
	v_and_b32_e32 v59, 0x3f3f3f3f, v64
	s_branch .LBB131_2
.LBB131_33:
	s_or_b32 exec_lo, exec_lo, s19
.LBB131_34:
	s_or_b32 exec_lo, exec_lo, s9
	s_mov_b32 s1, 0
	; wave barrier
	buffer_gl0_inv
	s_mov_b32 s0, exec_lo
	v_cmpx_eq_u32_e32 0, v1
	s_cbranch_execz .LBB131_51
; %bb.35:
	v_mbcnt_lo_u32_b32 v5, -1, 0
	s_load_dwordx2 s[4:5], s[4:5], 0x38
	s_mul_i32 s0, s2, s7
	s_mul_i32 s2, s18, s8
	s_add_i32 s0, s0, s6
	v_xor_b32_e32 v1, 16, v5
	v_xor_b32_e32 v2, 8, v5
	;; [unrolled: 1-line block ×3, first 2 shown]
	s_add_i32 s0, s0, s2
	s_lshl_b64 s[0:1], s[0:1], 2
	v_cmp_gt_i32_e32 vcc_lo, 32, v1
	v_cndmask_b32_e32 v1, v5, v1, vcc_lo
	v_cmp_gt_i32_e32 vcc_lo, 32, v2
	v_lshlrev_b32_e32 v1, 2, v1
	v_cndmask_b32_e32 v2, v5, v2, vcc_lo
	s_waitcnt lgkmcnt(0)
	s_add_u32 s0, s4, s0
	s_addc_u32 s1, s5, s1
	ds_bpermute_b32 v3, v1, v16
	v_lshlrev_b32_e32 v2, 2, v2
	s_waitcnt lgkmcnt(0)
	v_add_f32_e32 v4, v16, v3
	v_xor_b32_e32 v3, 4, v5
	ds_bpermute_b32 v6, v2, v4
	v_cmp_gt_i32_e32 vcc_lo, 32, v3
	v_cndmask_b32_e32 v3, v5, v3, vcc_lo
	v_lshlrev_b32_e32 v3, 2, v3
	s_waitcnt lgkmcnt(0)
	v_add_f32_e32 v6, v4, v6
	v_xor_b32_e32 v4, 2, v5
	ds_bpermute_b32 v7, v3, v6
	v_cmp_gt_i32_e32 vcc_lo, 32, v4
	v_cndmask_b32_e32 v4, v5, v4, vcc_lo
	v_cmp_gt_i32_e32 vcc_lo, 32, v15
	v_lshlrev_b32_e32 v4, 2, v4
	v_cndmask_b32_e32 v5, v5, v15, vcc_lo
	v_cmp_eq_u32_e32 vcc_lo, 0, v0
	v_lshlrev_b32_e32 v5, 2, v5
	s_waitcnt lgkmcnt(0)
	v_add_f32_e32 v6, v6, v7
	ds_bpermute_b32 v7, v4, v6
	s_waitcnt lgkmcnt(0)
	v_add_f32_e32 v6, v6, v7
	ds_bpermute_b32 v7, v5, v6
	s_and_saveexec_b32 s2, vcc_lo
	s_cbranch_execz .LBB131_37
; %bb.36:
	s_waitcnt lgkmcnt(0)
	v_add_f32_e32 v0, v6, v7
	v_mov_b32_e32 v6, 0
	global_store_dword v6, v0, s[0:1]
.LBB131_37:
	s_or_b32 exec_lo, exec_lo, s2
	ds_bpermute_b32 v0, v1, v14
	s_waitcnt lgkmcnt(0)
	v_add_f32_e32 v0, v14, v0
	ds_bpermute_b32 v6, v2, v0
	s_waitcnt lgkmcnt(0)
	v_add_f32_e32 v0, v0, v6
	;; [unrolled: 3-line block ×4, first 2 shown]
	ds_bpermute_b32 v6, v5, v0
	s_and_saveexec_b32 s2, vcc_lo
	s_cbranch_execz .LBB131_39
; %bb.38:
	s_mov_b32 s15, 0
	s_waitcnt lgkmcnt(0)
	v_add_f32_e32 v0, v0, v6
	s_lshl_b64 s[4:5], s[14:15], 2
	v_mov_b32_e32 v6, 0
	s_add_u32 s4, s0, s4
	s_addc_u32 s5, s1, s5
	global_store_dword v6, v0, s[4:5]
.LBB131_39:
	s_or_b32 exec_lo, exec_lo, s2
	ds_bpermute_b32 v0, v1, v13
	s_waitcnt lgkmcnt(0)
	v_add_f32_e32 v0, v13, v0
	ds_bpermute_b32 v6, v2, v0
	s_waitcnt lgkmcnt(0)
	v_add_f32_e32 v0, v0, v6
	;; [unrolled: 3-line block ×4, first 2 shown]
	ds_bpermute_b32 v6, v5, v0
	s_and_saveexec_b32 s2, vcc_lo
	s_cbranch_execz .LBB131_41
; %bb.40:
	s_lshl_b32 s4, s14, 1
	s_mov_b32 s5, 0
	s_waitcnt lgkmcnt(0)
	v_add_f32_e32 v0, v0, v6
	s_lshl_b64 s[4:5], s[4:5], 2
	v_mov_b32_e32 v6, 0
	s_add_u32 s4, s0, s4
	s_addc_u32 s5, s1, s5
	global_store_dword v6, v0, s[4:5]
.LBB131_41:
	s_or_b32 exec_lo, exec_lo, s2
	ds_bpermute_b32 v0, v1, v12
	s_waitcnt lgkmcnt(0)
	v_add_f32_e32 v0, v12, v0
	ds_bpermute_b32 v6, v2, v0
	s_waitcnt lgkmcnt(0)
	v_add_f32_e32 v0, v0, v6
	;; [unrolled: 3-line block ×4, first 2 shown]
	ds_bpermute_b32 v6, v5, v0
	s_and_saveexec_b32 s2, vcc_lo
	s_cbranch_execz .LBB131_43
; %bb.42:
	s_mul_i32 s4, s14, 3
	s_mov_b32 s5, 0
	s_waitcnt lgkmcnt(0)
	v_add_f32_e32 v0, v0, v6
	s_lshl_b64 s[4:5], s[4:5], 2
	v_mov_b32_e32 v6, 0
	s_add_u32 s4, s0, s4
	s_addc_u32 s5, s1, s5
	global_store_dword v6, v0, s[4:5]
.LBB131_43:
	s_or_b32 exec_lo, exec_lo, s2
	ds_bpermute_b32 v0, v1, v11
	s_waitcnt lgkmcnt(0)
	v_add_f32_e32 v0, v11, v0
	ds_bpermute_b32 v6, v2, v0
	s_waitcnt lgkmcnt(0)
	v_add_f32_e32 v0, v0, v6
	;; [unrolled: 3-line block ×4, first 2 shown]
	ds_bpermute_b32 v6, v5, v0
	s_and_saveexec_b32 s2, vcc_lo
	s_cbranch_execz .LBB131_45
; %bb.44:
	s_lshl_b32 s4, s14, 2
	s_mov_b32 s5, 0
	s_waitcnt lgkmcnt(0)
	v_add_f32_e32 v0, v0, v6
	s_lshl_b64 s[4:5], s[4:5], 2
	v_mov_b32_e32 v6, 0
	s_add_u32 s4, s0, s4
	s_addc_u32 s5, s1, s5
	global_store_dword v6, v0, s[4:5]
.LBB131_45:
	s_or_b32 exec_lo, exec_lo, s2
	ds_bpermute_b32 v0, v1, v10
	s_waitcnt lgkmcnt(0)
	v_add_f32_e32 v0, v10, v0
	ds_bpermute_b32 v6, v2, v0
	s_waitcnt lgkmcnt(0)
	v_add_f32_e32 v0, v0, v6
	;; [unrolled: 3-line block ×4, first 2 shown]
	ds_bpermute_b32 v6, v5, v0
	s_and_saveexec_b32 s2, vcc_lo
	s_cbranch_execz .LBB131_47
; %bb.46:
	s_mul_i32 s4, s14, 5
	s_mov_b32 s5, 0
	s_waitcnt lgkmcnt(0)
	v_add_f32_e32 v0, v0, v6
	s_lshl_b64 s[4:5], s[4:5], 2
	v_mov_b32_e32 v6, 0
	s_add_u32 s4, s0, s4
	s_addc_u32 s5, s1, s5
	global_store_dword v6, v0, s[4:5]
.LBB131_47:
	s_or_b32 exec_lo, exec_lo, s2
	ds_bpermute_b32 v0, v1, v9
	s_waitcnt lgkmcnt(0)
	v_add_f32_e32 v0, v9, v0
	ds_bpermute_b32 v6, v2, v0
	s_waitcnt lgkmcnt(0)
	v_add_f32_e32 v0, v0, v6
	;; [unrolled: 3-line block ×4, first 2 shown]
	ds_bpermute_b32 v6, v5, v0
	s_and_saveexec_b32 s2, vcc_lo
	s_cbranch_execz .LBB131_49
; %bb.48:
	s_mul_i32 s4, s14, 6
	s_mov_b32 s5, 0
	s_waitcnt lgkmcnt(0)
	v_add_f32_e32 v0, v0, v6
	s_lshl_b64 s[4:5], s[4:5], 2
	v_mov_b32_e32 v6, 0
	s_add_u32 s4, s0, s4
	s_addc_u32 s5, s1, s5
	global_store_dword v6, v0, s[4:5]
.LBB131_49:
	s_or_b32 exec_lo, exec_lo, s2
	ds_bpermute_b32 v0, v1, v8
	s_waitcnt lgkmcnt(0)
	v_add_f32_e32 v0, v8, v0
	ds_bpermute_b32 v1, v2, v0
	s_waitcnt lgkmcnt(0)
	v_add_f32_e32 v0, v0, v1
	;; [unrolled: 3-line block ×4, first 2 shown]
	ds_bpermute_b32 v1, v5, v0
	s_and_b32 exec_lo, exec_lo, vcc_lo
	s_cbranch_execz .LBB131_51
; %bb.50:
	s_mul_i32 s2, s14, 7
	s_mov_b32 s3, 0
	s_waitcnt lgkmcnt(0)
	v_add_f32_e32 v0, v0, v1
	s_lshl_b64 s[2:3], s[2:3], 2
	v_mov_b32_e32 v1, 0
	s_add_u32 s0, s0, s2
	s_addc_u32 s1, s1, s3
	global_store_dword v1, v0, s[0:1]
.LBB131_51:
	s_endpgm
	.section	.rodata,"a",@progbits
	.p2align	6, 0x0
	.amdhsa_kernel _ZL13mul_mat_vec_qIL9ggml_type12ELi8ELb0ELb0EEvPKvS2_PKi31ggml_cuda_mm_fusion_args_devicePfj15HIP_vector_typeIjLj3EEjjjS8_jjjS8_jjjj
		.amdhsa_group_segment_fixed_size 0
		.amdhsa_private_segment_fixed_size 0
		.amdhsa_kernarg_size 144
		.amdhsa_user_sgpr_count 6
		.amdhsa_user_sgpr_private_segment_buffer 1
		.amdhsa_user_sgpr_dispatch_ptr 0
		.amdhsa_user_sgpr_queue_ptr 0
		.amdhsa_user_sgpr_kernarg_segment_ptr 1
		.amdhsa_user_sgpr_dispatch_id 0
		.amdhsa_user_sgpr_flat_scratch_init 0
		.amdhsa_user_sgpr_private_segment_size 0
		.amdhsa_wavefront_size32 1
		.amdhsa_uses_dynamic_stack 0
		.amdhsa_system_sgpr_private_segment_wavefront_offset 0
		.amdhsa_system_sgpr_workgroup_id_x 1
		.amdhsa_system_sgpr_workgroup_id_y 1
		.amdhsa_system_sgpr_workgroup_id_z 1
		.amdhsa_system_sgpr_workgroup_info 0
		.amdhsa_system_vgpr_workitem_id 1
		.amdhsa_next_free_vgpr 95
		.amdhsa_next_free_sgpr 26
		.amdhsa_reserve_vcc 1
		.amdhsa_reserve_flat_scratch 0
		.amdhsa_float_round_mode_32 0
		.amdhsa_float_round_mode_16_64 0
		.amdhsa_float_denorm_mode_32 3
		.amdhsa_float_denorm_mode_16_64 3
		.amdhsa_dx10_clamp 1
		.amdhsa_ieee_mode 1
		.amdhsa_fp16_overflow 0
		.amdhsa_workgroup_processor_mode 1
		.amdhsa_memory_ordered 1
		.amdhsa_forward_progress 1
		.amdhsa_shared_vgpr_count 0
		.amdhsa_exception_fp_ieee_invalid_op 0
		.amdhsa_exception_fp_denorm_src 0
		.amdhsa_exception_fp_ieee_div_zero 0
		.amdhsa_exception_fp_ieee_overflow 0
		.amdhsa_exception_fp_ieee_underflow 0
		.amdhsa_exception_fp_ieee_inexact 0
		.amdhsa_exception_int_div_zero 0
	.end_amdhsa_kernel
	.section	.text._ZL13mul_mat_vec_qIL9ggml_type12ELi8ELb0ELb0EEvPKvS2_PKi31ggml_cuda_mm_fusion_args_devicePfj15HIP_vector_typeIjLj3EEjjjS8_jjjS8_jjjj,"axG",@progbits,_ZL13mul_mat_vec_qIL9ggml_type12ELi8ELb0ELb0EEvPKvS2_PKi31ggml_cuda_mm_fusion_args_devicePfj15HIP_vector_typeIjLj3EEjjjS8_jjjS8_jjjj,comdat
.Lfunc_end131:
	.size	_ZL13mul_mat_vec_qIL9ggml_type12ELi8ELb0ELb0EEvPKvS2_PKi31ggml_cuda_mm_fusion_args_devicePfj15HIP_vector_typeIjLj3EEjjjS8_jjjS8_jjjj, .Lfunc_end131-_ZL13mul_mat_vec_qIL9ggml_type12ELi8ELb0ELb0EEvPKvS2_PKi31ggml_cuda_mm_fusion_args_devicePfj15HIP_vector_typeIjLj3EEjjjS8_jjjS8_jjjj
                                        ; -- End function
	.set _ZL13mul_mat_vec_qIL9ggml_type12ELi8ELb0ELb0EEvPKvS2_PKi31ggml_cuda_mm_fusion_args_devicePfj15HIP_vector_typeIjLj3EEjjjS8_jjjS8_jjjj.num_vgpr, 95
	.set _ZL13mul_mat_vec_qIL9ggml_type12ELi8ELb0ELb0EEvPKvS2_PKi31ggml_cuda_mm_fusion_args_devicePfj15HIP_vector_typeIjLj3EEjjjS8_jjjS8_jjjj.num_agpr, 0
	.set _ZL13mul_mat_vec_qIL9ggml_type12ELi8ELb0ELb0EEvPKvS2_PKi31ggml_cuda_mm_fusion_args_devicePfj15HIP_vector_typeIjLj3EEjjjS8_jjjS8_jjjj.numbered_sgpr, 26
	.set _ZL13mul_mat_vec_qIL9ggml_type12ELi8ELb0ELb0EEvPKvS2_PKi31ggml_cuda_mm_fusion_args_devicePfj15HIP_vector_typeIjLj3EEjjjS8_jjjS8_jjjj.num_named_barrier, 0
	.set _ZL13mul_mat_vec_qIL9ggml_type12ELi8ELb0ELb0EEvPKvS2_PKi31ggml_cuda_mm_fusion_args_devicePfj15HIP_vector_typeIjLj3EEjjjS8_jjjS8_jjjj.private_seg_size, 0
	.set _ZL13mul_mat_vec_qIL9ggml_type12ELi8ELb0ELb0EEvPKvS2_PKi31ggml_cuda_mm_fusion_args_devicePfj15HIP_vector_typeIjLj3EEjjjS8_jjjS8_jjjj.uses_vcc, 1
	.set _ZL13mul_mat_vec_qIL9ggml_type12ELi8ELb0ELb0EEvPKvS2_PKi31ggml_cuda_mm_fusion_args_devicePfj15HIP_vector_typeIjLj3EEjjjS8_jjjS8_jjjj.uses_flat_scratch, 0
	.set _ZL13mul_mat_vec_qIL9ggml_type12ELi8ELb0ELb0EEvPKvS2_PKi31ggml_cuda_mm_fusion_args_devicePfj15HIP_vector_typeIjLj3EEjjjS8_jjjS8_jjjj.has_dyn_sized_stack, 0
	.set _ZL13mul_mat_vec_qIL9ggml_type12ELi8ELb0ELb0EEvPKvS2_PKi31ggml_cuda_mm_fusion_args_devicePfj15HIP_vector_typeIjLj3EEjjjS8_jjjS8_jjjj.has_recursion, 0
	.set _ZL13mul_mat_vec_qIL9ggml_type12ELi8ELb0ELb0EEvPKvS2_PKi31ggml_cuda_mm_fusion_args_devicePfj15HIP_vector_typeIjLj3EEjjjS8_jjjS8_jjjj.has_indirect_call, 0
	.section	.AMDGPU.csdata,"",@progbits
; Kernel info:
; codeLenInByte = 4744
; TotalNumSgprs: 28
; NumVgprs: 95
; ScratchSize: 0
; MemoryBound: 0
; FloatMode: 240
; IeeeMode: 1
; LDSByteSize: 0 bytes/workgroup (compile time only)
; SGPRBlocks: 0
; VGPRBlocks: 11
; NumSGPRsForWavesPerEU: 28
; NumVGPRsForWavesPerEU: 95
; Occupancy: 10
; WaveLimiterHint : 0
; COMPUTE_PGM_RSRC2:SCRATCH_EN: 0
; COMPUTE_PGM_RSRC2:USER_SGPR: 6
; COMPUTE_PGM_RSRC2:TRAP_HANDLER: 0
; COMPUTE_PGM_RSRC2:TGID_X_EN: 1
; COMPUTE_PGM_RSRC2:TGID_Y_EN: 1
; COMPUTE_PGM_RSRC2:TGID_Z_EN: 1
; COMPUTE_PGM_RSRC2:TIDIG_COMP_CNT: 1
	.section	.text._ZL17mul_mat_vec_q_moeIL9ggml_type13ELi2EEvPKvS2_PKiPfj15HIP_vector_typeIjLj3EEjjjjjjjjj,"axG",@progbits,_ZL17mul_mat_vec_q_moeIL9ggml_type13ELi2EEvPKvS2_PKiPfj15HIP_vector_typeIjLj3EEjjjjjjjjj,comdat
	.globl	_ZL17mul_mat_vec_q_moeIL9ggml_type13ELi2EEvPKvS2_PKiPfj15HIP_vector_typeIjLj3EEjjjjjjjjj ; -- Begin function _ZL17mul_mat_vec_q_moeIL9ggml_type13ELi2EEvPKvS2_PKiPfj15HIP_vector_typeIjLj3EEjjjjjjjjj
	.p2align	8
	.type	_ZL17mul_mat_vec_q_moeIL9ggml_type13ELi2EEvPKvS2_PKiPfj15HIP_vector_typeIjLj3EEjjjjjjjjj,@function
_ZL17mul_mat_vec_q_moeIL9ggml_type13ELi2EEvPKvS2_PKiPfj15HIP_vector_typeIjLj3EEjjjjjjjjj: ; @_ZL17mul_mat_vec_q_moeIL9ggml_type13ELi2EEvPKvS2_PKiPfj15HIP_vector_typeIjLj3EEjjjjjjjjj
; %bb.0:
	s_load_dwordx8 s[16:23], s[4:5], 0x30
	s_mov_b32 s0, exec_lo
	s_waitcnt lgkmcnt(0)
	v_cmpx_gt_u32_e64 s23, v1
	s_cbranch_execz .LBB132_15
; %bb.1:
	s_clause 0x2
	s_load_dword s1, s[4:5], 0x20
	s_load_dword s0, s[4:5], 0x50
	s_load_dwordx8 s[8:15], s[4:5], 0x0
	v_lshrrev_b32_e32 v12, 4, v0
	v_mov_b32_e32 v2, 0
	v_mov_b32_e32 v3, 0
	s_mov_b32 s2, s7
	s_lshl_b32 s3, s6, 1
	s_mov_b32 s6, exec_lo
	s_waitcnt lgkmcnt(0)
	s_lshr_b32 s7, s1, 8
	v_cmpx_gt_u32_e64 s7, v12
	s_cbranch_execz .LBB132_13
; %bb.2:
	v_mad_u64_u32 v[2:3], null, s0, v1, s[2:3]
	v_mov_b32_e32 v3, 0
	s_load_dwordx4 s[24:27], s[4:5], 0x24
	v_lshrrev_b32_e32 v9, 4, v0
	v_mul_lo_u32 v6, s18, v1
	v_lshlrev_b32_e32 v7, 1, v0
	v_and_b32_e32 v8, 3, v0
	v_lshlrev_b64 v[4:5], 2, v[2:3]
	s_add_i32 s1, s3, 1
	v_mov_b32_e32 v17, 0xffff
	v_and_b32_e32 v10, 30, v7
	v_bfe_u32 v11, v7, 3, 2
	v_lshlrev_b32_e32 v13, 2, v8
	v_add_co_u32 v4, vcc_lo, s12, v4
	v_add_co_ci_u32_e64 v5, null, s13, v5, vcc_lo
	v_lshlrev_b32_e32 v14, 5, v11
	v_lshlrev_b32_e32 v15, 1, v11
	;; [unrolled: 1-line block ×3, first 2 shown]
	global_load_dword v2, v[4:5], off
	v_bfe_u32 v4, v0, 2, 2
	s_waitcnt lgkmcnt(0)
	s_mul_hi_u32 s0, s24, s2
	v_cmp_lt_u32_e32 vcc_lo, 15, v10
	s_add_i32 s0, s2, s0
	v_mul_hi_u32_u24_e32 v5, 0x48, v4
	v_mul_u32_u24_e32 v4, 0x48, v4
	s_lshr_b32 s0, s0, s25
	s_mul_i32 s0, s0, s26
	v_mad_u64_u32 v[4:5], null, 0x120, v9, v[4:5]
	s_sub_i32 s0, s2, s0
	s_mul_i32 s0, s0, s21
	s_mul_hi_u32 s4, s0, 36
	s_mul_i32 s0, s0, 36
	v_mad_u64_u32 v[4:5], null, v6, 36, v[4:5]
	s_add_u32 s0, s10, s0
	s_addc_u32 s4, s11, s4
	v_add_co_u32 v7, s0, s0, v4
	v_add_co_ci_u32_e64 v8, null, s4, v5, s0
	s_mov_b32 s4, 0
	s_waitcnt vmcnt(0)
	v_mul_lo_u32 v2, v2, s20
	v_mad_u64_u32 v[4:5], null, s3, s17, v[2:3]
	v_mad_u64_u32 v[5:6], null, s17, s1, v[2:3]
	v_add_co_u32 v6, s0, v7, 36
	v_add_co_ci_u32_e64 v7, null, 0, v8, s0
	v_mov_b32_e32 v2, v3
	s_branch .LBB132_4
.LBB132_3:                              ;   in Loop: Header=BB132_4 Depth=1
	s_or_b32 exec_lo, exec_lo, s0
	global_load_dword v8, v[8:9], off
	s_waitcnt vmcnt(6)
	v_ashrrev_i32_e32 v28, v15, v28
	v_and_b32_e32 v38, 0xf0f0f0f, v26
	v_lshrrev_b32_e32 v26, 4, v26
	s_waitcnt vmcnt(1)
	v_ashrrev_i32_e32 v34, v15, v34
	v_mov_b32_e32 v9, 0
	v_ashrrev_i32_e32 v27, v15, v27
	v_and_b32_e32 v37, 0xf0f0f0f, v25
	v_lshrrev_b32_e32 v25, 4, v25
	v_ashrrev_i32_e32 v32, v15, v32
	v_and_b32_e32 v45, 0xf0f0f0f, v30
	v_lshrrev_b32_e32 v30, 4, v30
	v_lshlrev_b32_e32 v50, 4, v28
	v_and_b32_e32 v26, 0xf0f0f0f, v26
	v_lshlrev_b32_e32 v28, 3, v28
	v_lshlrev_b32_e32 v52, 4, v34
	v_mov_b32_e32 v10, 0
	v_mov_b32_e32 v39, 0
	v_and_b32_e32 v44, 0xf0f0f0f, v31
	v_mov_b32_e32 v46, 0
	v_lshrrev_b32_e32 v31, 4, v31
	v_dot4c_i32_i8 v9, 0x1010101, v22
	v_lshlrev_b32_e32 v49, 4, v27
	v_and_b32_e32 v25, 0xf0f0f0f, v25
	v_lshlrev_b32_e32 v27, 3, v27
	v_lshlrev_b32_e32 v51, 4, v32
	v_and_b32_e32 v30, 0xf0f0f0f, v30
	v_lshlrev_b32_e32 v34, 3, v34
	v_and_or_b32 v38, 0x10101010, v50, v38
	v_and_or_b32 v26, 0x10101010, v28, v26
	;; [unrolled: 1-line block ×3, first 2 shown]
	v_and_b32_sdwa v11, v17, v29 dst_sel:DWORD dst_unused:UNUSED_PAD src0_sel:DWORD src1_sel:BYTE_1
	v_lshrrev_b32_e32 v36, 24, v29
	v_bfe_u32 v40, v29, 16, 8
	v_and_b32_e32 v29, 0xff, v29
	v_mov_b32_e32 v41, 0
	v_and_b32_sdwa v43, v17, v35 dst_sel:DWORD dst_unused:UNUSED_PAD src0_sel:DWORD src1_sel:BYTE_1
	v_and_b32_sdwa v35, v17, v35 dst_sel:DWORD dst_unused:UNUSED_PAD src0_sel:DWORD src1_sel:BYTE_0
	v_mov_b32_e32 v47, 0
	v_dot4c_i32_i8 v10, 0x1010101, v23
	v_and_b32_e32 v31, 0xf0f0f0f, v31
	v_lshlrev_b32_e32 v32, 3, v32
	v_dot4c_i32_i8 v9, 0x1010101, v20
	v_and_or_b32 v37, 0x10101010, v49, v37
	v_and_or_b32 v25, 0x10101010, v27, v25
	;; [unrolled: 1-line block ×4, first 2 shown]
	v_dot4c_i32_i8 v39, v38, v22
	v_dot4c_i32_i8 v46, v28, v22
	v_and_b32_sdwa v48, v17, v33 dst_sel:DWORD dst_unused:UNUSED_PAD src0_sel:DWORD src1_sel:BYTE_1
	v_and_b32_sdwa v33, v17, v33 dst_sel:DWORD dst_unused:UNUSED_PAD src0_sel:DWORD src1_sel:BYTE_0
	v_dot4c_i32_i8 v10, 0x1010101, v21
	v_and_or_b32 v31, 0x10101010, v32, v31
	v_mul_lo_u32 v29, v9, v29
	v_dot4c_i32_i8 v41, v26, v23
	v_mul_lo_u32 v9, v9, v35
	v_dot4c_i32_i8 v47, v30, v23
	v_dot4c_i32_i8 v39, v37, v20
	;; [unrolled: 1-line block ×3, first 2 shown]
	v_mul_lo_u32 v11, v10, v11
	v_mul_lo_u32 v10, v10, v43
	v_dot4c_i32_i8 v41, v25, v21
	v_dot4c_i32_i8 v47, v31, v21
	v_mul_lo_u32 v21, v39, v40
	v_mul_lo_u32 v23, v46, v33
	v_cvt_f32_i32_e32 v20, v29
	v_cvt_f32_i32_e32 v9, v9
	v_mul_lo_u32 v22, v41, v36
	v_mul_lo_u32 v25, v47, v48
	v_cvt_f32_i32_e32 v11, v11
	v_cvt_f32_i32_e32 v10, v10
	v_fma_mix_f32 v20, v19, v20, 0 op_sel_hi:[1,0,0]
	v_fma_mix_f32 v9, v19, v9, 0 op_sel_hi:[1,0,0]
	v_cvt_f32_i32_e32 v21, v21
	v_cvt_f32_i32_e32 v23, v23
	v_cvt_f32_f16_sdwa v42, v24 dst_sel:DWORD dst_unused:UNUSED_PAD src0_sel:WORD_1
	v_cvt_f32_i32_e32 v22, v22
	v_fma_mix_f32 v11, v18, v11, v20 op_sel_hi:[1,0,0]
	v_cvt_f32_i32_e32 v20, v25
	v_fma_mix_f32 v9, v18, v10, v9 op_sel_hi:[1,0,0]
	v_fma_mix_f32 v10, v19, v21, 0 op_sel_hi:[1,0,0]
	;; [unrolled: 1-line block ×3, first 2 shown]
	v_mul_f32_e32 v11, v11, v42
	v_add_nc_u32_e32 v12, 2, v12
	v_add_co_u32 v6, s1, 0x240, v6
	v_fma_mix_f32 v10, v18, v22, v10 op_sel_hi:[1,0,0]
	v_fma_mix_f32 v18, v18, v20, v19 op_sel_hi:[1,0,0]
	v_cmp_le_u32_e64 s0, s7, v12
	v_add_co_ci_u32_e64 v7, null, 0, v7, s1
	v_fma_mix_f32 v10, v10, v24, -v11 op_sel_hi:[0,1,0]
	s_or_b32 s4, s0, s4
	v_add_f32_e32 v3, v3, v10
	s_waitcnt vmcnt(0)
	v_cvt_f32_f16_sdwa v21, v8 dst_sel:DWORD dst_unused:UNUSED_PAD src0_sel:WORD_1
	v_mul_f32_e32 v9, v9, v21
	v_fma_mix_f32 v8, v18, v8, -v9 op_sel_hi:[0,1,0]
	v_add_f32_e32 v2, v2, v8
	s_andn2_b32 exec_lo, exec_lo, s4
	s_cbranch_execz .LBB132_12
.LBB132_4:                              ; =>This Inner Loop Header: Depth=1
	v_add_nc_u32_e32 v8, v4, v12
	s_clause 0x1
	global_load_dword v19, v[6:7], off offset:-36
	global_load_dword v18, v[6:7], off
	v_mad_i64_i32 v[10:11], null, 0xb0, v8, s[8:9]
	v_add_co_u32 v8, s0, v6, v13
	v_add_co_ci_u32_e64 v9, null, 0, v7, s0
	v_add_co_u32 v20, s0, v10, v14
	v_add_co_ci_u32_e64 v21, null, 0, v11, s0
	;; [unrolled: 2-line block ×4, first 2 shown]
	s_clause 0x3
	global_load_dword v20, v[8:9], off offset:-32
	global_load_dword v22, v[8:9], off offset:-16
	global_load_dword v21, v[8:9], off offset:4
	global_load_dword v23, v[8:9], off offset:20
	s_clause 0x3
	global_load_dword v25, v[26:27], off offset:48
	global_load_dword v26, v[26:27], off offset:64
	;; [unrolled: 1-line block ×4, first 2 shown]
	v_add_co_u32 v8, s0, v10, v16
	v_add_co_ci_u32_e64 v9, null, 0, v11, s0
                                        ; implicit-def: $vgpr29
	s_and_saveexec_b32 s0, vcc_lo
	s_xor_b32 s0, exec_lo, s0
	s_cbranch_execz .LBB132_6
; %bb.5:                                ;   in Loop: Header=BB132_4 Depth=1
	s_clause 0x1
	global_load_ushort v24, v[8:9], off offset:8
	global_load_ushort v29, v[8:9], off offset:4
	s_waitcnt vmcnt(1)
	v_mov_b32_e32 v30, v24
	global_load_short_d16_hi v30, v[8:9], off
	s_waitcnt vmcnt(1)
	v_perm_b32 v8, v24, v29, 0x5040100
	v_pk_lshrrev_b16 v8, 2, v8
	v_and_b32_e32 v8, 0xf0f3030, v8
	s_waitcnt vmcnt(0)
	v_pk_lshrrev_b16 v9, 0x20004, v30
	v_and_or_b32 v29, 0x30300f0f, v9, v8
                                        ; implicit-def: $vgpr8_vgpr9
.LBB132_6:                              ;   in Loop: Header=BB132_4 Depth=1
	s_andn2_saveexec_b32 s0, s0
	s_cbranch_execz .LBB132_8
; %bb.7:                                ;   in Loop: Header=BB132_4 Depth=1
	s_clause 0x1
	global_load_ushort v24, v[8:9], off offset:8
	global_load_short_d16_hi v24, v[8:9], off offset:4
	s_waitcnt vmcnt(0)
	v_and_b32_e32 v29, 0x3f3f3f3f, v24
.LBB132_8:                              ;   in Loop: Header=BB132_4 Depth=1
	s_or_b32 exec_lo, exec_lo, s0
	v_add_nc_u32_e32 v8, v5, v12
	v_mad_i64_i32 v[8:9], null, 0xb0, v8, s[8:9]
	v_add_co_u32 v24, s0, v8, v14
	v_add_co_ci_u32_e64 v30, null, 0, v9, s0
	v_add_co_u32 v32, s0, v24, v13
	v_add_co_ci_u32_e64 v33, null, 0, v30, s0
	;; [unrolled: 2-line block ×3, first 2 shown]
	s_clause 0x4
	global_load_dword v24, v[10:11], off
	global_load_dword v31, v[32:33], off offset:48
	global_load_dword v30, v[32:33], off offset:64
	;; [unrolled: 1-line block ×4, first 2 shown]
	v_add_co_u32 v10, s0, v8, v16
	v_add_co_ci_u32_e64 v11, null, 0, v9, s0
                                        ; implicit-def: $vgpr33
                                        ; implicit-def: $vgpr35
	s_and_saveexec_b32 s0, vcc_lo
	s_xor_b32 s0, exec_lo, s0
	s_cbranch_execz .LBB132_10
; %bb.9:                                ;   in Loop: Header=BB132_4 Depth=1
	s_clause 0x2
	global_load_ushort v33, v[10:11], off
	global_load_ushort v35, v[10:11], off offset:8
	global_load_ushort v10, v[10:11], off offset:4
	s_waitcnt vmcnt(2)
	v_lshrrev_b16 v11, 2, v33
	s_waitcnt vmcnt(1)
	v_lshrrev_b16 v33, 4, v35
	;; [unrolled: 2-line block ×3, first 2 shown]
	v_and_b32_e32 v35, 0xf0f, v35
	v_and_b32_e32 v11, 0x3030, v11
	;; [unrolled: 1-line block ×4, first 2 shown]
	v_or_b32_e32 v33, v11, v35
	v_or_b32_e32 v35, v10, v36
                                        ; implicit-def: $vgpr10_vgpr11
.LBB132_10:                             ;   in Loop: Header=BB132_4 Depth=1
	s_andn2_saveexec_b32 s0, s0
	s_cbranch_execz .LBB132_3
; %bb.11:                               ;   in Loop: Header=BB132_4 Depth=1
	s_clause 0x1
	global_load_ushort v33, v[10:11], off offset:4
	global_load_ushort v10, v[10:11], off offset:8
	s_waitcnt vmcnt(1)
	v_and_b32_e32 v33, 0x3f3f, v33
	s_waitcnt vmcnt(0)
	v_and_b32_e32 v35, 0x3f3f, v10
	s_branch .LBB132_3
.LBB132_12:
	s_or_b32 exec_lo, exec_lo, s4
.LBB132_13:
	s_or_b32 exec_lo, exec_lo, s6
	v_mbcnt_lo_u32_b32 v4, -1, 0
	v_xor_b32_e32 v5, 16, v4
	v_xor_b32_e32 v7, 8, v4
	v_cmp_gt_i32_e32 vcc_lo, 32, v5
	v_cndmask_b32_e32 v5, v4, v5, vcc_lo
	v_cmp_gt_i32_e32 vcc_lo, 32, v7
	v_lshlrev_b32_e32 v5, 2, v5
	v_cndmask_b32_e32 v7, v4, v7, vcc_lo
	ds_bpermute_b32 v6, v5, v3
	ds_bpermute_b32 v5, v5, v2
	v_lshlrev_b32_e32 v7, 2, v7
	s_waitcnt lgkmcnt(1)
	v_add_f32_e32 v3, v3, v6
	s_waitcnt lgkmcnt(0)
	v_add_f32_e32 v2, v2, v5
	ds_bpermute_b32 v5, v7, v3
	ds_bpermute_b32 v6, v7, v2
	v_xor_b32_e32 v7, 4, v4
	v_cmp_gt_i32_e32 vcc_lo, 32, v7
	v_cndmask_b32_e32 v7, v4, v7, vcc_lo
	v_lshlrev_b32_e32 v7, 2, v7
	s_waitcnt lgkmcnt(1)
	v_add_f32_e32 v3, v3, v5
	s_waitcnt lgkmcnt(0)
	v_add_f32_e32 v2, v2, v6
	ds_bpermute_b32 v5, v7, v3
	ds_bpermute_b32 v6, v7, v2
	v_xor_b32_e32 v7, 2, v4
	v_cmp_gt_i32_e32 vcc_lo, 32, v7
	v_cndmask_b32_e32 v7, v4, v7, vcc_lo
	;; [unrolled: 10-line block ×3, first 2 shown]
	v_cmp_gt_u32_e32 vcc_lo, 2, v0
	v_lshlrev_b32_e32 v7, 2, v4
	s_waitcnt lgkmcnt(1)
	v_add_f32_e32 v2, v3, v2
	s_waitcnt lgkmcnt(0)
	v_add_f32_e32 v3, v5, v6
	v_add_nc_u32_e32 v6, s3, v0
	ds_bpermute_b32 v4, v7, v2
	ds_bpermute_b32 v5, v7, v3
	v_cmp_gt_u32_e64 s0, s16, v6
	s_and_b32 s0, vcc_lo, s0
	s_and_b32 exec_lo, exec_lo, s0
	s_cbranch_execz .LBB132_15
; %bb.14:
	v_mul_lo_u32 v1, s19, v1
	v_or_b32_e32 v6, s3, v0
	s_mul_i32 s0, s22, s2
	v_mov_b32_e32 v7, 0
	s_waitcnt lgkmcnt(1)
	v_add_f32_e32 v4, v2, v4
	s_waitcnt lgkmcnt(0)
	v_add_f32_e32 v3, v3, v5
	v_cmp_eq_u32_e32 vcc_lo, 1, v0
	v_add3_u32 v6, v6, v1, s0
	v_cndmask_b32_e32 v3, v4, v3, vcc_lo
	v_lshlrev_b64 v[1:2], 2, v[6:7]
	v_add_co_u32 v0, vcc_lo, s14, v1
	v_add_co_ci_u32_e64 v1, null, s15, v2, vcc_lo
	global_store_dword v[0:1], v3, off
.LBB132_15:
	s_endpgm
	.section	.rodata,"a",@progbits
	.p2align	6, 0x0
	.amdhsa_kernel _ZL17mul_mat_vec_q_moeIL9ggml_type13ELi2EEvPKvS2_PKiPfj15HIP_vector_typeIjLj3EEjjjjjjjjj
		.amdhsa_group_segment_fixed_size 0
		.amdhsa_private_segment_fixed_size 0
		.amdhsa_kernarg_size 84
		.amdhsa_user_sgpr_count 6
		.amdhsa_user_sgpr_private_segment_buffer 1
		.amdhsa_user_sgpr_dispatch_ptr 0
		.amdhsa_user_sgpr_queue_ptr 0
		.amdhsa_user_sgpr_kernarg_segment_ptr 1
		.amdhsa_user_sgpr_dispatch_id 0
		.amdhsa_user_sgpr_flat_scratch_init 0
		.amdhsa_user_sgpr_private_segment_size 0
		.amdhsa_wavefront_size32 1
		.amdhsa_uses_dynamic_stack 0
		.amdhsa_system_sgpr_private_segment_wavefront_offset 0
		.amdhsa_system_sgpr_workgroup_id_x 1
		.amdhsa_system_sgpr_workgroup_id_y 1
		.amdhsa_system_sgpr_workgroup_id_z 0
		.amdhsa_system_sgpr_workgroup_info 0
		.amdhsa_system_vgpr_workitem_id 1
		.amdhsa_next_free_vgpr 53
		.amdhsa_next_free_sgpr 28
		.amdhsa_reserve_vcc 1
		.amdhsa_reserve_flat_scratch 0
		.amdhsa_float_round_mode_32 0
		.amdhsa_float_round_mode_16_64 0
		.amdhsa_float_denorm_mode_32 3
		.amdhsa_float_denorm_mode_16_64 3
		.amdhsa_dx10_clamp 1
		.amdhsa_ieee_mode 1
		.amdhsa_fp16_overflow 0
		.amdhsa_workgroup_processor_mode 1
		.amdhsa_memory_ordered 1
		.amdhsa_forward_progress 1
		.amdhsa_shared_vgpr_count 0
		.amdhsa_exception_fp_ieee_invalid_op 0
		.amdhsa_exception_fp_denorm_src 0
		.amdhsa_exception_fp_ieee_div_zero 0
		.amdhsa_exception_fp_ieee_overflow 0
		.amdhsa_exception_fp_ieee_underflow 0
		.amdhsa_exception_fp_ieee_inexact 0
		.amdhsa_exception_int_div_zero 0
	.end_amdhsa_kernel
	.section	.text._ZL17mul_mat_vec_q_moeIL9ggml_type13ELi2EEvPKvS2_PKiPfj15HIP_vector_typeIjLj3EEjjjjjjjjj,"axG",@progbits,_ZL17mul_mat_vec_q_moeIL9ggml_type13ELi2EEvPKvS2_PKiPfj15HIP_vector_typeIjLj3EEjjjjjjjjj,comdat
.Lfunc_end132:
	.size	_ZL17mul_mat_vec_q_moeIL9ggml_type13ELi2EEvPKvS2_PKiPfj15HIP_vector_typeIjLj3EEjjjjjjjjj, .Lfunc_end132-_ZL17mul_mat_vec_q_moeIL9ggml_type13ELi2EEvPKvS2_PKiPfj15HIP_vector_typeIjLj3EEjjjjjjjjj
                                        ; -- End function
	.set _ZL17mul_mat_vec_q_moeIL9ggml_type13ELi2EEvPKvS2_PKiPfj15HIP_vector_typeIjLj3EEjjjjjjjjj.num_vgpr, 53
	.set _ZL17mul_mat_vec_q_moeIL9ggml_type13ELi2EEvPKvS2_PKiPfj15HIP_vector_typeIjLj3EEjjjjjjjjj.num_agpr, 0
	.set _ZL17mul_mat_vec_q_moeIL9ggml_type13ELi2EEvPKvS2_PKiPfj15HIP_vector_typeIjLj3EEjjjjjjjjj.numbered_sgpr, 28
	.set _ZL17mul_mat_vec_q_moeIL9ggml_type13ELi2EEvPKvS2_PKiPfj15HIP_vector_typeIjLj3EEjjjjjjjjj.num_named_barrier, 0
	.set _ZL17mul_mat_vec_q_moeIL9ggml_type13ELi2EEvPKvS2_PKiPfj15HIP_vector_typeIjLj3EEjjjjjjjjj.private_seg_size, 0
	.set _ZL17mul_mat_vec_q_moeIL9ggml_type13ELi2EEvPKvS2_PKiPfj15HIP_vector_typeIjLj3EEjjjjjjjjj.uses_vcc, 1
	.set _ZL17mul_mat_vec_q_moeIL9ggml_type13ELi2EEvPKvS2_PKiPfj15HIP_vector_typeIjLj3EEjjjjjjjjj.uses_flat_scratch, 0
	.set _ZL17mul_mat_vec_q_moeIL9ggml_type13ELi2EEvPKvS2_PKiPfj15HIP_vector_typeIjLj3EEjjjjjjjjj.has_dyn_sized_stack, 0
	.set _ZL17mul_mat_vec_q_moeIL9ggml_type13ELi2EEvPKvS2_PKiPfj15HIP_vector_typeIjLj3EEjjjjjjjjj.has_recursion, 0
	.set _ZL17mul_mat_vec_q_moeIL9ggml_type13ELi2EEvPKvS2_PKiPfj15HIP_vector_typeIjLj3EEjjjjjjjjj.has_indirect_call, 0
	.section	.AMDGPU.csdata,"",@progbits
; Kernel info:
; codeLenInByte = 2016
; TotalNumSgprs: 30
; NumVgprs: 53
; ScratchSize: 0
; MemoryBound: 0
; FloatMode: 240
; IeeeMode: 1
; LDSByteSize: 0 bytes/workgroup (compile time only)
; SGPRBlocks: 0
; VGPRBlocks: 6
; NumSGPRsForWavesPerEU: 30
; NumVGPRsForWavesPerEU: 53
; Occupancy: 16
; WaveLimiterHint : 1
; COMPUTE_PGM_RSRC2:SCRATCH_EN: 0
; COMPUTE_PGM_RSRC2:USER_SGPR: 6
; COMPUTE_PGM_RSRC2:TRAP_HANDLER: 0
; COMPUTE_PGM_RSRC2:TGID_X_EN: 1
; COMPUTE_PGM_RSRC2:TGID_Y_EN: 1
; COMPUTE_PGM_RSRC2:TGID_Z_EN: 0
; COMPUTE_PGM_RSRC2:TIDIG_COMP_CNT: 1
	.section	.text._ZL13mul_mat_vec_qIL9ggml_type13ELi1ELb1ELb1EEvPKvS2_PKi31ggml_cuda_mm_fusion_args_devicePfj15HIP_vector_typeIjLj3EEjjjS8_jjjS8_jjjj,"axG",@progbits,_ZL13mul_mat_vec_qIL9ggml_type13ELi1ELb1ELb1EEvPKvS2_PKi31ggml_cuda_mm_fusion_args_devicePfj15HIP_vector_typeIjLj3EEjjjS8_jjjS8_jjjj,comdat
	.globl	_ZL13mul_mat_vec_qIL9ggml_type13ELi1ELb1ELb1EEvPKvS2_PKi31ggml_cuda_mm_fusion_args_devicePfj15HIP_vector_typeIjLj3EEjjjS8_jjjS8_jjjj ; -- Begin function _ZL13mul_mat_vec_qIL9ggml_type13ELi1ELb1ELb1EEvPKvS2_PKi31ggml_cuda_mm_fusion_args_devicePfj15HIP_vector_typeIjLj3EEjjjS8_jjjS8_jjjj
	.p2align	8
	.type	_ZL13mul_mat_vec_qIL9ggml_type13ELi1ELb1ELb1EEvPKvS2_PKi31ggml_cuda_mm_fusion_args_devicePfj15HIP_vector_typeIjLj3EEjjjS8_jjjS8_jjjj,@function
_ZL13mul_mat_vec_qIL9ggml_type13ELi1ELb1ELb1EEvPKvS2_PKi31ggml_cuda_mm_fusion_args_devicePfj15HIP_vector_typeIjLj3EEjjjS8_jjjS8_jjjj: ; @_ZL13mul_mat_vec_qIL9ggml_type13ELi1ELb1ELb1EEvPKvS2_PKi31ggml_cuda_mm_fusion_args_devicePfj15HIP_vector_typeIjLj3EEjjjS8_jjjS8_jjjj
; %bb.0:
	s_clause 0x3
	s_load_dwordx8 s[12:19], s[4:5], 0x0
	s_load_dwordx4 s[28:31], s[4:5], 0x20
	s_load_dwordx4 s[36:39], s[4:5], 0x40
	s_load_dwordx4 s[20:23], s[4:5], 0x68
	s_mov_b32 s10, s7
	s_waitcnt lgkmcnt(0)
	s_cmp_lg_u64 s[16:17], 0
	s_cselect_b32 s0, -1, 0
	s_cmp_eq_u64 s[16:17], 0
	s_cbranch_scc1 .LBB133_5
; %bb.1:
	s_mov_b32 s11, 0
	s_lshl_b64 s[2:3], s[10:11], 2
	s_add_u32 s2, s16, s2
	s_addc_u32 s3, s17, s3
	s_load_dword s33, s[2:3], 0x0
	s_clause 0x1
	s_load_dword s35, s[4:5], 0x50
	s_load_dword s34, s[4:5], 0x78
	s_cbranch_execnz .LBB133_3
.LBB133_2:
	s_load_dwordx2 s[2:3], s[4:5], 0x5c
	s_waitcnt lgkmcnt(0)
	s_mul_hi_u32 s1, s2, s10
	s_add_i32 s1, s10, s1
	s_lshr_b32 s33, s1, s3
.LBB133_3:
	s_andn2_b32 vcc_lo, exec_lo, s0
	s_cbranch_vccnz .LBB133_6
; %bb.4:
	s_mul_hi_u32 s0, s37, s10
	s_waitcnt lgkmcnt(0)
	s_mov_b32 s1, s33
	s_add_i32 s0, s10, s0
	s_lshr_b32 s0, s0, s38
	s_mul_i32 s0, s0, s39
	s_sub_i32 s37, s10, s0
	s_branch .LBB133_7
.LBB133_5:
                                        ; implicit-def: $sgpr33
	s_clause 0x1
	s_load_dword s35, s[4:5], 0x50
	s_load_dword s34, s[4:5], 0x78
	s_branch .LBB133_2
.LBB133_6:
	s_mov_b32 s1, s10
	s_mov_b32 s37, s10
.LBB133_7:
	s_load_dwordx4 s[24:27], s[4:5], 0x80
	v_or_b32_e32 v2, v0, v1
	s_cmp_lg_u64 s[18:19], 0
	v_mov_b32_e32 v8, 0
	v_mov_b32_e32 v9, 0
	s_cselect_b32 s0, -1, 0
	v_cmp_eq_u32_e32 vcc_lo, 0, v2
	s_mov_b32 s17, 0
	s_mul_i32 s2, s1, s22
	s_and_b32 s3, s0, vcc_lo
	s_and_saveexec_b32 s1, s3
	s_cbranch_execz .LBB133_9
; %bb.8:
	s_waitcnt lgkmcnt(0)
	s_mul_i32 s16, s26, s8
	s_mov_b32 s3, s17
	s_lshl_b64 s[38:39], s[16:17], 2
	v_lshlrev_b32_e32 v2, 2, v0
	s_add_u32 s7, s18, s38
	s_addc_u32 s9, s19, s39
	s_lshl_b64 s[16:17], s[2:3], 2
	s_add_u32 s3, s7, s16
	s_addc_u32 s9, s9, s17
	s_ashr_i32 s7, s6, 31
	s_lshl_b64 s[16:17], s[6:7], 2
	s_add_u32 s16, s3, s16
	s_addc_u32 s17, s9, s17
	global_load_dword v9, v2, s[16:17]
.LBB133_9:
	s_or_b32 exec_lo, exec_lo, s1
	s_cmp_lg_u64 s[28:29], 0
	s_cselect_b32 s9, -1, 0
	s_cmp_lg_u64 s[30:31], 0
	s_cselect_b32 s1, -1, 0
	s_and_b32 s3, s1, s9
	s_and_b32 s3, s3, vcc_lo
	s_and_saveexec_b32 s11, s3
	s_cbranch_execz .LBB133_11
; %bb.10:
	s_waitcnt lgkmcnt(0)
	s_mul_i32 s16, s26, s8
	s_mov_b32 s17, 0
	v_lshlrev_b32_e32 v2, 2, v0
	s_lshl_b64 s[18:19], s[16:17], 2
	s_mov_b32 s3, s17
	s_add_u32 s7, s30, s18
	s_addc_u32 s16, s31, s19
	s_lshl_b64 s[2:3], s[2:3], 2
	s_add_u32 s17, s7, s2
	s_addc_u32 s16, s16, s3
	s_ashr_i32 s7, s6, 31
	s_lshl_b64 s[2:3], s[6:7], 2
	s_add_u32 s2, s17, s2
	s_addc_u32 s3, s16, s3
	global_load_dword v8, v2, s[2:3]
.LBB133_11:
	s_or_b32 exec_lo, exec_lo, s11
	v_lshl_or_b32 v2, v1, 5, v0
	v_mov_b32_e32 v12, 0
	v_cndmask_b32_e64 v10, 0, 1, s9
	v_mov_b32_e32 v11, 0
	s_lshr_b32 s7, s36, 8
	v_lshrrev_b32_e32 v13, 4, v2
	s_mov_b32 s11, exec_lo
	v_cmpx_gt_u32_e64 s7, v13
	s_cbranch_execz .LBB133_25
; %bb.12:
	v_lshlrev_b32_e32 v3, 1, v0
	v_bfe_u32 v6, v0, 2, 2
	s_mul_hi_u32 s2, s23, s8
	v_lshrrev_b32_e32 v11, 4, v2
	s_add_i32 s2, s8, s2
	v_bfe_u32 v4, v3, 3, 2
	v_and_b32_e32 v5, 30, v3
	v_mul_hi_u32_u24_e32 v3, 0x48, v6
	v_mul_u32_u24_e32 v2, 0x48, v6
	s_waitcnt lgkmcnt(0)
	s_lshr_b32 s2, s2, s34
	s_mul_i32 s35, s35, s6
	s_mul_i32 s2, s2, s24
	;; [unrolled: 1-line block ×3, first 2 shown]
	v_mad_u64_u32 v[2:3], null, 0x120, v11, v[2:3]
	s_mul_i32 s16, s33, s20
	s_add_i32 s2, s2, s35
	s_mul_i32 s17, s37, s21
	s_mul_i32 s19, s3, 36
	s_add_i32 s16, s16, s2
	s_mul_hi_u32 s3, s3, 36
	s_mul_hi_u32 s18, s17, 36
	s_mul_i32 s17, s17, 36
	s_add_u32 s14, s14, s19
	s_addc_u32 s3, s15, s3
	s_add_u32 s14, s14, s17
	s_addc_u32 s3, s3, s18
	v_add_co_u32 v2, vcc_lo, s14, v2
	v_and_b32_e32 v7, 3, v0
	v_add_co_ci_u32_e64 v3, null, s3, v3, vcc_lo
	v_add_co_u32 v2, vcc_lo, v2, 36
	v_lshlrev_b32_e32 v14, 5, v4
	v_mov_b32_e32 v12, 0
	v_lshlrev_b32_e32 v15, 2, v7
	v_cmp_lt_u32_e64 s2, 15, v5
	v_lshlrev_b32_e32 v16, 1, v4
	v_add_co_ci_u32_e64 v3, null, 0, v3, vcc_lo
	v_lshlrev_b32_e32 v17, 1, v4
	v_mov_b32_e32 v18, 0xffff
	v_mov_b32_e32 v11, 0
	s_mov_b32 s14, 0
	s_branch .LBB133_15
.LBB133_13:                             ;   in Loop: Header=BB133_15 Depth=1
	s_or_b32 exec_lo, exec_lo, s3
	global_load_dword v4, v[4:5], off
	s_waitcnt vmcnt(1)
	v_ashrrev_i32_e32 v5, v16, v37
	v_ashrrev_i32_e32 v6, v16, v36
	v_and_b32_e32 v7, 0xf0f0f0f, v35
	v_lshrrev_b32_e32 v35, 4, v35
	v_and_b32_e32 v37, 0xf0f0f0f, v34
	v_lshlrev_b32_e32 v36, 4, v5
	v_lshlrev_b32_e32 v38, 4, v6
	v_lshrrev_b32_e32 v34, 4, v34
	v_and_b32_e32 v35, 0xf0f0f0f, v35
	v_lshlrev_b32_e32 v5, 3, v5
	v_and_or_b32 v7, 0x10101010, v36, v7
	v_mov_b32_e32 v36, 0
	v_and_or_b32 v37, 0x10101010, v38, v37
	v_lshlrev_b32_e32 v6, 3, v6
	v_and_or_b32 v5, 0x10101010, v5, v35
	v_and_b32_e32 v35, 0xff, v33
	v_dot4c_i32_i8 v36, v7, v22
	v_and_b32_e32 v7, 0xf0f0f0f, v34
	v_mov_b32_e32 v34, 0
	v_dot4c_i32_i8 v36, v37, v21
	v_bfe_u32 v37, v33, 16, 8
	v_and_or_b32 v6, 0x10101010, v6, v7
	v_dot4c_i32_i8 v34, v5, v23
	v_and_b32_sdwa v5, v18, v33 dst_sel:DWORD dst_unused:UNUSED_PAD src0_sel:DWORD src1_sel:BYTE_1
	v_mul_lo_u32 v7, v32, v35
	v_lshrrev_b32_e32 v33, 24, v33
	v_mul_lo_u32 v35, v36, v37
	v_dot4c_i32_i8 v34, v6, v20
	v_mul_lo_u32 v5, v31, v5
	v_cvt_f32_i32_e32 v6, v7
	v_mul_lo_u32 v7, v34, v33
	v_cvt_f32_i32_e32 v33, v35
	v_cvt_f32_i32_e32 v5, v5
	v_fma_f32 v6, v27, v6, 0
	v_fma_f32 v33, v27, v33, 0
	v_cvt_f32_i32_e32 v7, v7
	v_fmac_f32_e32 v6, v28, v5
	v_fmac_f32_e32 v33, v28, v7
	s_waitcnt vmcnt(0)
	v_cvt_f32_f16_sdwa v5, v4 dst_sel:DWORD dst_unused:UNUSED_PAD src0_sel:WORD_1
	v_mul_f32_e32 v5, v6, v5
	v_fma_mix_f32 v4, v33, v4, -v5 op_sel_hi:[0,1,0]
	v_add_f32_e32 v11, v11, v4
.LBB133_14:                             ;   in Loop: Header=BB133_15 Depth=1
	s_waitcnt vmcnt(1)
	v_ashrrev_i32_e32 v4, v16, v30
	v_ashrrev_i32_e32 v5, v16, v29
	v_lshrrev_b32_e32 v7, 4, v26
	v_and_b32_e32 v26, 0xf0f0f0f, v26
	v_and_b32_e32 v6, 0xf0f0f0f, v25
	v_lshlrev_b32_e32 v29, 4, v4
	v_lshrrev_b32_e32 v25, 4, v25
	v_lshlrev_b32_e32 v30, 4, v5
	v_and_b32_e32 v7, 0xf0f0f0f, v7
	v_lshlrev_b32_e32 v4, 3, v4
	v_and_or_b32 v26, 0x10101010, v29, v26
	v_mov_b32_e32 v29, 0
	v_and_b32_e32 v25, 0xf0f0f0f, v25
	v_lshlrev_b32_e32 v5, 3, v5
	v_and_or_b32 v4, 0x10101010, v4, v7
	v_mov_b32_e32 v7, 0
	v_and_or_b32 v6, 0x10101010, v30, v6
	v_and_b32_e32 v30, 0xff, v24
	v_dot4c_i32_i8 v29, v26, v22
	v_and_or_b32 v5, 0x10101010, v5, v25
	v_dot4c_i32_i8 v7, v4, v23
	v_and_b32_sdwa v4, v18, v24 dst_sel:DWORD dst_unused:UNUSED_PAD src0_sel:DWORD src1_sel:BYTE_1
	v_mul_lo_u32 v22, v32, v30
	v_dot4c_i32_i8 v29, v6, v21
	v_bfe_u32 v6, v24, 16, 8
	v_dot4c_i32_i8 v7, v5, v20
	v_mul_lo_u32 v4, v31, v4
	v_lshrrev_b32_e32 v5, 24, v24
	v_add_nc_u32_e32 v13, 2, v13
	v_mul_lo_u32 v6, v29, v6
	v_cvt_f32_i32_e32 v20, v22
	v_add_co_u32 v2, s3, 0x240, v2
	v_mul_lo_u32 v5, v7, v5
	v_cvt_f32_i32_e32 v4, v4
	v_fma_f32 v7, v27, v20, 0
	s_waitcnt vmcnt(0)
	v_cvt_f32_f16_sdwa v20, v19 dst_sel:DWORD dst_unused:UNUSED_PAD src0_sel:WORD_1
	v_cvt_f32_i32_e32 v6, v6
	v_cmp_le_u32_e32 vcc_lo, s7, v13
	v_add_co_ci_u32_e64 v3, null, 0, v3, s3
	v_fmac_f32_e32 v7, v28, v4
	v_cvt_f32_i32_e32 v4, v5
	v_fma_f32 v5, v27, v6, 0
	s_or_b32 s14, vcc_lo, s14
	v_mul_f32_e32 v6, v7, v20
	v_fmac_f32_e32 v5, v28, v4
	v_fma_mix_f32 v4, v5, v19, -v6 op_sel_hi:[0,1,0]
	v_add_f32_e32 v12, v12, v4
	s_andn2_b32 exec_lo, exec_lo, s14
	s_cbranch_execz .LBB133_24
.LBB133_15:                             ; =>This Inner Loop Header: Depth=1
	v_add_nc_u32_e32 v6, s16, v13
	v_add_co_u32 v23, vcc_lo, v2, v15
	v_add_co_ci_u32_e64 v24, null, 0, v3, vcc_lo
	v_mad_i64_i32 v[4:5], null, 0xb0, v6, s[12:13]
	v_add_co_u32 v7, vcc_lo, v4, v14
	v_add_co_ci_u32_e64 v19, null, 0, v5, vcc_lo
	v_add_co_u32 v30, vcc_lo, v4, v15
	v_add_co_ci_u32_e64 v31, null, 0, v5, vcc_lo
	;; [unrolled: 2-line block ×3, first 2 shown]
	s_clause 0x5
	global_load_dword v7, v[2:3], off offset:-36
	global_load_dword v21, v[23:24], off offset:-32
	;; [unrolled: 1-line block ×3, first 2 shown]
	global_load_dword v28, v[2:3], off
	global_load_dword v20, v[23:24], off offset:4
	global_load_dword v23, v[23:24], off offset:20
	s_clause 0x4
	global_load_dword v25, v[26:27], off offset:48
	global_load_dword v26, v[26:27], off offset:64
	;; [unrolled: 1-line block ×4, first 2 shown]
	global_load_dword v19, v[4:5], off
	v_add_co_u32 v4, vcc_lo, v4, v17
	v_add_co_ci_u32_e64 v5, null, 0, v5, vcc_lo
                                        ; implicit-def: $vgpr24
	s_and_saveexec_b32 s3, s2
	s_xor_b32 s3, exec_lo, s3
	s_cbranch_execz .LBB133_17
; %bb.16:                               ;   in Loop: Header=BB133_15 Depth=1
	s_clause 0x1
	global_load_ushort v24, v[4:5], off offset:8
	global_load_ushort v27, v[4:5], off offset:4
	s_waitcnt vmcnt(1)
	v_mov_b32_e32 v31, v24
	global_load_short_d16_hi v31, v[4:5], off
	s_waitcnt vmcnt(1)
	v_perm_b32 v4, v24, v27, 0x5040100
	v_pk_lshrrev_b16 v4, 2, v4
	v_and_b32_e32 v4, 0xf0f3030, v4
	s_waitcnt vmcnt(0)
	v_pk_lshrrev_b16 v5, 0x20004, v31
	v_and_or_b32 v24, 0x30300f0f, v5, v4
                                        ; implicit-def: $vgpr4_vgpr5
.LBB133_17:                             ;   in Loop: Header=BB133_15 Depth=1
	s_andn2_saveexec_b32 s3, s3
	s_cbranch_execz .LBB133_19
; %bb.18:                               ;   in Loop: Header=BB133_15 Depth=1
	s_clause 0x1
	global_load_ushort v24, v[4:5], off offset:8
	global_load_short_d16_hi v24, v[4:5], off offset:4
	s_waitcnt vmcnt(0)
	v_and_b32_e32 v24, 0x3f3f3f3f, v24
.LBB133_19:                             ;   in Loop: Header=BB133_15 Depth=1
	s_or_b32 exec_lo, exec_lo, s3
	v_mov_b32_e32 v32, 0
	v_mov_b32_e32 v31, 0
	s_waitcnt vmcnt(10)
	v_cvt_f32_f16_e32 v27, v7
	s_waitcnt vmcnt(7)
	v_cvt_f32_f16_e32 v28, v28
	s_andn2_b32 vcc_lo, exec_lo, s9
	v_dot4c_i32_i8 v32, 0x1010101, v22
	s_waitcnt vmcnt(5)
	v_dot4c_i32_i8 v31, 0x1010101, v23
	v_dot4c_i32_i8 v32, 0x1010101, v21
	;; [unrolled: 1-line block ×3, first 2 shown]
	s_cbranch_vccnz .LBB133_14
; %bb.20:                               ;   in Loop: Header=BB133_15 Depth=1
	v_mad_i64_i32 v[4:5], null, 0xb0, v6, s[28:29]
                                        ; implicit-def: $vgpr33
	v_add_co_u32 v6, vcc_lo, v4, v14
	v_add_co_ci_u32_e64 v7, null, 0, v5, vcc_lo
	v_add_co_u32 v6, vcc_lo, v6, v15
	v_add_co_ci_u32_e64 v7, null, 0, v7, vcc_lo
	;; [unrolled: 2-line block ×3, first 2 shown]
	s_clause 0x3
	global_load_dword v34, v[6:7], off offset:48
	global_load_dword v35, v[6:7], off offset:64
	;; [unrolled: 1-line block ×4, first 2 shown]
	v_add_co_u32 v6, vcc_lo, v4, v17
	v_add_co_ci_u32_e64 v7, null, 0, v5, vcc_lo
	s_and_saveexec_b32 s3, s2
	s_xor_b32 s3, exec_lo, s3
	s_cbranch_execz .LBB133_22
; %bb.21:                               ;   in Loop: Header=BB133_15 Depth=1
	s_clause 0x1
	global_load_ushort v33, v[6:7], off offset:8
	global_load_ushort v38, v[6:7], off offset:4
	s_waitcnt vmcnt(1)
	v_mov_b32_e32 v39, v33
	global_load_short_d16_hi v39, v[6:7], off
	s_waitcnt vmcnt(1)
	v_perm_b32 v6, v33, v38, 0x5040100
	v_pk_lshrrev_b16 v6, 2, v6
	v_and_b32_e32 v6, 0xf0f3030, v6
	s_waitcnt vmcnt(0)
	v_pk_lshrrev_b16 v7, 0x20004, v39
	v_and_or_b32 v33, 0x30300f0f, v7, v6
                                        ; implicit-def: $vgpr6_vgpr7
.LBB133_22:                             ;   in Loop: Header=BB133_15 Depth=1
	s_andn2_saveexec_b32 s3, s3
	s_cbranch_execz .LBB133_13
; %bb.23:                               ;   in Loop: Header=BB133_15 Depth=1
	s_clause 0x1
	global_load_ushort v33, v[6:7], off offset:8
	global_load_short_d16_hi v33, v[6:7], off offset:4
	s_waitcnt vmcnt(0)
	v_and_b32_e32 v33, 0x3f3f3f3f, v33
	s_branch .LBB133_13
.LBB133_24:
	s_or_b32 exec_lo, exec_lo, s14
.LBB133_25:
	s_or_b32 exec_lo, exec_lo, s11
	s_load_dword s2, s[4:5], 0x30
	s_waitcnt vmcnt(0) lgkmcnt(0)
	; wave barrier
	buffer_gl0_inv
	s_mov_b32 s3, exec_lo
	v_cmpx_eq_u32_e32 0, v1
	s_cbranch_execz .LBB133_52
; %bb.26:
	v_mbcnt_lo_u32_b32 v2, -1, 0
	v_xor_b32_e32 v1, 16, v2
	v_xor_b32_e32 v4, 8, v2
	v_xor_b32_e32 v5, 4, v2
	v_cmp_gt_i32_e32 vcc_lo, 32, v1
	v_cndmask_b32_e32 v1, v2, v1, vcc_lo
	v_cmp_gt_i32_e32 vcc_lo, 32, v4
	v_lshlrev_b32_e32 v1, 2, v1
	v_cndmask_b32_e32 v4, v2, v4, vcc_lo
	v_cmp_gt_i32_e32 vcc_lo, 32, v5
	ds_bpermute_b32 v3, v1, v12
	v_lshlrev_b32_e32 v4, 2, v4
	v_cndmask_b32_e32 v5, v2, v5, vcc_lo
	v_lshlrev_b32_e32 v5, 2, v5
	s_waitcnt lgkmcnt(0)
	v_add_f32_e32 v3, v12, v3
	ds_bpermute_b32 v6, v4, v3
	s_waitcnt lgkmcnt(0)
	v_add_f32_e32 v3, v3, v6
	v_xor_b32_e32 v6, 2, v2
	ds_bpermute_b32 v7, v5, v3
	v_cmp_gt_i32_e32 vcc_lo, 32, v6
	v_cndmask_b32_e32 v6, v2, v6, vcc_lo
	v_lshlrev_b32_e32 v6, 2, v6
	s_waitcnt lgkmcnt(0)
	v_add_f32_e32 v3, v3, v7
	v_xor_b32_e32 v7, 1, v2
	ds_bpermute_b32 v12, v6, v3
	v_cmp_gt_i32_e32 vcc_lo, 32, v7
	v_cndmask_b32_e32 v2, v2, v7, vcc_lo
	v_cmp_ne_u32_e32 vcc_lo, 1, v10
	v_lshlrev_b32_e32 v7, 2, v2
	s_waitcnt lgkmcnt(0)
	v_add_f32_e32 v2, v3, v12
	ds_bpermute_b32 v3, v7, v2
	s_cbranch_vccnz .LBB133_28
; %bb.27:
	ds_bpermute_b32 v1, v1, v11
	s_waitcnt lgkmcnt(0)
	v_add_f32_e32 v1, v11, v1
	ds_bpermute_b32 v4, v4, v1
	s_waitcnt lgkmcnt(0)
	v_add_f32_e32 v1, v1, v4
	;; [unrolled: 3-line block ×5, first 2 shown]
.LBB133_28:
	v_cmp_eq_u32_e32 vcc_lo, 0, v0
	s_and_b32 exec_lo, exec_lo, vcc_lo
	s_cbranch_execz .LBB133_52
; %bb.29:
	s_waitcnt lgkmcnt(0)
	v_add_f32_e32 v1, v2, v3
	v_cmp_ne_u32_e32 vcc_lo, 1, v10
	v_add_f32_e32 v2, v9, v1
	v_cndmask_b32_e64 v1, v1, v2, s0
	s_cbranch_vccnz .LBB133_51
; %bb.30:
	v_add_f32_e32 v2, v8, v11
	s_cmp_lt_i32 s2, 2
	s_mov_b32 s0, 0
	v_cndmask_b32_e64 v2, v11, v2, s1
	s_cbranch_scc1 .LBB133_34
; %bb.31:
	s_cmp_gt_i32 s2, 2
	s_cbranch_scc0 .LBB133_35
; %bb.32:
	s_cmp_eq_u32 s2, 3
	s_cbranch_scc0 .LBB133_36
; %bb.33:
	v_max_f32_e32 v3, v2, v2
	s_mov_b32 s1, 0
	v_min_f32_e32 v3, 0x40e00000, v3
	v_mul_f32_e32 v4, 0xbfd9db23, v3
	v_mul_f32_e32 v5, 0x3fb8aa3b, v4
	v_cmp_ngt_f32_e32 vcc_lo, 0xc2ce8ed0, v4
	v_fma_f32 v6, 0x3fb8aa3b, v4, -v5
	v_rndne_f32_e32 v7, v5
	v_fmamk_f32 v6, v4, 0x32a5705f, v6
	v_sub_f32_e32 v5, v5, v7
	v_add_f32_e32 v5, v5, v6
	v_cvt_i32_f32_e32 v6, v7
	v_exp_f32_e32 v5, v5
	v_ldexp_f32 v5, v5, v6
	v_cndmask_b32_e32 v5, 0, v5, vcc_lo
	v_cmp_nlt_f32_e32 vcc_lo, 0x42b17218, v4
	v_cndmask_b32_e32 v4, 0x7f800000, v5, vcc_lo
	v_add_f32_e32 v4, 1.0, v4
	v_div_scale_f32 v5, null, v4, v4, v3
	v_div_scale_f32 v8, vcc_lo, v3, v4, v3
	v_rcp_f32_e32 v6, v5
	v_fma_f32 v7, -v5, v6, 1.0
	v_fmac_f32_e32 v6, v7, v6
	v_mul_f32_e32 v7, v8, v6
	v_fma_f32 v9, -v5, v7, v8
	v_fmac_f32_e32 v7, v9, v6
	v_max_f32_e32 v9, v1, v1
	v_fma_f32 v5, -v5, v7, v8
	v_min_f32_e32 v8, 0x40e00000, v9
	v_div_fmas_f32 v5, v5, v6, v7
	v_max_f32_e32 v6, 0xc0e00000, v8
	v_div_fixup_f32 v3, v5, v4, v3
	v_add_f32_e32 v4, 1.0, v6
	v_mul_f32_e32 v3, v4, v3
	s_branch .LBB133_37
.LBB133_34:
	s_mov_b32 s1, 0
                                        ; implicit-def: $vgpr3
	s_cbranch_execnz .LBB133_41
	s_branch .LBB133_42
.LBB133_35:
	s_mov_b32 s3, -1
	s_mov_b32 s1, 0
                                        ; implicit-def: $vgpr3
	s_branch .LBB133_38
.LBB133_36:
	s_mov_b32 s1, -1
                                        ; implicit-def: $vgpr3
.LBB133_37:
	s_mov_b32 s3, 0
.LBB133_38:
	s_and_b32 vcc_lo, exec_lo, s3
	s_cbranch_vccz .LBB133_40
; %bb.39:
	v_mul_f32_e32 v3, 0xbfb8aa3b, v2
	v_cmp_nlt_f32_e32 vcc_lo, 0x42ce8ed0, v2
	v_rndne_f32_e32 v4, v3
	v_fma_f32 v5, 0xbfb8aa3b, v2, -v3
	v_sub_f32_e32 v3, v3, v4
	v_fmamk_f32 v5, v2, 0xb2a5705f, v5
	v_cvt_i32_f32_e32 v4, v4
	v_add_f32_e32 v3, v3, v5
	v_exp_f32_e32 v3, v3
	v_ldexp_f32 v3, v3, v4
	v_cndmask_b32_e32 v3, 0, v3, vcc_lo
	v_cmp_ngt_f32_e32 vcc_lo, 0xc2b17218, v2
	v_cndmask_b32_e32 v3, 0x7f800000, v3, vcc_lo
	v_add_f32_e32 v3, 1.0, v3
	v_div_scale_f32 v4, null, v3, v3, v2
	v_rcp_f32_e32 v5, v4
	v_fma_f32 v6, -v4, v5, 1.0
	v_fmac_f32_e32 v5, v6, v5
	v_div_scale_f32 v6, vcc_lo, v2, v3, v2
	v_mul_f32_e32 v7, v6, v5
	v_fma_f32 v8, -v4, v7, v6
	v_fmac_f32_e32 v7, v8, v5
	v_fma_f32 v4, -v4, v7, v6
	v_div_fmas_f32 v4, v4, v5, v7
	v_div_fixup_f32 v3, v4, v3, v2
	v_mul_f32_e32 v3, v1, v3
.LBB133_40:
	s_branch .LBB133_42
.LBB133_41:
	s_cmp_lg_u32 s2, 1
	s_mov_b32 s0, -1
	s_cselect_b32 s1, -1, 0
.LBB133_42:
	s_andn2_b32 vcc_lo, exec_lo, s1
	s_cbranch_vccz .LBB133_44
; %bb.43:
	s_andn2_b32 vcc_lo, exec_lo, s0
	s_cbranch_vccz .LBB133_45
	s_branch .LBB133_50
.LBB133_44:
	v_mul_f32_e32 v3, v2, v1
	s_cbranch_execnz .LBB133_50
.LBB133_45:
	v_mul_f32_e32 v3, 0x3d372713, v2
	v_mul_f32_e32 v4, 0x3f4c422a, v2
	v_fma_f32 v3, v2, v3, 1.0
	v_mul_f32_e32 v3, v4, v3
                                        ; implicit-def: $vgpr4
	v_cmp_ngt_f32_e64 s0, 0x3f200000, |v3|
	s_and_saveexec_b32 s1, s0
	s_xor_b32 s0, exec_lo, s1
	s_cbranch_execz .LBB133_47
; %bb.46:
	v_add_f32_e64 v4, |v3|, |v3|
	v_mul_f32_e32 v5, 0x3fb8aa3b, v4
	v_cmp_ngt_f32_e32 vcc_lo, 0xc2ce8ed0, v4
	v_rndne_f32_e32 v6, v5
	v_fma_f32 v7, 0x3fb8aa3b, v4, -v5
	v_sub_f32_e32 v5, v5, v6
	v_fmamk_f32 v7, v4, 0x32a5705f, v7
	v_cvt_i32_f32_e32 v6, v6
	v_add_f32_e32 v5, v5, v7
	v_exp_f32_e32 v5, v5
	v_ldexp_f32 v5, v5, v6
	v_cndmask_b32_e32 v5, 0, v5, vcc_lo
	v_cmp_nlt_f32_e32 vcc_lo, 0x42b17218, v4
	v_cndmask_b32_e32 v4, 0x7f800000, v5, vcc_lo
	v_add_f32_e32 v4, 1.0, v4
	v_rcp_f32_e32 v4, v4
	v_fma_f32 v4, v4, -2.0, 1.0
.LBB133_47:
	s_andn2_saveexec_b32 s0, s0
	s_cbranch_execz .LBB133_49
; %bb.48:
	v_mul_f32_e32 v4, v3, v3
	s_mov_b32 s1, 0xbbbac73d
	v_fmaak_f32 v5, s1, v4, 0x3ca908c9
	v_fmaak_f32 v5, v4, v5, 0xbd5c1c4e
	;; [unrolled: 1-line block ×4, first 2 shown]
	v_mul_f32_e64 v5, |v3|, v5
	v_fma_f32 v4, v4, v5, |v3|
.LBB133_49:
	s_or_b32 exec_lo, exec_lo, s0
	v_bfi_b32 v3, 0x7fffffff, v4, v3
	v_mul_f32_e32 v2, 0.5, v2
	v_add_f32_e32 v3, 1.0, v3
	v_mul_f32_e32 v2, v2, v3
	v_mul_f32_e32 v3, v1, v2
.LBB133_50:
	v_mov_b32_e32 v1, v3
.LBB133_51:
	s_load_dwordx2 s[0:1], s[4:5], 0x38
	s_mul_i32 s2, s22, s10
	s_mul_i32 s3, s26, s8
	s_add_i32 s2, s2, s6
	v_lshlrev_b32_e32 v0, 2, v0
	s_add_i32 s2, s2, s3
	s_mov_b32 s3, 0
	s_lshl_b64 s[2:3], s[2:3], 2
	s_waitcnt lgkmcnt(0)
	s_add_u32 s0, s0, s2
	s_addc_u32 s1, s1, s3
	global_store_dword v0, v1, s[0:1]
.LBB133_52:
	s_endpgm
	.section	.rodata,"a",@progbits
	.p2align	6, 0x0
	.amdhsa_kernel _ZL13mul_mat_vec_qIL9ggml_type13ELi1ELb1ELb1EEvPKvS2_PKi31ggml_cuda_mm_fusion_args_devicePfj15HIP_vector_typeIjLj3EEjjjS8_jjjS8_jjjj
		.amdhsa_group_segment_fixed_size 0
		.amdhsa_private_segment_fixed_size 0
		.amdhsa_kernarg_size 144
		.amdhsa_user_sgpr_count 6
		.amdhsa_user_sgpr_private_segment_buffer 1
		.amdhsa_user_sgpr_dispatch_ptr 0
		.amdhsa_user_sgpr_queue_ptr 0
		.amdhsa_user_sgpr_kernarg_segment_ptr 1
		.amdhsa_user_sgpr_dispatch_id 0
		.amdhsa_user_sgpr_flat_scratch_init 0
		.amdhsa_user_sgpr_private_segment_size 0
		.amdhsa_wavefront_size32 1
		.amdhsa_uses_dynamic_stack 0
		.amdhsa_system_sgpr_private_segment_wavefront_offset 0
		.amdhsa_system_sgpr_workgroup_id_x 1
		.amdhsa_system_sgpr_workgroup_id_y 1
		.amdhsa_system_sgpr_workgroup_id_z 1
		.amdhsa_system_sgpr_workgroup_info 0
		.amdhsa_system_vgpr_workitem_id 1
		.amdhsa_next_free_vgpr 40
		.amdhsa_next_free_sgpr 40
		.amdhsa_reserve_vcc 1
		.amdhsa_reserve_flat_scratch 0
		.amdhsa_float_round_mode_32 0
		.amdhsa_float_round_mode_16_64 0
		.amdhsa_float_denorm_mode_32 3
		.amdhsa_float_denorm_mode_16_64 3
		.amdhsa_dx10_clamp 1
		.amdhsa_ieee_mode 1
		.amdhsa_fp16_overflow 0
		.amdhsa_workgroup_processor_mode 1
		.amdhsa_memory_ordered 1
		.amdhsa_forward_progress 1
		.amdhsa_shared_vgpr_count 0
		.amdhsa_exception_fp_ieee_invalid_op 0
		.amdhsa_exception_fp_denorm_src 0
		.amdhsa_exception_fp_ieee_div_zero 0
		.amdhsa_exception_fp_ieee_overflow 0
		.amdhsa_exception_fp_ieee_underflow 0
		.amdhsa_exception_fp_ieee_inexact 0
		.amdhsa_exception_int_div_zero 0
	.end_amdhsa_kernel
	.section	.text._ZL13mul_mat_vec_qIL9ggml_type13ELi1ELb1ELb1EEvPKvS2_PKi31ggml_cuda_mm_fusion_args_devicePfj15HIP_vector_typeIjLj3EEjjjS8_jjjS8_jjjj,"axG",@progbits,_ZL13mul_mat_vec_qIL9ggml_type13ELi1ELb1ELb1EEvPKvS2_PKi31ggml_cuda_mm_fusion_args_devicePfj15HIP_vector_typeIjLj3EEjjjS8_jjjS8_jjjj,comdat
.Lfunc_end133:
	.size	_ZL13mul_mat_vec_qIL9ggml_type13ELi1ELb1ELb1EEvPKvS2_PKi31ggml_cuda_mm_fusion_args_devicePfj15HIP_vector_typeIjLj3EEjjjS8_jjjS8_jjjj, .Lfunc_end133-_ZL13mul_mat_vec_qIL9ggml_type13ELi1ELb1ELb1EEvPKvS2_PKi31ggml_cuda_mm_fusion_args_devicePfj15HIP_vector_typeIjLj3EEjjjS8_jjjS8_jjjj
                                        ; -- End function
	.set _ZL13mul_mat_vec_qIL9ggml_type13ELi1ELb1ELb1EEvPKvS2_PKi31ggml_cuda_mm_fusion_args_devicePfj15HIP_vector_typeIjLj3EEjjjS8_jjjS8_jjjj.num_vgpr, 40
	.set _ZL13mul_mat_vec_qIL9ggml_type13ELi1ELb1ELb1EEvPKvS2_PKi31ggml_cuda_mm_fusion_args_devicePfj15HIP_vector_typeIjLj3EEjjjS8_jjjS8_jjjj.num_agpr, 0
	.set _ZL13mul_mat_vec_qIL9ggml_type13ELi1ELb1ELb1EEvPKvS2_PKi31ggml_cuda_mm_fusion_args_devicePfj15HIP_vector_typeIjLj3EEjjjS8_jjjS8_jjjj.numbered_sgpr, 40
	.set _ZL13mul_mat_vec_qIL9ggml_type13ELi1ELb1ELb1EEvPKvS2_PKi31ggml_cuda_mm_fusion_args_devicePfj15HIP_vector_typeIjLj3EEjjjS8_jjjS8_jjjj.num_named_barrier, 0
	.set _ZL13mul_mat_vec_qIL9ggml_type13ELi1ELb1ELb1EEvPKvS2_PKi31ggml_cuda_mm_fusion_args_devicePfj15HIP_vector_typeIjLj3EEjjjS8_jjjS8_jjjj.private_seg_size, 0
	.set _ZL13mul_mat_vec_qIL9ggml_type13ELi1ELb1ELb1EEvPKvS2_PKi31ggml_cuda_mm_fusion_args_devicePfj15HIP_vector_typeIjLj3EEjjjS8_jjjS8_jjjj.uses_vcc, 1
	.set _ZL13mul_mat_vec_qIL9ggml_type13ELi1ELb1ELb1EEvPKvS2_PKi31ggml_cuda_mm_fusion_args_devicePfj15HIP_vector_typeIjLj3EEjjjS8_jjjS8_jjjj.uses_flat_scratch, 0
	.set _ZL13mul_mat_vec_qIL9ggml_type13ELi1ELb1ELb1EEvPKvS2_PKi31ggml_cuda_mm_fusion_args_devicePfj15HIP_vector_typeIjLj3EEjjjS8_jjjS8_jjjj.has_dyn_sized_stack, 0
	.set _ZL13mul_mat_vec_qIL9ggml_type13ELi1ELb1ELb1EEvPKvS2_PKi31ggml_cuda_mm_fusion_args_devicePfj15HIP_vector_typeIjLj3EEjjjS8_jjjS8_jjjj.has_recursion, 0
	.set _ZL13mul_mat_vec_qIL9ggml_type13ELi1ELb1ELb1EEvPKvS2_PKi31ggml_cuda_mm_fusion_args_devicePfj15HIP_vector_typeIjLj3EEjjjS8_jjjS8_jjjj.has_indirect_call, 0
	.section	.AMDGPU.csdata,"",@progbits
; Kernel info:
; codeLenInByte = 3112
; TotalNumSgprs: 42
; NumVgprs: 40
; ScratchSize: 0
; MemoryBound: 0
; FloatMode: 240
; IeeeMode: 1
; LDSByteSize: 0 bytes/workgroup (compile time only)
; SGPRBlocks: 0
; VGPRBlocks: 4
; NumSGPRsForWavesPerEU: 42
; NumVGPRsForWavesPerEU: 40
; Occupancy: 16
; WaveLimiterHint : 0
; COMPUTE_PGM_RSRC2:SCRATCH_EN: 0
; COMPUTE_PGM_RSRC2:USER_SGPR: 6
; COMPUTE_PGM_RSRC2:TRAP_HANDLER: 0
; COMPUTE_PGM_RSRC2:TGID_X_EN: 1
; COMPUTE_PGM_RSRC2:TGID_Y_EN: 1
; COMPUTE_PGM_RSRC2:TGID_Z_EN: 1
; COMPUTE_PGM_RSRC2:TIDIG_COMP_CNT: 1
	.section	.text._ZL13mul_mat_vec_qIL9ggml_type13ELi1ELb0ELb1EEvPKvS2_PKi31ggml_cuda_mm_fusion_args_devicePfj15HIP_vector_typeIjLj3EEjjjS8_jjjS8_jjjj,"axG",@progbits,_ZL13mul_mat_vec_qIL9ggml_type13ELi1ELb0ELb1EEvPKvS2_PKi31ggml_cuda_mm_fusion_args_devicePfj15HIP_vector_typeIjLj3EEjjjS8_jjjS8_jjjj,comdat
	.globl	_ZL13mul_mat_vec_qIL9ggml_type13ELi1ELb0ELb1EEvPKvS2_PKi31ggml_cuda_mm_fusion_args_devicePfj15HIP_vector_typeIjLj3EEjjjS8_jjjS8_jjjj ; -- Begin function _ZL13mul_mat_vec_qIL9ggml_type13ELi1ELb0ELb1EEvPKvS2_PKi31ggml_cuda_mm_fusion_args_devicePfj15HIP_vector_typeIjLj3EEjjjS8_jjjS8_jjjj
	.p2align	8
	.type	_ZL13mul_mat_vec_qIL9ggml_type13ELi1ELb0ELb1EEvPKvS2_PKi31ggml_cuda_mm_fusion_args_devicePfj15HIP_vector_typeIjLj3EEjjjS8_jjjS8_jjjj,@function
_ZL13mul_mat_vec_qIL9ggml_type13ELi1ELb0ELb1EEvPKvS2_PKi31ggml_cuda_mm_fusion_args_devicePfj15HIP_vector_typeIjLj3EEjjjS8_jjjS8_jjjj: ; @_ZL13mul_mat_vec_qIL9ggml_type13ELi1ELb0ELb1EEvPKvS2_PKi31ggml_cuda_mm_fusion_args_devicePfj15HIP_vector_typeIjLj3EEjjjS8_jjjS8_jjjj
; %bb.0:
	s_clause 0x1
	s_load_dwordx2 s[0:1], s[4:5], 0x10
	s_load_dwordx4 s[16:19], s[4:5], 0x40
	s_mov_b32 s10, s7
	s_waitcnt lgkmcnt(0)
	s_cmp_lg_u64 s[0:1], 0
	s_cselect_b32 s7, -1, 0
	s_cmp_eq_u64 s[0:1], 0
	s_cbranch_scc1 .LBB134_5
; %bb.1:
	s_mov_b32 s11, 0
	s_lshl_b64 s[2:3], s[10:11], 2
	s_add_u32 s0, s0, s2
	s_addc_u32 s1, s1, s3
	s_load_dword s20, s[0:1], 0x0
	s_clause 0x1
	s_load_dwordx4 s[0:3], s[4:5], 0x68
	s_load_dword s21, s[4:5], 0x50
	s_cbranch_execnz .LBB134_3
.LBB134_2:
	s_load_dwordx2 s[12:13], s[4:5], 0x5c
	s_waitcnt lgkmcnt(0)
	s_mul_hi_u32 s9, s12, s10
	s_add_i32 s9, s10, s9
	s_lshr_b32 s20, s9, s13
.LBB134_3:
	s_load_dword s11, s[4:5], 0x78
	s_andn2_b32 vcc_lo, exec_lo, s7
	s_cbranch_vccnz .LBB134_6
; %bb.4:
	s_mul_hi_u32 s7, s17, s10
	s_add_i32 s7, s10, s7
	s_lshr_b32 s7, s7, s18
	s_mul_i32 s7, s7, s19
	s_sub_i32 s22, s10, s7
	s_branch .LBB134_7
.LBB134_5:
                                        ; implicit-def: $sgpr20
	s_clause 0x1
	s_load_dwordx4 s[0:3], s[4:5], 0x68
	s_load_dword s21, s[4:5], 0x50
	s_branch .LBB134_2
.LBB134_6:
	s_mov_b32 s22, s10
.LBB134_7:
	s_load_dwordx4 s[12:15], s[4:5], 0x80
	v_lshl_or_b32 v2, v1, 5, v0
	v_mov_b32_e32 v6, 0
	s_lshr_b32 s9, s16, 8
	s_mov_b32 s7, exec_lo
	v_lshrrev_b32_e32 v7, 4, v2
	v_cmpx_gt_u32_e64 s9, v7
	s_cbranch_execz .LBB134_15
; %bb.8:
	s_load_dwordx4 s[16:19], s[4:5], 0x0
	v_lshlrev_b32_e32 v3, 1, v0
	v_bfe_u32 v6, v0, 2, 2
	s_waitcnt lgkmcnt(0)
	s_mul_hi_u32 s3, s3, s8
	v_lshrrev_b32_e32 v10, 4, v2
	s_add_i32 s3, s8, s3
	v_bfe_u32 v4, v3, 3, 2
	v_and_b32_e32 v5, 30, v3
	v_mul_hi_u32_u24_e32 v3, 0x48, v6
	v_mul_u32_u24_e32 v2, 0x48, v6
	s_lshr_b32 s3, s3, s11
	s_mul_i32 s21, s21, s6
	s_mul_i32 s3, s3, s12
	;; [unrolled: 1-line block ×3, first 2 shown]
	v_mad_u64_u32 v[2:3], null, 0x120, v10, v[2:3]
	s_mul_i32 s0, s20, s0
	s_add_i32 s3, s3, s21
	s_mul_i32 s1, s22, s1
	s_mul_i32 s12, s11, 36
	s_add_i32 s3, s0, s3
	s_mul_hi_u32 s11, s11, 36
	s_mul_hi_u32 s0, s1, 36
	s_mul_i32 s1, s1, 36
	s_add_u32 s12, s18, s12
	s_addc_u32 s11, s19, s11
	s_add_u32 s1, s12, s1
	s_addc_u32 s11, s11, s0
	v_add_co_u32 v2, s0, s1, v2
	v_and_b32_e32 v9, 3, v0
	v_add_co_ci_u32_e64 v3, null, s11, v3, s0
	v_add_co_u32 v2, s0, v2, 36
	v_lshlrev_b32_e32 v8, 5, v4
	v_mov_b32_e32 v6, 0
	v_lshlrev_b32_e32 v9, 2, v9
	v_lshlrev_b32_e32 v10, 1, v4
	v_add_co_ci_u32_e64 v3, null, 0, v3, s0
	v_lshlrev_b32_e32 v11, 1, v4
	s_mov_b32 s11, 0
	v_cmp_lt_u32_e32 vcc_lo, 15, v5
	s_branch .LBB134_10
.LBB134_9:                              ;   in Loop: Header=BB134_10 Depth=1
	s_or_b32 exec_lo, exec_lo, s0
	s_waitcnt vmcnt(1)
	v_ashrrev_i32_e32 v4, v10, v23
	v_ashrrev_i32_e32 v5, v10, v22
	v_and_b32_e32 v23, 0xf0f0f0f, v20
	v_and_b32_e32 v22, 0xf0f0f0f, v21
	v_mov_b32_e32 v24, 0
	v_lshlrev_b32_e32 v25, 4, v4
	v_mov_b32_e32 v26, 0
	v_lshlrev_b32_e32 v27, 4, v5
	v_lshrrev_b32_e32 v20, 4, v20
	v_lshrrev_b32_e32 v21, 4, v21
	v_and_or_b32 v23, 0x10101010, v25, v23
	v_dot4c_i32_i8 v26, 0x1010101, v18
	v_and_or_b32 v22, 0x10101010, v27, v22
	v_mov_b32_e32 v25, 0
	v_lshlrev_b32_e32 v4, 3, v4
	v_dot4c_i32_i8 v24, v23, v18
	v_and_b32_e32 v18, 0xf0f0f0f, v20
	v_dot4c_i32_i8 v26, 0x1010101, v17
	v_and_b32_e32 v21, 0xf0f0f0f, v21
	v_lshlrev_b32_e32 v5, 3, v5
	v_dot4c_i32_i8 v24, v22, v17
	v_and_b32_e32 v17, 0xff00ff, v19
	v_and_or_b32 v4, 0x10101010, v4, v18
	v_mov_b32_e32 v18, 0
	v_dot4c_i32_i8 v25, 0x1010101, v16
	v_pk_lshrrev_b16 v19, 8, v19 op_sel_hi:[0,1]
	v_lshrrev_b32_e32 v20, 16, v17
	v_and_or_b32 v5, 0x10101010, v5, v21
	v_dot4c_i32_i8 v18, v4, v16
	v_dot4c_i32_i8 v25, 0x1010101, v15
	v_and_b32_e32 v4, 0xff, v17
	v_mul_lo_u32 v16, v26, v20
	v_lshrrev_b32_e32 v17, 16, v19
	v_dot4c_i32_i8 v18, v5, v15
	v_and_b32_e32 v5, 0xff, v19
	v_mul_lo_u32 v4, v24, v4
	v_add_nc_u32_e32 v7, 2, v7
	v_mul_lo_u32 v15, v25, v17
	s_waitcnt vmcnt(0)
	v_cvt_f32_f16_sdwa v17, v14 dst_sel:DWORD dst_unused:UNUSED_PAD src0_sel:WORD_1
	v_cvt_f32_i32_e32 v16, v16
	v_mul_lo_u32 v5, v18, v5
	v_cmp_le_u32_e64 s0, s9, v7
	v_add_co_u32 v2, s1, 0x240, v2
	v_cvt_f32_i32_e32 v4, v4
	v_fma_mix_f32 v16, v12, v16, 0 op_sel_hi:[1,0,0]
	v_cvt_f32_i32_e32 v15, v15
	v_add_co_ci_u32_e64 v3, null, 0, v3, s1
	v_fma_mix_f32 v4, v12, v4, 0 op_sel_hi:[1,0,0]
	v_cvt_f32_i32_e32 v5, v5
	v_fma_mix_f32 v12, v13, v15, v16 op_sel_hi:[1,0,0]
	s_or_b32 s11, s0, s11
	v_fma_mix_f32 v4, v13, v5, v4 op_sel_hi:[1,0,0]
	v_mul_f32_e32 v5, v12, v17
	v_fma_mix_f32 v4, v4, v14, -v5 op_sel_hi:[0,1,0]
	v_add_f32_e32 v6, v6, v4
	s_andn2_b32 exec_lo, exec_lo, s11
	s_cbranch_execz .LBB134_14
.LBB134_10:                             ; =>This Inner Loop Header: Depth=1
	v_add_nc_u32_e32 v4, s3, v7
	v_add_co_u32 v19, s0, v2, v9
	v_add_co_ci_u32_e64 v20, null, 0, v3, s0
	v_mad_i64_i32 v[4:5], null, 0xb0, v4, s[16:17]
	v_add_co_u32 v12, s0, v4, v8
	v_add_co_ci_u32_e64 v13, null, 0, v5, s0
	v_add_co_u32 v23, s0, v4, v9
	v_add_co_ci_u32_e64 v24, null, 0, v5, s0
	;; [unrolled: 2-line block ×3, first 2 shown]
	s_clause 0x5
	global_load_dword v12, v[2:3], off offset:-36
	global_load_dword v17, v[19:20], off offset:-32
	;; [unrolled: 1-line block ×3, first 2 shown]
	global_load_dword v13, v[2:3], off
	global_load_dword v15, v[19:20], off offset:4
	global_load_dword v16, v[19:20], off offset:20
	s_clause 0x4
	global_load_dword v21, v[25:26], off offset:48
	global_load_dword v20, v[25:26], off offset:64
	;; [unrolled: 1-line block ×4, first 2 shown]
	global_load_dword v14, v[4:5], off
	v_add_co_u32 v4, s0, v4, v11
	v_add_co_ci_u32_e64 v5, null, 0, v5, s0
                                        ; implicit-def: $vgpr19
	s_and_saveexec_b32 s0, vcc_lo
	s_xor_b32 s0, exec_lo, s0
	s_cbranch_execz .LBB134_12
; %bb.11:                               ;   in Loop: Header=BB134_10 Depth=1
	s_clause 0x2
	global_load_ushort v19, v[4:5], off
	global_load_ushort v24, v[4:5], off offset:8
	global_load_short_d16_hi v19, v[4:5], off offset:4
	s_waitcnt vmcnt(1)
	v_pk_lshrrev_b16 v4, 4, v24 op_sel:[1,0] op_sel_hi:[0,0]
	v_and_b32_e32 v4, 0xf0f0f0f, v4
	s_waitcnt vmcnt(0)
	v_pk_lshrrev_b16 v5, 2, v19 op_sel_hi:[0,1]
	v_and_or_b32 v19, 0x30303030, v5, v4
                                        ; implicit-def: $vgpr4_vgpr5
.LBB134_12:                             ;   in Loop: Header=BB134_10 Depth=1
	s_andn2_saveexec_b32 s0, s0
	s_cbranch_execz .LBB134_9
; %bb.13:                               ;   in Loop: Header=BB134_10 Depth=1
	s_clause 0x1
	global_load_ushort v19, v[4:5], off offset:4
	global_load_short_d16_hi v19, v[4:5], off offset:8
	s_waitcnt vmcnt(0)
	v_and_b32_e32 v19, 0x3f3f3f3f, v19
	s_branch .LBB134_9
.LBB134_14:
	s_or_b32 exec_lo, exec_lo, s11
.LBB134_15:
	s_or_b32 exec_lo, exec_lo, s7
	s_waitcnt lgkmcnt(0)
	; wave barrier
	buffer_gl0_inv
	s_mov_b32 s0, exec_lo
	v_cmpx_eq_u32_e32 0, v1
	s_cbranch_execz .LBB134_18
; %bb.16:
	v_mbcnt_lo_u32_b32 v1, -1, 0
	v_xor_b32_e32 v2, 16, v1
	v_xor_b32_e32 v3, 8, v1
	;; [unrolled: 1-line block ×3, first 2 shown]
	v_cmp_gt_i32_e32 vcc_lo, 32, v2
	v_cndmask_b32_e32 v2, v1, v2, vcc_lo
	v_cmp_gt_i32_e32 vcc_lo, 32, v3
	v_lshlrev_b32_e32 v2, 2, v2
	v_cndmask_b32_e32 v3, v1, v3, vcc_lo
	v_cmp_gt_i32_e32 vcc_lo, 32, v4
	ds_bpermute_b32 v2, v2, v6
	v_lshlrev_b32_e32 v3, 2, v3
	v_cndmask_b32_e32 v4, v1, v4, vcc_lo
	v_lshlrev_b32_e32 v4, 2, v4
	s_waitcnt lgkmcnt(0)
	v_add_f32_e32 v2, v6, v2
	ds_bpermute_b32 v3, v3, v2
	s_waitcnt lgkmcnt(0)
	v_add_f32_e32 v2, v2, v3
	ds_bpermute_b32 v3, v4, v2
	v_xor_b32_e32 v4, 2, v1
	v_cmp_gt_i32_e32 vcc_lo, 32, v4
	v_cndmask_b32_e32 v4, v1, v4, vcc_lo
	v_lshlrev_b32_e32 v4, 2, v4
	s_waitcnt lgkmcnt(0)
	v_add_f32_e32 v2, v2, v3
	ds_bpermute_b32 v3, v4, v2
	v_xor_b32_e32 v4, 1, v1
	v_cmp_gt_i32_e32 vcc_lo, 32, v4
	v_cndmask_b32_e32 v1, v1, v4, vcc_lo
	v_cmp_eq_u32_e32 vcc_lo, 0, v0
	v_lshlrev_b32_e32 v4, 2, v1
	s_waitcnt lgkmcnt(0)
	v_add_f32_e32 v1, v2, v3
	ds_bpermute_b32 v2, v4, v1
	s_and_b32 exec_lo, exec_lo, vcc_lo
	s_cbranch_execz .LBB134_18
; %bb.17:
	s_load_dwordx2 s[0:1], s[4:5], 0x38
	s_mul_i32 s2, s2, s10
	s_mul_i32 s3, s14, s8
	s_add_i32 s2, s2, s6
	s_waitcnt lgkmcnt(0)
	v_add_f32_e32 v0, v1, v2
	s_add_i32 s2, s2, s3
	s_mov_b32 s3, 0
	v_mov_b32_e32 v1, 0
	s_lshl_b64 s[2:3], s[2:3], 2
	s_add_u32 s0, s0, s2
	s_addc_u32 s1, s1, s3
	global_store_dword v1, v0, s[0:1]
.LBB134_18:
	s_endpgm
	.section	.rodata,"a",@progbits
	.p2align	6, 0x0
	.amdhsa_kernel _ZL13mul_mat_vec_qIL9ggml_type13ELi1ELb0ELb1EEvPKvS2_PKi31ggml_cuda_mm_fusion_args_devicePfj15HIP_vector_typeIjLj3EEjjjS8_jjjS8_jjjj
		.amdhsa_group_segment_fixed_size 0
		.amdhsa_private_segment_fixed_size 0
		.amdhsa_kernarg_size 144
		.amdhsa_user_sgpr_count 6
		.amdhsa_user_sgpr_private_segment_buffer 1
		.amdhsa_user_sgpr_dispatch_ptr 0
		.amdhsa_user_sgpr_queue_ptr 0
		.amdhsa_user_sgpr_kernarg_segment_ptr 1
		.amdhsa_user_sgpr_dispatch_id 0
		.amdhsa_user_sgpr_flat_scratch_init 0
		.amdhsa_user_sgpr_private_segment_size 0
		.amdhsa_wavefront_size32 1
		.amdhsa_uses_dynamic_stack 0
		.amdhsa_system_sgpr_private_segment_wavefront_offset 0
		.amdhsa_system_sgpr_workgroup_id_x 1
		.amdhsa_system_sgpr_workgroup_id_y 1
		.amdhsa_system_sgpr_workgroup_id_z 1
		.amdhsa_system_sgpr_workgroup_info 0
		.amdhsa_system_vgpr_workitem_id 1
		.amdhsa_next_free_vgpr 28
		.amdhsa_next_free_sgpr 23
		.amdhsa_reserve_vcc 1
		.amdhsa_reserve_flat_scratch 0
		.amdhsa_float_round_mode_32 0
		.amdhsa_float_round_mode_16_64 0
		.amdhsa_float_denorm_mode_32 3
		.amdhsa_float_denorm_mode_16_64 3
		.amdhsa_dx10_clamp 1
		.amdhsa_ieee_mode 1
		.amdhsa_fp16_overflow 0
		.amdhsa_workgroup_processor_mode 1
		.amdhsa_memory_ordered 1
		.amdhsa_forward_progress 1
		.amdhsa_shared_vgpr_count 0
		.amdhsa_exception_fp_ieee_invalid_op 0
		.amdhsa_exception_fp_denorm_src 0
		.amdhsa_exception_fp_ieee_div_zero 0
		.amdhsa_exception_fp_ieee_overflow 0
		.amdhsa_exception_fp_ieee_underflow 0
		.amdhsa_exception_fp_ieee_inexact 0
		.amdhsa_exception_int_div_zero 0
	.end_amdhsa_kernel
	.section	.text._ZL13mul_mat_vec_qIL9ggml_type13ELi1ELb0ELb1EEvPKvS2_PKi31ggml_cuda_mm_fusion_args_devicePfj15HIP_vector_typeIjLj3EEjjjS8_jjjS8_jjjj,"axG",@progbits,_ZL13mul_mat_vec_qIL9ggml_type13ELi1ELb0ELb1EEvPKvS2_PKi31ggml_cuda_mm_fusion_args_devicePfj15HIP_vector_typeIjLj3EEjjjS8_jjjS8_jjjj,comdat
.Lfunc_end134:
	.size	_ZL13mul_mat_vec_qIL9ggml_type13ELi1ELb0ELb1EEvPKvS2_PKi31ggml_cuda_mm_fusion_args_devicePfj15HIP_vector_typeIjLj3EEjjjS8_jjjS8_jjjj, .Lfunc_end134-_ZL13mul_mat_vec_qIL9ggml_type13ELi1ELb0ELb1EEvPKvS2_PKi31ggml_cuda_mm_fusion_args_devicePfj15HIP_vector_typeIjLj3EEjjjS8_jjjS8_jjjj
                                        ; -- End function
	.set _ZL13mul_mat_vec_qIL9ggml_type13ELi1ELb0ELb1EEvPKvS2_PKi31ggml_cuda_mm_fusion_args_devicePfj15HIP_vector_typeIjLj3EEjjjS8_jjjS8_jjjj.num_vgpr, 28
	.set _ZL13mul_mat_vec_qIL9ggml_type13ELi1ELb0ELb1EEvPKvS2_PKi31ggml_cuda_mm_fusion_args_devicePfj15HIP_vector_typeIjLj3EEjjjS8_jjjS8_jjjj.num_agpr, 0
	.set _ZL13mul_mat_vec_qIL9ggml_type13ELi1ELb0ELb1EEvPKvS2_PKi31ggml_cuda_mm_fusion_args_devicePfj15HIP_vector_typeIjLj3EEjjjS8_jjjS8_jjjj.numbered_sgpr, 23
	.set _ZL13mul_mat_vec_qIL9ggml_type13ELi1ELb0ELb1EEvPKvS2_PKi31ggml_cuda_mm_fusion_args_devicePfj15HIP_vector_typeIjLj3EEjjjS8_jjjS8_jjjj.num_named_barrier, 0
	.set _ZL13mul_mat_vec_qIL9ggml_type13ELi1ELb0ELb1EEvPKvS2_PKi31ggml_cuda_mm_fusion_args_devicePfj15HIP_vector_typeIjLj3EEjjjS8_jjjS8_jjjj.private_seg_size, 0
	.set _ZL13mul_mat_vec_qIL9ggml_type13ELi1ELb0ELb1EEvPKvS2_PKi31ggml_cuda_mm_fusion_args_devicePfj15HIP_vector_typeIjLj3EEjjjS8_jjjS8_jjjj.uses_vcc, 1
	.set _ZL13mul_mat_vec_qIL9ggml_type13ELi1ELb0ELb1EEvPKvS2_PKi31ggml_cuda_mm_fusion_args_devicePfj15HIP_vector_typeIjLj3EEjjjS8_jjjS8_jjjj.uses_flat_scratch, 0
	.set _ZL13mul_mat_vec_qIL9ggml_type13ELi1ELb0ELb1EEvPKvS2_PKi31ggml_cuda_mm_fusion_args_devicePfj15HIP_vector_typeIjLj3EEjjjS8_jjjS8_jjjj.has_dyn_sized_stack, 0
	.set _ZL13mul_mat_vec_qIL9ggml_type13ELi1ELb0ELb1EEvPKvS2_PKi31ggml_cuda_mm_fusion_args_devicePfj15HIP_vector_typeIjLj3EEjjjS8_jjjS8_jjjj.has_recursion, 0
	.set _ZL13mul_mat_vec_qIL9ggml_type13ELi1ELb0ELb1EEvPKvS2_PKi31ggml_cuda_mm_fusion_args_devicePfj15HIP_vector_typeIjLj3EEjjjS8_jjjS8_jjjj.has_indirect_call, 0
	.section	.AMDGPU.csdata,"",@progbits
; Kernel info:
; codeLenInByte = 1400
; TotalNumSgprs: 25
; NumVgprs: 28
; ScratchSize: 0
; MemoryBound: 0
; FloatMode: 240
; IeeeMode: 1
; LDSByteSize: 0 bytes/workgroup (compile time only)
; SGPRBlocks: 0
; VGPRBlocks: 3
; NumSGPRsForWavesPerEU: 25
; NumVGPRsForWavesPerEU: 28
; Occupancy: 16
; WaveLimiterHint : 0
; COMPUTE_PGM_RSRC2:SCRATCH_EN: 0
; COMPUTE_PGM_RSRC2:USER_SGPR: 6
; COMPUTE_PGM_RSRC2:TRAP_HANDLER: 0
; COMPUTE_PGM_RSRC2:TGID_X_EN: 1
; COMPUTE_PGM_RSRC2:TGID_Y_EN: 1
; COMPUTE_PGM_RSRC2:TGID_Z_EN: 1
; COMPUTE_PGM_RSRC2:TIDIG_COMP_CNT: 1
	.section	.text._ZL13mul_mat_vec_qIL9ggml_type13ELi1ELb1ELb0EEvPKvS2_PKi31ggml_cuda_mm_fusion_args_devicePfj15HIP_vector_typeIjLj3EEjjjS8_jjjS8_jjjj,"axG",@progbits,_ZL13mul_mat_vec_qIL9ggml_type13ELi1ELb1ELb0EEvPKvS2_PKi31ggml_cuda_mm_fusion_args_devicePfj15HIP_vector_typeIjLj3EEjjjS8_jjjS8_jjjj,comdat
	.globl	_ZL13mul_mat_vec_qIL9ggml_type13ELi1ELb1ELb0EEvPKvS2_PKi31ggml_cuda_mm_fusion_args_devicePfj15HIP_vector_typeIjLj3EEjjjS8_jjjS8_jjjj ; -- Begin function _ZL13mul_mat_vec_qIL9ggml_type13ELi1ELb1ELb0EEvPKvS2_PKi31ggml_cuda_mm_fusion_args_devicePfj15HIP_vector_typeIjLj3EEjjjS8_jjjS8_jjjj
	.p2align	8
	.type	_ZL13mul_mat_vec_qIL9ggml_type13ELi1ELb1ELb0EEvPKvS2_PKi31ggml_cuda_mm_fusion_args_devicePfj15HIP_vector_typeIjLj3EEjjjS8_jjjS8_jjjj,@function
_ZL13mul_mat_vec_qIL9ggml_type13ELi1ELb1ELb0EEvPKvS2_PKi31ggml_cuda_mm_fusion_args_devicePfj15HIP_vector_typeIjLj3EEjjjS8_jjjS8_jjjj: ; @_ZL13mul_mat_vec_qIL9ggml_type13ELi1ELb1ELb0EEvPKvS2_PKi31ggml_cuda_mm_fusion_args_devicePfj15HIP_vector_typeIjLj3EEjjjS8_jjjS8_jjjj
; %bb.0:
	s_clause 0x3
	s_load_dwordx8 s[12:19], s[4:5], 0x0
	s_load_dwordx4 s[28:31], s[4:5], 0x20
	s_load_dwordx4 s[36:39], s[4:5], 0x40
	;; [unrolled: 1-line block ×3, first 2 shown]
	s_mov_b32 s10, s7
	s_waitcnt lgkmcnt(0)
	s_cmp_lg_u64 s[16:17], 0
	s_cselect_b32 s0, -1, 0
	s_cmp_eq_u64 s[16:17], 0
	s_cbranch_scc1 .LBB135_5
; %bb.1:
	s_mov_b32 s11, 0
	s_lshl_b64 s[2:3], s[10:11], 2
	s_add_u32 s2, s16, s2
	s_addc_u32 s3, s17, s3
	s_load_dword s33, s[2:3], 0x0
	s_clause 0x1
	s_load_dword s35, s[4:5], 0x50
	s_load_dword s34, s[4:5], 0x78
	s_cbranch_execnz .LBB135_3
.LBB135_2:
	s_load_dwordx2 s[2:3], s[4:5], 0x5c
	s_waitcnt lgkmcnt(0)
	s_mul_hi_u32 s1, s2, s10
	s_add_i32 s1, s10, s1
	s_lshr_b32 s33, s1, s3
.LBB135_3:
	s_andn2_b32 vcc_lo, exec_lo, s0
	s_cbranch_vccnz .LBB135_6
; %bb.4:
	s_mul_hi_u32 s0, s37, s10
	s_waitcnt lgkmcnt(0)
	s_mov_b32 s1, s33
	s_add_i32 s0, s10, s0
	s_lshr_b32 s0, s0, s38
	s_mul_i32 s0, s0, s39
	s_sub_i32 s37, s10, s0
	s_branch .LBB135_7
.LBB135_5:
                                        ; implicit-def: $sgpr33
	s_clause 0x1
	s_load_dword s35, s[4:5], 0x50
	s_load_dword s34, s[4:5], 0x78
	s_branch .LBB135_2
.LBB135_6:
	s_mov_b32 s1, s10
	s_mov_b32 s37, s10
.LBB135_7:
	s_load_dwordx4 s[24:27], s[4:5], 0x80
	v_or_b32_e32 v2, v0, v1
	s_cmp_lg_u64 s[18:19], 0
	v_mov_b32_e32 v8, 0
	v_mov_b32_e32 v9, 0
	s_cselect_b32 s0, -1, 0
	v_cmp_eq_u32_e32 vcc_lo, 0, v2
	s_mov_b32 s17, 0
	s_mul_i32 s2, s1, s22
	s_and_b32 s3, s0, vcc_lo
	s_and_saveexec_b32 s1, s3
	s_cbranch_execz .LBB135_9
; %bb.8:
	s_waitcnt lgkmcnt(0)
	s_mul_i32 s16, s26, s8
	s_mov_b32 s3, s17
	s_lshl_b64 s[38:39], s[16:17], 2
	v_lshlrev_b32_e32 v2, 2, v0
	s_add_u32 s7, s18, s38
	s_addc_u32 s9, s19, s39
	s_lshl_b64 s[16:17], s[2:3], 2
	s_add_u32 s3, s7, s16
	s_addc_u32 s9, s9, s17
	s_ashr_i32 s7, s6, 31
	s_lshl_b64 s[16:17], s[6:7], 2
	s_add_u32 s16, s3, s16
	s_addc_u32 s17, s9, s17
	global_load_dword v9, v2, s[16:17]
.LBB135_9:
	s_or_b32 exec_lo, exec_lo, s1
	s_cmp_lg_u64 s[28:29], 0
	s_cselect_b32 s9, -1, 0
	s_cmp_lg_u64 s[30:31], 0
	s_cselect_b32 s1, -1, 0
	s_and_b32 s3, s1, s9
	s_and_b32 s3, s3, vcc_lo
	s_and_saveexec_b32 s11, s3
	s_cbranch_execz .LBB135_11
; %bb.10:
	s_waitcnt lgkmcnt(0)
	s_mul_i32 s16, s26, s8
	s_mov_b32 s17, 0
	v_lshlrev_b32_e32 v2, 2, v0
	s_lshl_b64 s[18:19], s[16:17], 2
	s_mov_b32 s3, s17
	s_add_u32 s7, s30, s18
	s_addc_u32 s16, s31, s19
	s_lshl_b64 s[2:3], s[2:3], 2
	s_add_u32 s17, s7, s2
	s_addc_u32 s16, s16, s3
	s_ashr_i32 s7, s6, 31
	s_lshl_b64 s[2:3], s[6:7], 2
	s_add_u32 s2, s17, s2
	s_addc_u32 s3, s16, s3
	global_load_dword v8, v2, s[2:3]
.LBB135_11:
	s_or_b32 exec_lo, exec_lo, s11
	v_lshl_or_b32 v2, v1, 5, v0
	v_mov_b32_e32 v12, 0
	v_cndmask_b32_e64 v10, 0, 1, s9
	v_mov_b32_e32 v11, 0
	s_lshr_b32 s7, s36, 8
	v_lshrrev_b32_e32 v13, 4, v2
	s_mov_b32 s11, exec_lo
	v_cmpx_gt_u32_e64 s7, v13
	s_cbranch_execz .LBB135_25
; %bb.12:
	v_lshlrev_b32_e32 v3, 1, v0
	v_bfe_u32 v6, v0, 2, 2
	s_mul_hi_u32 s2, s23, s8
	v_lshrrev_b32_e32 v11, 4, v2
	s_add_i32 s2, s8, s2
	v_bfe_u32 v4, v3, 3, 2
	v_and_b32_e32 v5, 30, v3
	v_mul_hi_u32_u24_e32 v3, 0x48, v6
	v_mul_u32_u24_e32 v2, 0x48, v6
	s_waitcnt lgkmcnt(0)
	s_lshr_b32 s2, s2, s34
	s_mul_i32 s35, s35, s6
	s_mul_i32 s2, s2, s24
	;; [unrolled: 1-line block ×3, first 2 shown]
	v_mad_u64_u32 v[2:3], null, 0x120, v11, v[2:3]
	s_mul_i32 s16, s33, s20
	s_add_i32 s2, s2, s35
	s_mul_i32 s17, s37, s21
	s_mul_i32 s19, s3, 36
	s_add_i32 s16, s16, s2
	s_mul_hi_u32 s3, s3, 36
	s_mul_hi_u32 s18, s17, 36
	s_mul_i32 s17, s17, 36
	s_add_u32 s14, s14, s19
	s_addc_u32 s3, s15, s3
	s_add_u32 s14, s14, s17
	s_addc_u32 s3, s3, s18
	v_add_co_u32 v2, vcc_lo, s14, v2
	v_and_b32_e32 v7, 3, v0
	v_add_co_ci_u32_e64 v3, null, s3, v3, vcc_lo
	v_add_co_u32 v2, vcc_lo, v2, 36
	v_lshlrev_b32_e32 v14, 5, v4
	v_mov_b32_e32 v12, 0
	v_lshlrev_b32_e32 v15, 2, v7
	v_cmp_lt_u32_e64 s2, 15, v5
	v_lshlrev_b32_e32 v16, 1, v4
	v_add_co_ci_u32_e64 v3, null, 0, v3, vcc_lo
	v_lshlrev_b32_e32 v17, 1, v4
	v_mov_b32_e32 v18, 0xffff
	v_mov_b32_e32 v11, 0
	s_mov_b32 s14, 0
	s_branch .LBB135_15
.LBB135_13:                             ;   in Loop: Header=BB135_15 Depth=1
	s_or_b32 exec_lo, exec_lo, s3
	global_load_dword v4, v[4:5], off
	s_waitcnt vmcnt(1)
	v_ashrrev_i32_e32 v5, v16, v37
	v_ashrrev_i32_e32 v6, v16, v36
	v_and_b32_e32 v7, 0xf0f0f0f, v35
	v_lshrrev_b32_e32 v35, 4, v35
	v_and_b32_e32 v37, 0xf0f0f0f, v34
	v_lshlrev_b32_e32 v36, 4, v5
	v_lshlrev_b32_e32 v38, 4, v6
	v_lshrrev_b32_e32 v34, 4, v34
	v_and_b32_e32 v35, 0xf0f0f0f, v35
	v_lshlrev_b32_e32 v5, 3, v5
	v_and_or_b32 v7, 0x10101010, v36, v7
	v_mov_b32_e32 v36, 0
	v_and_or_b32 v37, 0x10101010, v38, v37
	v_lshlrev_b32_e32 v6, 3, v6
	v_and_or_b32 v5, 0x10101010, v5, v35
	v_and_b32_e32 v35, 0xff, v33
	v_dot4c_i32_i8 v36, v7, v22
	v_and_b32_e32 v7, 0xf0f0f0f, v34
	v_mov_b32_e32 v34, 0
	v_dot4c_i32_i8 v36, v37, v21
	v_bfe_u32 v37, v33, 16, 8
	v_and_or_b32 v6, 0x10101010, v6, v7
	v_dot4c_i32_i8 v34, v5, v23
	v_and_b32_sdwa v5, v18, v33 dst_sel:DWORD dst_unused:UNUSED_PAD src0_sel:DWORD src1_sel:BYTE_1
	v_mul_lo_u32 v7, v32, v35
	v_lshrrev_b32_e32 v33, 24, v33
	v_mul_lo_u32 v35, v36, v37
	v_dot4c_i32_i8 v34, v6, v20
	v_mul_lo_u32 v5, v31, v5
	v_cvt_f32_i32_e32 v6, v7
	v_mul_lo_u32 v7, v34, v33
	v_cvt_f32_i32_e32 v33, v35
	v_cvt_f32_i32_e32 v5, v5
	v_fma_f32 v6, v27, v6, 0
	v_fma_f32 v33, v27, v33, 0
	v_cvt_f32_i32_e32 v7, v7
	v_fmac_f32_e32 v6, v28, v5
	v_fmac_f32_e32 v33, v28, v7
	s_waitcnt vmcnt(0)
	v_cvt_f32_f16_sdwa v5, v4 dst_sel:DWORD dst_unused:UNUSED_PAD src0_sel:WORD_1
	v_mul_f32_e32 v5, v6, v5
	v_fma_mix_f32 v4, v33, v4, -v5 op_sel_hi:[0,1,0]
	v_add_f32_e32 v11, v11, v4
.LBB135_14:                             ;   in Loop: Header=BB135_15 Depth=1
	s_waitcnt vmcnt(1)
	v_ashrrev_i32_e32 v4, v16, v30
	v_ashrrev_i32_e32 v5, v16, v29
	v_lshrrev_b32_e32 v7, 4, v26
	v_and_b32_e32 v26, 0xf0f0f0f, v26
	v_and_b32_e32 v6, 0xf0f0f0f, v25
	v_lshlrev_b32_e32 v29, 4, v4
	v_lshrrev_b32_e32 v25, 4, v25
	v_lshlrev_b32_e32 v30, 4, v5
	v_and_b32_e32 v7, 0xf0f0f0f, v7
	v_lshlrev_b32_e32 v4, 3, v4
	v_and_or_b32 v26, 0x10101010, v29, v26
	v_mov_b32_e32 v29, 0
	v_and_b32_e32 v25, 0xf0f0f0f, v25
	v_lshlrev_b32_e32 v5, 3, v5
	v_and_or_b32 v4, 0x10101010, v4, v7
	v_mov_b32_e32 v7, 0
	v_and_or_b32 v6, 0x10101010, v30, v6
	v_and_b32_e32 v30, 0xff, v24
	v_dot4c_i32_i8 v29, v26, v22
	v_and_or_b32 v5, 0x10101010, v5, v25
	v_dot4c_i32_i8 v7, v4, v23
	v_and_b32_sdwa v4, v18, v24 dst_sel:DWORD dst_unused:UNUSED_PAD src0_sel:DWORD src1_sel:BYTE_1
	v_mul_lo_u32 v22, v32, v30
	v_dot4c_i32_i8 v29, v6, v21
	v_bfe_u32 v6, v24, 16, 8
	v_dot4c_i32_i8 v7, v5, v20
	v_mul_lo_u32 v4, v31, v4
	v_lshrrev_b32_e32 v5, 24, v24
	v_add_nc_u32_e32 v13, 2, v13
	v_mul_lo_u32 v6, v29, v6
	v_cvt_f32_i32_e32 v20, v22
	v_add_co_u32 v2, s3, 0x240, v2
	v_mul_lo_u32 v5, v7, v5
	v_cvt_f32_i32_e32 v4, v4
	v_fma_f32 v7, v27, v20, 0
	s_waitcnt vmcnt(0)
	v_cvt_f32_f16_sdwa v20, v19 dst_sel:DWORD dst_unused:UNUSED_PAD src0_sel:WORD_1
	v_cvt_f32_i32_e32 v6, v6
	v_cmp_le_u32_e32 vcc_lo, s7, v13
	v_add_co_ci_u32_e64 v3, null, 0, v3, s3
	v_fmac_f32_e32 v7, v28, v4
	v_cvt_f32_i32_e32 v4, v5
	v_fma_f32 v5, v27, v6, 0
	s_or_b32 s14, vcc_lo, s14
	v_mul_f32_e32 v6, v7, v20
	v_fmac_f32_e32 v5, v28, v4
	v_fma_mix_f32 v4, v5, v19, -v6 op_sel_hi:[0,1,0]
	v_add_f32_e32 v12, v12, v4
	s_andn2_b32 exec_lo, exec_lo, s14
	s_cbranch_execz .LBB135_24
.LBB135_15:                             ; =>This Inner Loop Header: Depth=1
	v_add_nc_u32_e32 v6, s16, v13
	v_add_co_u32 v23, vcc_lo, v2, v15
	v_add_co_ci_u32_e64 v24, null, 0, v3, vcc_lo
	v_mad_i64_i32 v[4:5], null, 0xb0, v6, s[12:13]
	v_add_co_u32 v7, vcc_lo, v4, v14
	v_add_co_ci_u32_e64 v19, null, 0, v5, vcc_lo
	v_add_co_u32 v30, vcc_lo, v4, v15
	v_add_co_ci_u32_e64 v31, null, 0, v5, vcc_lo
	;; [unrolled: 2-line block ×3, first 2 shown]
	s_clause 0x5
	global_load_dword v7, v[2:3], off offset:-36
	global_load_dword v21, v[23:24], off offset:-32
	;; [unrolled: 1-line block ×3, first 2 shown]
	global_load_dword v28, v[2:3], off
	global_load_dword v20, v[23:24], off offset:4
	global_load_dword v23, v[23:24], off offset:20
	s_clause 0x4
	global_load_dword v25, v[26:27], off offset:48
	global_load_dword v26, v[26:27], off offset:64
	;; [unrolled: 1-line block ×4, first 2 shown]
	global_load_dword v19, v[4:5], off
	v_add_co_u32 v4, vcc_lo, v4, v17
	v_add_co_ci_u32_e64 v5, null, 0, v5, vcc_lo
                                        ; implicit-def: $vgpr24
	s_and_saveexec_b32 s3, s2
	s_xor_b32 s3, exec_lo, s3
	s_cbranch_execz .LBB135_17
; %bb.16:                               ;   in Loop: Header=BB135_15 Depth=1
	s_clause 0x1
	global_load_ushort v24, v[4:5], off offset:8
	global_load_ushort v27, v[4:5], off offset:4
	s_waitcnt vmcnt(1)
	v_mov_b32_e32 v31, v24
	global_load_short_d16_hi v31, v[4:5], off
	s_waitcnt vmcnt(1)
	v_perm_b32 v4, v24, v27, 0x5040100
	v_pk_lshrrev_b16 v4, 2, v4
	v_and_b32_e32 v4, 0xf0f3030, v4
	s_waitcnt vmcnt(0)
	v_pk_lshrrev_b16 v5, 0x20004, v31
	v_and_or_b32 v24, 0x30300f0f, v5, v4
                                        ; implicit-def: $vgpr4_vgpr5
.LBB135_17:                             ;   in Loop: Header=BB135_15 Depth=1
	s_andn2_saveexec_b32 s3, s3
	s_cbranch_execz .LBB135_19
; %bb.18:                               ;   in Loop: Header=BB135_15 Depth=1
	s_clause 0x1
	global_load_ushort v24, v[4:5], off offset:8
	global_load_short_d16_hi v24, v[4:5], off offset:4
	s_waitcnt vmcnt(0)
	v_and_b32_e32 v24, 0x3f3f3f3f, v24
.LBB135_19:                             ;   in Loop: Header=BB135_15 Depth=1
	s_or_b32 exec_lo, exec_lo, s3
	v_mov_b32_e32 v32, 0
	v_mov_b32_e32 v31, 0
	s_waitcnt vmcnt(10)
	v_cvt_f32_f16_e32 v27, v7
	s_waitcnt vmcnt(7)
	v_cvt_f32_f16_e32 v28, v28
	s_andn2_b32 vcc_lo, exec_lo, s9
	v_dot4c_i32_i8 v32, 0x1010101, v22
	s_waitcnt vmcnt(5)
	v_dot4c_i32_i8 v31, 0x1010101, v23
	v_dot4c_i32_i8 v32, 0x1010101, v21
	;; [unrolled: 1-line block ×3, first 2 shown]
	s_cbranch_vccnz .LBB135_14
; %bb.20:                               ;   in Loop: Header=BB135_15 Depth=1
	v_mad_i64_i32 v[4:5], null, 0xb0, v6, s[28:29]
                                        ; implicit-def: $vgpr33
	v_add_co_u32 v6, vcc_lo, v4, v14
	v_add_co_ci_u32_e64 v7, null, 0, v5, vcc_lo
	v_add_co_u32 v6, vcc_lo, v6, v15
	v_add_co_ci_u32_e64 v7, null, 0, v7, vcc_lo
	;; [unrolled: 2-line block ×3, first 2 shown]
	s_clause 0x3
	global_load_dword v34, v[6:7], off offset:48
	global_load_dword v35, v[6:7], off offset:64
	;; [unrolled: 1-line block ×4, first 2 shown]
	v_add_co_u32 v6, vcc_lo, v4, v17
	v_add_co_ci_u32_e64 v7, null, 0, v5, vcc_lo
	s_and_saveexec_b32 s3, s2
	s_xor_b32 s3, exec_lo, s3
	s_cbranch_execz .LBB135_22
; %bb.21:                               ;   in Loop: Header=BB135_15 Depth=1
	s_clause 0x1
	global_load_ushort v33, v[6:7], off offset:8
	global_load_ushort v38, v[6:7], off offset:4
	s_waitcnt vmcnt(1)
	v_mov_b32_e32 v39, v33
	global_load_short_d16_hi v39, v[6:7], off
	s_waitcnt vmcnt(1)
	v_perm_b32 v6, v33, v38, 0x5040100
	v_pk_lshrrev_b16 v6, 2, v6
	v_and_b32_e32 v6, 0xf0f3030, v6
	s_waitcnt vmcnt(0)
	v_pk_lshrrev_b16 v7, 0x20004, v39
	v_and_or_b32 v33, 0x30300f0f, v7, v6
                                        ; implicit-def: $vgpr6_vgpr7
.LBB135_22:                             ;   in Loop: Header=BB135_15 Depth=1
	s_andn2_saveexec_b32 s3, s3
	s_cbranch_execz .LBB135_13
; %bb.23:                               ;   in Loop: Header=BB135_15 Depth=1
	s_clause 0x1
	global_load_ushort v33, v[6:7], off offset:8
	global_load_short_d16_hi v33, v[6:7], off offset:4
	s_waitcnt vmcnt(0)
	v_and_b32_e32 v33, 0x3f3f3f3f, v33
	s_branch .LBB135_13
.LBB135_24:
	s_or_b32 exec_lo, exec_lo, s14
.LBB135_25:
	s_or_b32 exec_lo, exec_lo, s11
	s_load_dword s2, s[4:5], 0x30
	s_waitcnt vmcnt(0) lgkmcnt(0)
	; wave barrier
	buffer_gl0_inv
	s_mov_b32 s3, exec_lo
	v_cmpx_eq_u32_e32 0, v1
	s_cbranch_execz .LBB135_52
; %bb.26:
	v_mbcnt_lo_u32_b32 v2, -1, 0
	v_xor_b32_e32 v1, 16, v2
	v_xor_b32_e32 v4, 8, v2
	;; [unrolled: 1-line block ×3, first 2 shown]
	v_cmp_gt_i32_e32 vcc_lo, 32, v1
	v_cndmask_b32_e32 v1, v2, v1, vcc_lo
	v_cmp_gt_i32_e32 vcc_lo, 32, v4
	v_lshlrev_b32_e32 v1, 2, v1
	v_cndmask_b32_e32 v4, v2, v4, vcc_lo
	v_cmp_gt_i32_e32 vcc_lo, 32, v5
	ds_bpermute_b32 v3, v1, v12
	v_lshlrev_b32_e32 v4, 2, v4
	v_cndmask_b32_e32 v5, v2, v5, vcc_lo
	v_lshlrev_b32_e32 v5, 2, v5
	s_waitcnt lgkmcnt(0)
	v_add_f32_e32 v3, v12, v3
	ds_bpermute_b32 v6, v4, v3
	s_waitcnt lgkmcnt(0)
	v_add_f32_e32 v3, v3, v6
	v_xor_b32_e32 v6, 2, v2
	ds_bpermute_b32 v7, v5, v3
	v_cmp_gt_i32_e32 vcc_lo, 32, v6
	v_cndmask_b32_e32 v6, v2, v6, vcc_lo
	v_lshlrev_b32_e32 v6, 2, v6
	s_waitcnt lgkmcnt(0)
	v_add_f32_e32 v3, v3, v7
	v_xor_b32_e32 v7, 1, v2
	ds_bpermute_b32 v12, v6, v3
	v_cmp_gt_i32_e32 vcc_lo, 32, v7
	v_cndmask_b32_e32 v2, v2, v7, vcc_lo
	v_cmp_ne_u32_e32 vcc_lo, 1, v10
	v_lshlrev_b32_e32 v7, 2, v2
	s_waitcnt lgkmcnt(0)
	v_add_f32_e32 v2, v3, v12
	ds_bpermute_b32 v3, v7, v2
	s_cbranch_vccnz .LBB135_28
; %bb.27:
	ds_bpermute_b32 v1, v1, v11
	s_waitcnt lgkmcnt(0)
	v_add_f32_e32 v1, v11, v1
	ds_bpermute_b32 v4, v4, v1
	s_waitcnt lgkmcnt(0)
	v_add_f32_e32 v1, v1, v4
	;; [unrolled: 3-line block ×5, first 2 shown]
.LBB135_28:
	v_cmp_eq_u32_e32 vcc_lo, 0, v0
	s_and_b32 exec_lo, exec_lo, vcc_lo
	s_cbranch_execz .LBB135_52
; %bb.29:
	s_waitcnt lgkmcnt(0)
	v_add_f32_e32 v1, v2, v3
	v_cmp_ne_u32_e32 vcc_lo, 1, v10
	v_add_f32_e32 v2, v9, v1
	v_cndmask_b32_e64 v1, v1, v2, s0
	s_cbranch_vccnz .LBB135_51
; %bb.30:
	v_add_f32_e32 v2, v8, v11
	s_cmp_lt_i32 s2, 2
	s_mov_b32 s0, 0
	v_cndmask_b32_e64 v2, v11, v2, s1
	s_cbranch_scc1 .LBB135_34
; %bb.31:
	s_cmp_gt_i32 s2, 2
	s_cbranch_scc0 .LBB135_35
; %bb.32:
	s_cmp_eq_u32 s2, 3
	s_cbranch_scc0 .LBB135_36
; %bb.33:
	v_max_f32_e32 v3, v2, v2
	s_mov_b32 s1, 0
	v_min_f32_e32 v3, 0x40e00000, v3
	v_mul_f32_e32 v4, 0xbfd9db23, v3
	v_mul_f32_e32 v5, 0x3fb8aa3b, v4
	v_cmp_ngt_f32_e32 vcc_lo, 0xc2ce8ed0, v4
	v_fma_f32 v6, 0x3fb8aa3b, v4, -v5
	v_rndne_f32_e32 v7, v5
	v_fmamk_f32 v6, v4, 0x32a5705f, v6
	v_sub_f32_e32 v5, v5, v7
	v_add_f32_e32 v5, v5, v6
	v_cvt_i32_f32_e32 v6, v7
	v_exp_f32_e32 v5, v5
	v_ldexp_f32 v5, v5, v6
	v_cndmask_b32_e32 v5, 0, v5, vcc_lo
	v_cmp_nlt_f32_e32 vcc_lo, 0x42b17218, v4
	v_cndmask_b32_e32 v4, 0x7f800000, v5, vcc_lo
	v_add_f32_e32 v4, 1.0, v4
	v_div_scale_f32 v5, null, v4, v4, v3
	v_div_scale_f32 v8, vcc_lo, v3, v4, v3
	v_rcp_f32_e32 v6, v5
	v_fma_f32 v7, -v5, v6, 1.0
	v_fmac_f32_e32 v6, v7, v6
	v_mul_f32_e32 v7, v8, v6
	v_fma_f32 v9, -v5, v7, v8
	v_fmac_f32_e32 v7, v9, v6
	v_max_f32_e32 v9, v1, v1
	v_fma_f32 v5, -v5, v7, v8
	v_min_f32_e32 v8, 0x40e00000, v9
	v_div_fmas_f32 v5, v5, v6, v7
	v_max_f32_e32 v6, 0xc0e00000, v8
	v_div_fixup_f32 v3, v5, v4, v3
	v_add_f32_e32 v4, 1.0, v6
	v_mul_f32_e32 v3, v4, v3
	s_branch .LBB135_37
.LBB135_34:
	s_mov_b32 s1, 0
                                        ; implicit-def: $vgpr3
	s_cbranch_execnz .LBB135_41
	s_branch .LBB135_42
.LBB135_35:
	s_mov_b32 s3, -1
	s_mov_b32 s1, 0
                                        ; implicit-def: $vgpr3
	s_branch .LBB135_38
.LBB135_36:
	s_mov_b32 s1, -1
                                        ; implicit-def: $vgpr3
.LBB135_37:
	s_mov_b32 s3, 0
.LBB135_38:
	s_and_b32 vcc_lo, exec_lo, s3
	s_cbranch_vccz .LBB135_40
; %bb.39:
	v_mul_f32_e32 v3, 0xbfb8aa3b, v2
	v_cmp_nlt_f32_e32 vcc_lo, 0x42ce8ed0, v2
	v_rndne_f32_e32 v4, v3
	v_fma_f32 v5, 0xbfb8aa3b, v2, -v3
	v_sub_f32_e32 v3, v3, v4
	v_fmamk_f32 v5, v2, 0xb2a5705f, v5
	v_cvt_i32_f32_e32 v4, v4
	v_add_f32_e32 v3, v3, v5
	v_exp_f32_e32 v3, v3
	v_ldexp_f32 v3, v3, v4
	v_cndmask_b32_e32 v3, 0, v3, vcc_lo
	v_cmp_ngt_f32_e32 vcc_lo, 0xc2b17218, v2
	v_cndmask_b32_e32 v3, 0x7f800000, v3, vcc_lo
	v_add_f32_e32 v3, 1.0, v3
	v_div_scale_f32 v4, null, v3, v3, v2
	v_rcp_f32_e32 v5, v4
	v_fma_f32 v6, -v4, v5, 1.0
	v_fmac_f32_e32 v5, v6, v5
	v_div_scale_f32 v6, vcc_lo, v2, v3, v2
	v_mul_f32_e32 v7, v6, v5
	v_fma_f32 v8, -v4, v7, v6
	v_fmac_f32_e32 v7, v8, v5
	v_fma_f32 v4, -v4, v7, v6
	v_div_fmas_f32 v4, v4, v5, v7
	v_div_fixup_f32 v3, v4, v3, v2
	v_mul_f32_e32 v3, v1, v3
.LBB135_40:
	s_branch .LBB135_42
.LBB135_41:
	s_cmp_lg_u32 s2, 1
	s_mov_b32 s0, -1
	s_cselect_b32 s1, -1, 0
.LBB135_42:
	s_andn2_b32 vcc_lo, exec_lo, s1
	s_cbranch_vccz .LBB135_44
; %bb.43:
	s_andn2_b32 vcc_lo, exec_lo, s0
	s_cbranch_vccz .LBB135_45
	s_branch .LBB135_50
.LBB135_44:
	v_mul_f32_e32 v3, v2, v1
	s_cbranch_execnz .LBB135_50
.LBB135_45:
	v_mul_f32_e32 v3, 0x3d372713, v2
	v_mul_f32_e32 v4, 0x3f4c422a, v2
	v_fma_f32 v3, v2, v3, 1.0
	v_mul_f32_e32 v3, v4, v3
                                        ; implicit-def: $vgpr4
	v_cmp_ngt_f32_e64 s0, 0x3f200000, |v3|
	s_and_saveexec_b32 s1, s0
	s_xor_b32 s0, exec_lo, s1
	s_cbranch_execz .LBB135_47
; %bb.46:
	v_add_f32_e64 v4, |v3|, |v3|
	v_mul_f32_e32 v5, 0x3fb8aa3b, v4
	v_cmp_ngt_f32_e32 vcc_lo, 0xc2ce8ed0, v4
	v_rndne_f32_e32 v6, v5
	v_fma_f32 v7, 0x3fb8aa3b, v4, -v5
	v_sub_f32_e32 v5, v5, v6
	v_fmamk_f32 v7, v4, 0x32a5705f, v7
	v_cvt_i32_f32_e32 v6, v6
	v_add_f32_e32 v5, v5, v7
	v_exp_f32_e32 v5, v5
	v_ldexp_f32 v5, v5, v6
	v_cndmask_b32_e32 v5, 0, v5, vcc_lo
	v_cmp_nlt_f32_e32 vcc_lo, 0x42b17218, v4
	v_cndmask_b32_e32 v4, 0x7f800000, v5, vcc_lo
	v_add_f32_e32 v4, 1.0, v4
	v_rcp_f32_e32 v4, v4
	v_fma_f32 v4, v4, -2.0, 1.0
.LBB135_47:
	s_andn2_saveexec_b32 s0, s0
	s_cbranch_execz .LBB135_49
; %bb.48:
	v_mul_f32_e32 v4, v3, v3
	s_mov_b32 s1, 0xbbbac73d
	v_fmaak_f32 v5, s1, v4, 0x3ca908c9
	v_fmaak_f32 v5, v4, v5, 0xbd5c1c4e
	v_fmaak_f32 v5, v4, v5, 0x3e088382
	v_fmaak_f32 v5, v4, v5, 0xbeaaaa99
	v_mul_f32_e64 v5, |v3|, v5
	v_fma_f32 v4, v4, v5, |v3|
.LBB135_49:
	s_or_b32 exec_lo, exec_lo, s0
	v_bfi_b32 v3, 0x7fffffff, v4, v3
	v_mul_f32_e32 v2, 0.5, v2
	v_add_f32_e32 v3, 1.0, v3
	v_mul_f32_e32 v2, v2, v3
	v_mul_f32_e32 v3, v1, v2
.LBB135_50:
	v_mov_b32_e32 v1, v3
.LBB135_51:
	s_load_dwordx2 s[0:1], s[4:5], 0x38
	s_mul_i32 s2, s22, s10
	s_mul_i32 s3, s26, s8
	s_add_i32 s2, s2, s6
	v_lshlrev_b32_e32 v0, 2, v0
	s_add_i32 s2, s2, s3
	s_mov_b32 s3, 0
	s_lshl_b64 s[2:3], s[2:3], 2
	s_waitcnt lgkmcnt(0)
	s_add_u32 s0, s0, s2
	s_addc_u32 s1, s1, s3
	global_store_dword v0, v1, s[0:1]
.LBB135_52:
	s_endpgm
	.section	.rodata,"a",@progbits
	.p2align	6, 0x0
	.amdhsa_kernel _ZL13mul_mat_vec_qIL9ggml_type13ELi1ELb1ELb0EEvPKvS2_PKi31ggml_cuda_mm_fusion_args_devicePfj15HIP_vector_typeIjLj3EEjjjS8_jjjS8_jjjj
		.amdhsa_group_segment_fixed_size 0
		.amdhsa_private_segment_fixed_size 0
		.amdhsa_kernarg_size 144
		.amdhsa_user_sgpr_count 6
		.amdhsa_user_sgpr_private_segment_buffer 1
		.amdhsa_user_sgpr_dispatch_ptr 0
		.amdhsa_user_sgpr_queue_ptr 0
		.amdhsa_user_sgpr_kernarg_segment_ptr 1
		.amdhsa_user_sgpr_dispatch_id 0
		.amdhsa_user_sgpr_flat_scratch_init 0
		.amdhsa_user_sgpr_private_segment_size 0
		.amdhsa_wavefront_size32 1
		.amdhsa_uses_dynamic_stack 0
		.amdhsa_system_sgpr_private_segment_wavefront_offset 0
		.amdhsa_system_sgpr_workgroup_id_x 1
		.amdhsa_system_sgpr_workgroup_id_y 1
		.amdhsa_system_sgpr_workgroup_id_z 1
		.amdhsa_system_sgpr_workgroup_info 0
		.amdhsa_system_vgpr_workitem_id 1
		.amdhsa_next_free_vgpr 40
		.amdhsa_next_free_sgpr 40
		.amdhsa_reserve_vcc 1
		.amdhsa_reserve_flat_scratch 0
		.amdhsa_float_round_mode_32 0
		.amdhsa_float_round_mode_16_64 0
		.amdhsa_float_denorm_mode_32 3
		.amdhsa_float_denorm_mode_16_64 3
		.amdhsa_dx10_clamp 1
		.amdhsa_ieee_mode 1
		.amdhsa_fp16_overflow 0
		.amdhsa_workgroup_processor_mode 1
		.amdhsa_memory_ordered 1
		.amdhsa_forward_progress 1
		.amdhsa_shared_vgpr_count 0
		.amdhsa_exception_fp_ieee_invalid_op 0
		.amdhsa_exception_fp_denorm_src 0
		.amdhsa_exception_fp_ieee_div_zero 0
		.amdhsa_exception_fp_ieee_overflow 0
		.amdhsa_exception_fp_ieee_underflow 0
		.amdhsa_exception_fp_ieee_inexact 0
		.amdhsa_exception_int_div_zero 0
	.end_amdhsa_kernel
	.section	.text._ZL13mul_mat_vec_qIL9ggml_type13ELi1ELb1ELb0EEvPKvS2_PKi31ggml_cuda_mm_fusion_args_devicePfj15HIP_vector_typeIjLj3EEjjjS8_jjjS8_jjjj,"axG",@progbits,_ZL13mul_mat_vec_qIL9ggml_type13ELi1ELb1ELb0EEvPKvS2_PKi31ggml_cuda_mm_fusion_args_devicePfj15HIP_vector_typeIjLj3EEjjjS8_jjjS8_jjjj,comdat
.Lfunc_end135:
	.size	_ZL13mul_mat_vec_qIL9ggml_type13ELi1ELb1ELb0EEvPKvS2_PKi31ggml_cuda_mm_fusion_args_devicePfj15HIP_vector_typeIjLj3EEjjjS8_jjjS8_jjjj, .Lfunc_end135-_ZL13mul_mat_vec_qIL9ggml_type13ELi1ELb1ELb0EEvPKvS2_PKi31ggml_cuda_mm_fusion_args_devicePfj15HIP_vector_typeIjLj3EEjjjS8_jjjS8_jjjj
                                        ; -- End function
	.set _ZL13mul_mat_vec_qIL9ggml_type13ELi1ELb1ELb0EEvPKvS2_PKi31ggml_cuda_mm_fusion_args_devicePfj15HIP_vector_typeIjLj3EEjjjS8_jjjS8_jjjj.num_vgpr, 40
	.set _ZL13mul_mat_vec_qIL9ggml_type13ELi1ELb1ELb0EEvPKvS2_PKi31ggml_cuda_mm_fusion_args_devicePfj15HIP_vector_typeIjLj3EEjjjS8_jjjS8_jjjj.num_agpr, 0
	.set _ZL13mul_mat_vec_qIL9ggml_type13ELi1ELb1ELb0EEvPKvS2_PKi31ggml_cuda_mm_fusion_args_devicePfj15HIP_vector_typeIjLj3EEjjjS8_jjjS8_jjjj.numbered_sgpr, 40
	.set _ZL13mul_mat_vec_qIL9ggml_type13ELi1ELb1ELb0EEvPKvS2_PKi31ggml_cuda_mm_fusion_args_devicePfj15HIP_vector_typeIjLj3EEjjjS8_jjjS8_jjjj.num_named_barrier, 0
	.set _ZL13mul_mat_vec_qIL9ggml_type13ELi1ELb1ELb0EEvPKvS2_PKi31ggml_cuda_mm_fusion_args_devicePfj15HIP_vector_typeIjLj3EEjjjS8_jjjS8_jjjj.private_seg_size, 0
	.set _ZL13mul_mat_vec_qIL9ggml_type13ELi1ELb1ELb0EEvPKvS2_PKi31ggml_cuda_mm_fusion_args_devicePfj15HIP_vector_typeIjLj3EEjjjS8_jjjS8_jjjj.uses_vcc, 1
	.set _ZL13mul_mat_vec_qIL9ggml_type13ELi1ELb1ELb0EEvPKvS2_PKi31ggml_cuda_mm_fusion_args_devicePfj15HIP_vector_typeIjLj3EEjjjS8_jjjS8_jjjj.uses_flat_scratch, 0
	.set _ZL13mul_mat_vec_qIL9ggml_type13ELi1ELb1ELb0EEvPKvS2_PKi31ggml_cuda_mm_fusion_args_devicePfj15HIP_vector_typeIjLj3EEjjjS8_jjjS8_jjjj.has_dyn_sized_stack, 0
	.set _ZL13mul_mat_vec_qIL9ggml_type13ELi1ELb1ELb0EEvPKvS2_PKi31ggml_cuda_mm_fusion_args_devicePfj15HIP_vector_typeIjLj3EEjjjS8_jjjS8_jjjj.has_recursion, 0
	.set _ZL13mul_mat_vec_qIL9ggml_type13ELi1ELb1ELb0EEvPKvS2_PKi31ggml_cuda_mm_fusion_args_devicePfj15HIP_vector_typeIjLj3EEjjjS8_jjjS8_jjjj.has_indirect_call, 0
	.section	.AMDGPU.csdata,"",@progbits
; Kernel info:
; codeLenInByte = 3112
; TotalNumSgprs: 42
; NumVgprs: 40
; ScratchSize: 0
; MemoryBound: 0
; FloatMode: 240
; IeeeMode: 1
; LDSByteSize: 0 bytes/workgroup (compile time only)
; SGPRBlocks: 0
; VGPRBlocks: 4
; NumSGPRsForWavesPerEU: 42
; NumVGPRsForWavesPerEU: 40
; Occupancy: 16
; WaveLimiterHint : 0
; COMPUTE_PGM_RSRC2:SCRATCH_EN: 0
; COMPUTE_PGM_RSRC2:USER_SGPR: 6
; COMPUTE_PGM_RSRC2:TRAP_HANDLER: 0
; COMPUTE_PGM_RSRC2:TGID_X_EN: 1
; COMPUTE_PGM_RSRC2:TGID_Y_EN: 1
; COMPUTE_PGM_RSRC2:TGID_Z_EN: 1
; COMPUTE_PGM_RSRC2:TIDIG_COMP_CNT: 1
	.section	.text._ZL13mul_mat_vec_qIL9ggml_type13ELi1ELb0ELb0EEvPKvS2_PKi31ggml_cuda_mm_fusion_args_devicePfj15HIP_vector_typeIjLj3EEjjjS8_jjjS8_jjjj,"axG",@progbits,_ZL13mul_mat_vec_qIL9ggml_type13ELi1ELb0ELb0EEvPKvS2_PKi31ggml_cuda_mm_fusion_args_devicePfj15HIP_vector_typeIjLj3EEjjjS8_jjjS8_jjjj,comdat
	.globl	_ZL13mul_mat_vec_qIL9ggml_type13ELi1ELb0ELb0EEvPKvS2_PKi31ggml_cuda_mm_fusion_args_devicePfj15HIP_vector_typeIjLj3EEjjjS8_jjjS8_jjjj ; -- Begin function _ZL13mul_mat_vec_qIL9ggml_type13ELi1ELb0ELb0EEvPKvS2_PKi31ggml_cuda_mm_fusion_args_devicePfj15HIP_vector_typeIjLj3EEjjjS8_jjjS8_jjjj
	.p2align	8
	.type	_ZL13mul_mat_vec_qIL9ggml_type13ELi1ELb0ELb0EEvPKvS2_PKi31ggml_cuda_mm_fusion_args_devicePfj15HIP_vector_typeIjLj3EEjjjS8_jjjS8_jjjj,@function
_ZL13mul_mat_vec_qIL9ggml_type13ELi1ELb0ELb0EEvPKvS2_PKi31ggml_cuda_mm_fusion_args_devicePfj15HIP_vector_typeIjLj3EEjjjS8_jjjS8_jjjj: ; @_ZL13mul_mat_vec_qIL9ggml_type13ELi1ELb0ELb0EEvPKvS2_PKi31ggml_cuda_mm_fusion_args_devicePfj15HIP_vector_typeIjLj3EEjjjS8_jjjS8_jjjj
; %bb.0:
	s_clause 0x1
	s_load_dwordx2 s[0:1], s[4:5], 0x10
	s_load_dwordx4 s[16:19], s[4:5], 0x40
	s_mov_b32 s10, s7
	s_waitcnt lgkmcnt(0)
	s_cmp_lg_u64 s[0:1], 0
	s_cselect_b32 s7, -1, 0
	s_cmp_eq_u64 s[0:1], 0
	s_cbranch_scc1 .LBB136_5
; %bb.1:
	s_mov_b32 s11, 0
	s_lshl_b64 s[2:3], s[10:11], 2
	s_add_u32 s0, s0, s2
	s_addc_u32 s1, s1, s3
	s_load_dword s20, s[0:1], 0x0
	s_clause 0x1
	s_load_dwordx4 s[0:3], s[4:5], 0x68
	s_load_dword s21, s[4:5], 0x50
	s_cbranch_execnz .LBB136_3
.LBB136_2:
	s_load_dwordx2 s[12:13], s[4:5], 0x5c
	s_waitcnt lgkmcnt(0)
	s_mul_hi_u32 s9, s12, s10
	s_add_i32 s9, s10, s9
	s_lshr_b32 s20, s9, s13
.LBB136_3:
	s_load_dword s11, s[4:5], 0x78
	s_andn2_b32 vcc_lo, exec_lo, s7
	s_cbranch_vccnz .LBB136_6
; %bb.4:
	s_mul_hi_u32 s7, s17, s10
	s_add_i32 s7, s10, s7
	s_lshr_b32 s7, s7, s18
	s_mul_i32 s7, s7, s19
	s_sub_i32 s22, s10, s7
	s_branch .LBB136_7
.LBB136_5:
                                        ; implicit-def: $sgpr20
	s_clause 0x1
	s_load_dwordx4 s[0:3], s[4:5], 0x68
	s_load_dword s21, s[4:5], 0x50
	s_branch .LBB136_2
.LBB136_6:
	s_mov_b32 s22, s10
.LBB136_7:
	s_load_dwordx4 s[12:15], s[4:5], 0x80
	v_lshl_or_b32 v2, v1, 5, v0
	v_mov_b32_e32 v6, 0
	s_lshr_b32 s9, s16, 8
	s_mov_b32 s7, exec_lo
	v_lshrrev_b32_e32 v7, 4, v2
	v_cmpx_gt_u32_e64 s9, v7
	s_cbranch_execz .LBB136_15
; %bb.8:
	s_load_dwordx4 s[16:19], s[4:5], 0x0
	v_lshlrev_b32_e32 v3, 1, v0
	v_bfe_u32 v6, v0, 2, 2
	s_waitcnt lgkmcnt(0)
	s_mul_hi_u32 s3, s3, s8
	v_lshrrev_b32_e32 v10, 4, v2
	s_add_i32 s3, s8, s3
	v_bfe_u32 v4, v3, 3, 2
	v_and_b32_e32 v5, 30, v3
	v_mul_hi_u32_u24_e32 v3, 0x48, v6
	v_mul_u32_u24_e32 v2, 0x48, v6
	s_lshr_b32 s3, s3, s11
	s_mul_i32 s21, s21, s6
	s_mul_i32 s3, s3, s12
	;; [unrolled: 1-line block ×3, first 2 shown]
	v_mad_u64_u32 v[2:3], null, 0x120, v10, v[2:3]
	s_mul_i32 s0, s20, s0
	s_add_i32 s3, s3, s21
	s_mul_i32 s1, s22, s1
	s_mul_i32 s12, s11, 36
	s_add_i32 s3, s0, s3
	s_mul_hi_u32 s11, s11, 36
	s_mul_hi_u32 s0, s1, 36
	s_mul_i32 s1, s1, 36
	s_add_u32 s12, s18, s12
	s_addc_u32 s11, s19, s11
	s_add_u32 s1, s12, s1
	s_addc_u32 s11, s11, s0
	v_add_co_u32 v2, s0, s1, v2
	v_and_b32_e32 v9, 3, v0
	v_add_co_ci_u32_e64 v3, null, s11, v3, s0
	v_add_co_u32 v2, s0, v2, 36
	v_lshlrev_b32_e32 v8, 5, v4
	v_mov_b32_e32 v6, 0
	v_lshlrev_b32_e32 v9, 2, v9
	v_lshlrev_b32_e32 v10, 1, v4
	v_add_co_ci_u32_e64 v3, null, 0, v3, s0
	v_lshlrev_b32_e32 v11, 1, v4
	s_mov_b32 s11, 0
	v_cmp_lt_u32_e32 vcc_lo, 15, v5
	s_branch .LBB136_10
.LBB136_9:                              ;   in Loop: Header=BB136_10 Depth=1
	s_or_b32 exec_lo, exec_lo, s0
	s_waitcnt vmcnt(1)
	v_ashrrev_i32_e32 v4, v10, v23
	v_ashrrev_i32_e32 v5, v10, v22
	v_and_b32_e32 v23, 0xf0f0f0f, v20
	v_and_b32_e32 v22, 0xf0f0f0f, v21
	v_mov_b32_e32 v24, 0
	v_lshlrev_b32_e32 v25, 4, v4
	v_mov_b32_e32 v26, 0
	v_lshlrev_b32_e32 v27, 4, v5
	v_lshrrev_b32_e32 v20, 4, v20
	v_lshrrev_b32_e32 v21, 4, v21
	v_and_or_b32 v23, 0x10101010, v25, v23
	v_dot4c_i32_i8 v26, 0x1010101, v18
	v_and_or_b32 v22, 0x10101010, v27, v22
	v_mov_b32_e32 v25, 0
	v_lshlrev_b32_e32 v4, 3, v4
	v_dot4c_i32_i8 v24, v23, v18
	v_and_b32_e32 v18, 0xf0f0f0f, v20
	v_dot4c_i32_i8 v26, 0x1010101, v17
	v_and_b32_e32 v21, 0xf0f0f0f, v21
	v_lshlrev_b32_e32 v5, 3, v5
	v_dot4c_i32_i8 v24, v22, v17
	v_and_b32_e32 v17, 0xff00ff, v19
	v_and_or_b32 v4, 0x10101010, v4, v18
	v_mov_b32_e32 v18, 0
	v_dot4c_i32_i8 v25, 0x1010101, v16
	v_pk_lshrrev_b16 v19, 8, v19 op_sel_hi:[0,1]
	v_lshrrev_b32_e32 v20, 16, v17
	v_and_or_b32 v5, 0x10101010, v5, v21
	v_dot4c_i32_i8 v18, v4, v16
	v_dot4c_i32_i8 v25, 0x1010101, v15
	v_and_b32_e32 v4, 0xff, v17
	v_mul_lo_u32 v16, v26, v20
	v_lshrrev_b32_e32 v17, 16, v19
	v_dot4c_i32_i8 v18, v5, v15
	v_and_b32_e32 v5, 0xff, v19
	v_mul_lo_u32 v4, v24, v4
	v_add_nc_u32_e32 v7, 2, v7
	v_mul_lo_u32 v15, v25, v17
	s_waitcnt vmcnt(0)
	v_cvt_f32_f16_sdwa v17, v14 dst_sel:DWORD dst_unused:UNUSED_PAD src0_sel:WORD_1
	v_cvt_f32_i32_e32 v16, v16
	v_mul_lo_u32 v5, v18, v5
	v_cmp_le_u32_e64 s0, s9, v7
	v_add_co_u32 v2, s1, 0x240, v2
	v_cvt_f32_i32_e32 v4, v4
	v_fma_mix_f32 v16, v12, v16, 0 op_sel_hi:[1,0,0]
	v_cvt_f32_i32_e32 v15, v15
	v_add_co_ci_u32_e64 v3, null, 0, v3, s1
	v_fma_mix_f32 v4, v12, v4, 0 op_sel_hi:[1,0,0]
	v_cvt_f32_i32_e32 v5, v5
	v_fma_mix_f32 v12, v13, v15, v16 op_sel_hi:[1,0,0]
	s_or_b32 s11, s0, s11
	v_fma_mix_f32 v4, v13, v5, v4 op_sel_hi:[1,0,0]
	v_mul_f32_e32 v5, v12, v17
	v_fma_mix_f32 v4, v4, v14, -v5 op_sel_hi:[0,1,0]
	v_add_f32_e32 v6, v6, v4
	s_andn2_b32 exec_lo, exec_lo, s11
	s_cbranch_execz .LBB136_14
.LBB136_10:                             ; =>This Inner Loop Header: Depth=1
	v_add_nc_u32_e32 v4, s3, v7
	v_add_co_u32 v19, s0, v2, v9
	v_add_co_ci_u32_e64 v20, null, 0, v3, s0
	v_mad_i64_i32 v[4:5], null, 0xb0, v4, s[16:17]
	v_add_co_u32 v12, s0, v4, v8
	v_add_co_ci_u32_e64 v13, null, 0, v5, s0
	v_add_co_u32 v23, s0, v4, v9
	v_add_co_ci_u32_e64 v24, null, 0, v5, s0
	;; [unrolled: 2-line block ×3, first 2 shown]
	s_clause 0x5
	global_load_dword v12, v[2:3], off offset:-36
	global_load_dword v17, v[19:20], off offset:-32
	;; [unrolled: 1-line block ×3, first 2 shown]
	global_load_dword v13, v[2:3], off
	global_load_dword v15, v[19:20], off offset:4
	global_load_dword v16, v[19:20], off offset:20
	s_clause 0x4
	global_load_dword v21, v[25:26], off offset:48
	global_load_dword v20, v[25:26], off offset:64
	;; [unrolled: 1-line block ×4, first 2 shown]
	global_load_dword v14, v[4:5], off
	v_add_co_u32 v4, s0, v4, v11
	v_add_co_ci_u32_e64 v5, null, 0, v5, s0
                                        ; implicit-def: $vgpr19
	s_and_saveexec_b32 s0, vcc_lo
	s_xor_b32 s0, exec_lo, s0
	s_cbranch_execz .LBB136_12
; %bb.11:                               ;   in Loop: Header=BB136_10 Depth=1
	s_clause 0x2
	global_load_ushort v19, v[4:5], off
	global_load_ushort v24, v[4:5], off offset:8
	global_load_short_d16_hi v19, v[4:5], off offset:4
	s_waitcnt vmcnt(1)
	v_pk_lshrrev_b16 v4, 4, v24 op_sel:[1,0] op_sel_hi:[0,0]
	v_and_b32_e32 v4, 0xf0f0f0f, v4
	s_waitcnt vmcnt(0)
	v_pk_lshrrev_b16 v5, 2, v19 op_sel_hi:[0,1]
	v_and_or_b32 v19, 0x30303030, v5, v4
                                        ; implicit-def: $vgpr4_vgpr5
.LBB136_12:                             ;   in Loop: Header=BB136_10 Depth=1
	s_andn2_saveexec_b32 s0, s0
	s_cbranch_execz .LBB136_9
; %bb.13:                               ;   in Loop: Header=BB136_10 Depth=1
	s_clause 0x1
	global_load_ushort v19, v[4:5], off offset:4
	global_load_short_d16_hi v19, v[4:5], off offset:8
	s_waitcnt vmcnt(0)
	v_and_b32_e32 v19, 0x3f3f3f3f, v19
	s_branch .LBB136_9
.LBB136_14:
	s_or_b32 exec_lo, exec_lo, s11
.LBB136_15:
	s_or_b32 exec_lo, exec_lo, s7
	s_waitcnt lgkmcnt(0)
	; wave barrier
	buffer_gl0_inv
	s_mov_b32 s0, exec_lo
	v_cmpx_eq_u32_e32 0, v1
	s_cbranch_execz .LBB136_18
; %bb.16:
	v_mbcnt_lo_u32_b32 v1, -1, 0
	v_xor_b32_e32 v2, 16, v1
	v_xor_b32_e32 v3, 8, v1
	;; [unrolled: 1-line block ×3, first 2 shown]
	v_cmp_gt_i32_e32 vcc_lo, 32, v2
	v_cndmask_b32_e32 v2, v1, v2, vcc_lo
	v_cmp_gt_i32_e32 vcc_lo, 32, v3
	v_lshlrev_b32_e32 v2, 2, v2
	v_cndmask_b32_e32 v3, v1, v3, vcc_lo
	v_cmp_gt_i32_e32 vcc_lo, 32, v4
	ds_bpermute_b32 v2, v2, v6
	v_lshlrev_b32_e32 v3, 2, v3
	v_cndmask_b32_e32 v4, v1, v4, vcc_lo
	v_lshlrev_b32_e32 v4, 2, v4
	s_waitcnt lgkmcnt(0)
	v_add_f32_e32 v2, v6, v2
	ds_bpermute_b32 v3, v3, v2
	s_waitcnt lgkmcnt(0)
	v_add_f32_e32 v2, v2, v3
	ds_bpermute_b32 v3, v4, v2
	v_xor_b32_e32 v4, 2, v1
	v_cmp_gt_i32_e32 vcc_lo, 32, v4
	v_cndmask_b32_e32 v4, v1, v4, vcc_lo
	v_lshlrev_b32_e32 v4, 2, v4
	s_waitcnt lgkmcnt(0)
	v_add_f32_e32 v2, v2, v3
	ds_bpermute_b32 v3, v4, v2
	v_xor_b32_e32 v4, 1, v1
	v_cmp_gt_i32_e32 vcc_lo, 32, v4
	v_cndmask_b32_e32 v1, v1, v4, vcc_lo
	v_cmp_eq_u32_e32 vcc_lo, 0, v0
	v_lshlrev_b32_e32 v4, 2, v1
	s_waitcnt lgkmcnt(0)
	v_add_f32_e32 v1, v2, v3
	ds_bpermute_b32 v2, v4, v1
	s_and_b32 exec_lo, exec_lo, vcc_lo
	s_cbranch_execz .LBB136_18
; %bb.17:
	s_load_dwordx2 s[0:1], s[4:5], 0x38
	s_mul_i32 s2, s2, s10
	s_mul_i32 s3, s14, s8
	s_add_i32 s2, s2, s6
	s_waitcnt lgkmcnt(0)
	v_add_f32_e32 v0, v1, v2
	s_add_i32 s2, s2, s3
	s_mov_b32 s3, 0
	v_mov_b32_e32 v1, 0
	s_lshl_b64 s[2:3], s[2:3], 2
	s_add_u32 s0, s0, s2
	s_addc_u32 s1, s1, s3
	global_store_dword v1, v0, s[0:1]
.LBB136_18:
	s_endpgm
	.section	.rodata,"a",@progbits
	.p2align	6, 0x0
	.amdhsa_kernel _ZL13mul_mat_vec_qIL9ggml_type13ELi1ELb0ELb0EEvPKvS2_PKi31ggml_cuda_mm_fusion_args_devicePfj15HIP_vector_typeIjLj3EEjjjS8_jjjS8_jjjj
		.amdhsa_group_segment_fixed_size 0
		.amdhsa_private_segment_fixed_size 0
		.amdhsa_kernarg_size 144
		.amdhsa_user_sgpr_count 6
		.amdhsa_user_sgpr_private_segment_buffer 1
		.amdhsa_user_sgpr_dispatch_ptr 0
		.amdhsa_user_sgpr_queue_ptr 0
		.amdhsa_user_sgpr_kernarg_segment_ptr 1
		.amdhsa_user_sgpr_dispatch_id 0
		.amdhsa_user_sgpr_flat_scratch_init 0
		.amdhsa_user_sgpr_private_segment_size 0
		.amdhsa_wavefront_size32 1
		.amdhsa_uses_dynamic_stack 0
		.amdhsa_system_sgpr_private_segment_wavefront_offset 0
		.amdhsa_system_sgpr_workgroup_id_x 1
		.amdhsa_system_sgpr_workgroup_id_y 1
		.amdhsa_system_sgpr_workgroup_id_z 1
		.amdhsa_system_sgpr_workgroup_info 0
		.amdhsa_system_vgpr_workitem_id 1
		.amdhsa_next_free_vgpr 28
		.amdhsa_next_free_sgpr 23
		.amdhsa_reserve_vcc 1
		.amdhsa_reserve_flat_scratch 0
		.amdhsa_float_round_mode_32 0
		.amdhsa_float_round_mode_16_64 0
		.amdhsa_float_denorm_mode_32 3
		.amdhsa_float_denorm_mode_16_64 3
		.amdhsa_dx10_clamp 1
		.amdhsa_ieee_mode 1
		.amdhsa_fp16_overflow 0
		.amdhsa_workgroup_processor_mode 1
		.amdhsa_memory_ordered 1
		.amdhsa_forward_progress 1
		.amdhsa_shared_vgpr_count 0
		.amdhsa_exception_fp_ieee_invalid_op 0
		.amdhsa_exception_fp_denorm_src 0
		.amdhsa_exception_fp_ieee_div_zero 0
		.amdhsa_exception_fp_ieee_overflow 0
		.amdhsa_exception_fp_ieee_underflow 0
		.amdhsa_exception_fp_ieee_inexact 0
		.amdhsa_exception_int_div_zero 0
	.end_amdhsa_kernel
	.section	.text._ZL13mul_mat_vec_qIL9ggml_type13ELi1ELb0ELb0EEvPKvS2_PKi31ggml_cuda_mm_fusion_args_devicePfj15HIP_vector_typeIjLj3EEjjjS8_jjjS8_jjjj,"axG",@progbits,_ZL13mul_mat_vec_qIL9ggml_type13ELi1ELb0ELb0EEvPKvS2_PKi31ggml_cuda_mm_fusion_args_devicePfj15HIP_vector_typeIjLj3EEjjjS8_jjjS8_jjjj,comdat
.Lfunc_end136:
	.size	_ZL13mul_mat_vec_qIL9ggml_type13ELi1ELb0ELb0EEvPKvS2_PKi31ggml_cuda_mm_fusion_args_devicePfj15HIP_vector_typeIjLj3EEjjjS8_jjjS8_jjjj, .Lfunc_end136-_ZL13mul_mat_vec_qIL9ggml_type13ELi1ELb0ELb0EEvPKvS2_PKi31ggml_cuda_mm_fusion_args_devicePfj15HIP_vector_typeIjLj3EEjjjS8_jjjS8_jjjj
                                        ; -- End function
	.set _ZL13mul_mat_vec_qIL9ggml_type13ELi1ELb0ELb0EEvPKvS2_PKi31ggml_cuda_mm_fusion_args_devicePfj15HIP_vector_typeIjLj3EEjjjS8_jjjS8_jjjj.num_vgpr, 28
	.set _ZL13mul_mat_vec_qIL9ggml_type13ELi1ELb0ELb0EEvPKvS2_PKi31ggml_cuda_mm_fusion_args_devicePfj15HIP_vector_typeIjLj3EEjjjS8_jjjS8_jjjj.num_agpr, 0
	.set _ZL13mul_mat_vec_qIL9ggml_type13ELi1ELb0ELb0EEvPKvS2_PKi31ggml_cuda_mm_fusion_args_devicePfj15HIP_vector_typeIjLj3EEjjjS8_jjjS8_jjjj.numbered_sgpr, 23
	.set _ZL13mul_mat_vec_qIL9ggml_type13ELi1ELb0ELb0EEvPKvS2_PKi31ggml_cuda_mm_fusion_args_devicePfj15HIP_vector_typeIjLj3EEjjjS8_jjjS8_jjjj.num_named_barrier, 0
	.set _ZL13mul_mat_vec_qIL9ggml_type13ELi1ELb0ELb0EEvPKvS2_PKi31ggml_cuda_mm_fusion_args_devicePfj15HIP_vector_typeIjLj3EEjjjS8_jjjS8_jjjj.private_seg_size, 0
	.set _ZL13mul_mat_vec_qIL9ggml_type13ELi1ELb0ELb0EEvPKvS2_PKi31ggml_cuda_mm_fusion_args_devicePfj15HIP_vector_typeIjLj3EEjjjS8_jjjS8_jjjj.uses_vcc, 1
	.set _ZL13mul_mat_vec_qIL9ggml_type13ELi1ELb0ELb0EEvPKvS2_PKi31ggml_cuda_mm_fusion_args_devicePfj15HIP_vector_typeIjLj3EEjjjS8_jjjS8_jjjj.uses_flat_scratch, 0
	.set _ZL13mul_mat_vec_qIL9ggml_type13ELi1ELb0ELb0EEvPKvS2_PKi31ggml_cuda_mm_fusion_args_devicePfj15HIP_vector_typeIjLj3EEjjjS8_jjjS8_jjjj.has_dyn_sized_stack, 0
	.set _ZL13mul_mat_vec_qIL9ggml_type13ELi1ELb0ELb0EEvPKvS2_PKi31ggml_cuda_mm_fusion_args_devicePfj15HIP_vector_typeIjLj3EEjjjS8_jjjS8_jjjj.has_recursion, 0
	.set _ZL13mul_mat_vec_qIL9ggml_type13ELi1ELb0ELb0EEvPKvS2_PKi31ggml_cuda_mm_fusion_args_devicePfj15HIP_vector_typeIjLj3EEjjjS8_jjjS8_jjjj.has_indirect_call, 0
	.section	.AMDGPU.csdata,"",@progbits
; Kernel info:
; codeLenInByte = 1400
; TotalNumSgprs: 25
; NumVgprs: 28
; ScratchSize: 0
; MemoryBound: 0
; FloatMode: 240
; IeeeMode: 1
; LDSByteSize: 0 bytes/workgroup (compile time only)
; SGPRBlocks: 0
; VGPRBlocks: 3
; NumSGPRsForWavesPerEU: 25
; NumVGPRsForWavesPerEU: 28
; Occupancy: 16
; WaveLimiterHint : 0
; COMPUTE_PGM_RSRC2:SCRATCH_EN: 0
; COMPUTE_PGM_RSRC2:USER_SGPR: 6
; COMPUTE_PGM_RSRC2:TRAP_HANDLER: 0
; COMPUTE_PGM_RSRC2:TGID_X_EN: 1
; COMPUTE_PGM_RSRC2:TGID_Y_EN: 1
; COMPUTE_PGM_RSRC2:TGID_Z_EN: 1
; COMPUTE_PGM_RSRC2:TIDIG_COMP_CNT: 1
	.section	.text._ZL13mul_mat_vec_qIL9ggml_type13ELi2ELb0ELb0EEvPKvS2_PKi31ggml_cuda_mm_fusion_args_devicePfj15HIP_vector_typeIjLj3EEjjjS8_jjjS8_jjjj,"axG",@progbits,_ZL13mul_mat_vec_qIL9ggml_type13ELi2ELb0ELb0EEvPKvS2_PKi31ggml_cuda_mm_fusion_args_devicePfj15HIP_vector_typeIjLj3EEjjjS8_jjjS8_jjjj,comdat
	.globl	_ZL13mul_mat_vec_qIL9ggml_type13ELi2ELb0ELb0EEvPKvS2_PKi31ggml_cuda_mm_fusion_args_devicePfj15HIP_vector_typeIjLj3EEjjjS8_jjjS8_jjjj ; -- Begin function _ZL13mul_mat_vec_qIL9ggml_type13ELi2ELb0ELb0EEvPKvS2_PKi31ggml_cuda_mm_fusion_args_devicePfj15HIP_vector_typeIjLj3EEjjjS8_jjjS8_jjjj
	.p2align	8
	.type	_ZL13mul_mat_vec_qIL9ggml_type13ELi2ELb0ELb0EEvPKvS2_PKi31ggml_cuda_mm_fusion_args_devicePfj15HIP_vector_typeIjLj3EEjjjS8_jjjS8_jjjj,@function
_ZL13mul_mat_vec_qIL9ggml_type13ELi2ELb0ELb0EEvPKvS2_PKi31ggml_cuda_mm_fusion_args_devicePfj15HIP_vector_typeIjLj3EEjjjS8_jjjS8_jjjj: ; @_ZL13mul_mat_vec_qIL9ggml_type13ELi2ELb0ELb0EEvPKvS2_PKi31ggml_cuda_mm_fusion_args_devicePfj15HIP_vector_typeIjLj3EEjjjS8_jjjS8_jjjj
; %bb.0:
	s_clause 0x5
	s_load_dword s9, s[4:5], 0x40
	s_load_dwordx4 s[0:3], s[4:5], 0x50
	s_load_dword s11, s[4:5], 0x60
	s_load_dwordx4 s[12:15], s[4:5], 0x68
	s_load_dword s24, s[4:5], 0x78
	s_load_dwordx4 s[16:19], s[4:5], 0x80
	v_lshl_or_b32 v2, v1, 5, v0
	v_mov_b32_e32 v8, 0
	v_mov_b32_e32 v10, 0
	v_lshrrev_b32_e32 v9, 4, v2
	s_waitcnt lgkmcnt(0)
	s_lshr_b32 s10, s9, 8
	s_mov_b32 s9, exec_lo
	v_cmpx_gt_u32_e64 s10, v9
	s_cbranch_execz .LBB137_12
; %bb.1:
	s_load_dwordx4 s[20:23], s[4:5], 0x0
	v_bfe_u32 v2, v0, 2, 2
	v_lshlrev_b32_e32 v4, 1, v0
	s_mul_hi_u32 s3, s3, s7
	s_mul_hi_u32 s15, s15, s8
	s_mul_i32 s17, s17, s8
	v_mul_hi_u32_u24_e32 v3, 0x48, v2
	v_mul_u32_u24_e32 v2, 0x48, v2
	s_add_i32 s3, s7, s3
	s_add_i32 s15, s8, s15
	s_mul_i32 s13, s13, s7
	s_mul_hi_u32 s19, s17, 36
	v_mad_u64_u32 v[2:3], null, 0x120, v9, v[2:3]
	s_mul_i32 s17, s17, 36
	s_lshr_b32 s3, s3, s11
	v_bfe_u32 v6, v4, 3, 2
	s_lshr_b32 s11, s15, s24
	s_mul_hi_u32 s25, s13, 36
	s_mul_i32 s13, s13, 36
	s_mul_i32 s3, s3, s12
	s_waitcnt lgkmcnt(0)
	s_add_u32 s12, s22, s17
	s_addc_u32 s15, s23, s19
	v_and_b32_e32 v5, 30, v4
	s_mul_i32 s0, s0, s6
	s_add_u32 s12, s12, s13
	v_lshlrev_b32_e32 v13, 1, v6
	s_addc_u32 s13, s15, s25
	s_add_i32 s3, s3, s0
	v_add_co_u32 v4, s0, s12, v2
	v_and_b32_e32 v7, 3, v0
	v_cmp_lt_u32_e32 vcc_lo, 15, v5
	v_add_co_ci_u32_e64 v5, null, s13, v3, s0
	v_mad_u64_u32 v[2:3], null, v13, 36, s[12:13]
	v_add_co_u32 v4, s0, v4, 36
	v_lshlrev_b32_e32 v11, 5, v6
	v_mov_b32_e32 v8, 0
	v_lshlrev_b32_e32 v12, 2, v7
	v_add_co_ci_u32_e64 v5, null, 0, v5, s0
	v_lshl_add_u32 v14, v9, 3, s1
	v_lshlrev_b32_e32 v15, 1, v6
	v_lshlrev_b32_e32 v16, 2, v7
	v_mov_b32_e32 v17, 0xffff
	v_mov_b32_e32 v10, 0
	s_mul_i32 s11, s11, s16
	s_add_i32 s11, s11, s3
	s_mov_b32 s3, 0
	s_branch .LBB137_3
.LBB137_2:                              ;   in Loop: Header=BB137_3 Depth=1
	s_or_b32 exec_lo, exec_lo, s0
	s_waitcnt vmcnt(13)
	v_ashrrev_i32_e32 v6, v13, v36
	v_ashrrev_i32_e32 v7, v13, v35
	v_and_b32_e32 v36, 0xf0f0f0f, v33
	v_and_b32_e32 v35, 0xf0f0f0f, v34
	v_mov_b32_e32 v39, 0
	v_lshlrev_b32_e32 v37, 4, v6
	v_lshlrev_b32_e32 v40, 4, v7
	v_lshrrev_b32_e32 v33, 4, v33
	v_lshrrev_b32_e32 v34, 4, v34
	v_bfe_u32 v43, v30, 16, 8
	v_and_or_b32 v36, 0x10101010, v37, v36
	v_and_or_b32 v35, 0x10101010, v40, v35
	v_mov_b32_e32 v37, 0
	v_and_b32_e32 v33, 0xf0f0f0f, v33
	v_lshlrev_b32_e32 v6, 3, v6
	s_waitcnt vmcnt(9)
	v_dot4c_i32_i8 v39, v36, v26
	v_mov_b32_e32 v41, 0
	v_dot4c_i32_i8 v37, 0x1010101, v26
	v_and_b32_e32 v26, 0xf0f0f0f, v34
	v_mov_b32_e32 v42, 0
	v_dot4c_i32_i8 v39, v35, v24
	v_lshlrev_b32_e32 v7, 3, v7
	v_and_or_b32 v6, 0x10101010, v6, v33
	v_and_b32_sdwa v40, v17, v30 dst_sel:DWORD dst_unused:UNUSED_PAD src0_sel:DWORD src1_sel:BYTE_1
	v_and_b32_e32 v44, 0xff, v30
	v_mul_lo_u32 v34, v39, v43
	v_dot4c_i32_i8 v37, 0x1010101, v24
	v_lshrrev_b32_e32 v24, 24, v30
	s_waitcnt vmcnt(6)
	v_dot4c_i32_i8 v42, 0x1010101, v25
	v_and_or_b32 v7, 0x10101010, v7, v26
	v_dot4c_i32_i8 v41, v6, v25
	v_mov_b32_e32 v30, 0
	v_mov_b32_e32 v33, 0
	v_cvt_f32_i32_e32 v26, v34
	v_dot4c_i32_i8 v42, 0x1010101, v21
	v_dot4c_i32_i8 v41, v7, v21
	s_waitcnt vmcnt(3)
	v_dot4c_i32_i8 v30, v36, v31
	v_dot4c_i32_i8 v33, 0x1010101, v31
	v_fma_mix_f32 v21, v20, v26, 0 op_sel_hi:[1,0,0]
	v_mov_b32_e32 v26, 0
	v_and_b32_e32 v31, 0xff00ff, v32
	v_dot4c_i32_i8 v30, v35, v28
	v_mov_b32_e32 v34, 0
	v_dot4c_i32_i8 v33, 0x1010101, v28
	s_waitcnt vmcnt(1)
	v_dot4c_i32_i8 v26, 0x1010101, v29
	v_lshrrev_b32_e32 v28, 16, v31
	v_pk_lshrrev_b16 v32, 8, v32 op_sel_hi:[0,1]
	v_mul_lo_u32 v25, v37, v44
	v_dot4c_i32_i8 v34, v6, v29
	v_dot4c_i32_i8 v26, 0x1010101, v27
	v_and_b32_e32 v6, 0xff, v31
	v_mul_lo_u32 v28, v33, v28
	v_lshrrev_b32_e32 v29, 16, v32
	v_mul_lo_u32 v31, v42, v40
	v_dot4c_i32_i8 v34, v7, v27
	v_mul_lo_u32 v6, v30, v6
	v_and_b32_e32 v7, 0xff, v32
	v_mul_lo_u32 v26, v26, v29
	v_cvt_f32_i32_e32 v25, v25
	v_cvt_f32_i32_e32 v27, v28
	v_mul_lo_u32 v24, v41, v24
	v_mul_lo_u32 v7, v34, v7
	v_cvt_f32_f16_sdwa v38, v18 dst_sel:DWORD dst_unused:UNUSED_PAD src0_sel:WORD_1
	v_fma_mix_f32 v20, v20, v25, 0 op_sel_hi:[1,0,0]
	v_cvt_f32_i32_e32 v25, v31
	v_cvt_f32_i32_e32 v6, v6
	v_fma_mix_f32 v27, v22, v27, 0 op_sel_hi:[1,0,0]
	v_cvt_f32_i32_e32 v26, v26
	v_cvt_f32_i32_e32 v24, v24
	v_fma_mix_f32 v20, v19, v25, v20 op_sel_hi:[1,0,0]
	v_fma_mix_f32 v6, v22, v6, 0 op_sel_hi:[1,0,0]
	v_cvt_f32_i32_e32 v7, v7
	s_waitcnt vmcnt(0)
	v_fma_mix_f32 v22, v23, v26, v27 op_sel_hi:[1,0,0]
	v_fma_mix_f32 v19, v19, v24, v21 op_sel_hi:[1,0,0]
	v_mul_f32_e32 v20, v20, v38
	v_add_nc_u32_e32 v9, 2, v9
	v_fma_mix_f32 v6, v23, v7, v6 op_sel_hi:[1,0,0]
	v_mul_f32_e32 v7, v22, v38
	v_add_co_u32 v4, s1, 0x240, v4
	v_fma_mix_f32 v19, v19, v18, -v20 op_sel_hi:[0,1,0]
	v_cmp_le_u32_e64 s0, s10, v9
	v_fma_mix_f32 v6, v6, v18, -v7 op_sel_hi:[0,1,0]
	v_add_co_ci_u32_e64 v5, null, 0, v5, s1
	v_add_f32_e32 v10, v10, v19
	v_add_nc_u32_e32 v14, 16, v14
	v_add_f32_e32 v8, v8, v6
	s_or_b32 s3, s0, s3
	s_andn2_b32 exec_lo, exec_lo, s3
	s_cbranch_execz .LBB137_11
.LBB137_3:                              ; =>This Inner Loop Header: Depth=1
	v_add_nc_u32_e32 v6, s11, v9
                                        ; implicit-def: $vgpr30
                                        ; implicit-def: $vgpr37
	v_mad_i64_i32 v[6:7], null, 0xb0, v6, s[20:21]
	v_add_co_u32 v20, s0, v6, v11
	v_add_co_ci_u32_e64 v21, null, 0, v7, s0
	v_add_co_u32 v18, s0, v6, v12
	v_add_co_ci_u32_e64 v19, null, 0, v7, s0
	;; [unrolled: 2-line block ×4, first 2 shown]
	s_clause 0x4
	global_load_dword v34, v[20:21], off offset:48
	global_load_dword v33, v[20:21], off offset:64
	;; [unrolled: 1-line block ×4, first 2 shown]
	global_load_dword v18, v[6:7], off
	s_clause 0x5
	global_load_dword v20, v[4:5], off offset:-36
	global_load_dword v24, v[22:23], off offset:-32
	;; [unrolled: 1-line block ×3, first 2 shown]
	global_load_dword v19, v[4:5], off
	global_load_dword v21, v[22:23], off offset:4
	global_load_dword v25, v[22:23], off offset:20
	v_add_co_u32 v6, s0, v6, v15
	v_add_co_ci_u32_e64 v7, null, 0, v7, s0
	s_and_saveexec_b32 s0, vcc_lo
	s_xor_b32 s0, exec_lo, s0
	s_cbranch_execz .LBB137_5
; %bb.4:                                ;   in Loop: Header=BB137_3 Depth=1
	s_clause 0x1
	global_load_ushort v22, v[6:7], off offset:8
	global_load_ushort v23, v[6:7], off offset:4
	s_waitcnt vmcnt(1)
	v_mov_b32_e32 v27, v22
	s_waitcnt vmcnt(0)
	v_perm_b32 v37, v22, v23, 0x5040100
	global_load_short_d16_hi v27, v[6:7], off
	v_pk_lshrrev_b16 v22, 2, v37
	v_and_b32_e32 v22, 0xf0f3030, v22
	s_waitcnt vmcnt(0)
	v_pk_lshrrev_b16 v23, 0x20004, v27
	v_and_or_b32 v30, 0x30300f0f, v23, v22
.LBB137_5:                              ;   in Loop: Header=BB137_3 Depth=1
	s_andn2_saveexec_b32 s0, s0
	s_cbranch_execz .LBB137_7
; %bb.6:                                ;   in Loop: Header=BB137_3 Depth=1
	s_clause 0x1
	global_load_ushort v22, v[6:7], off offset:4
	global_load_ushort v23, v[6:7], off offset:8
	s_waitcnt vmcnt(0)
	v_perm_b32 v27, v22, v23, 0x5040100
	v_perm_b32 v37, v23, v22, 0x5040100
	v_and_b32_e32 v30, 0x3f3f3f3f, v27
.LBB137_7:                              ;   in Loop: Header=BB137_3 Depth=1
	s_or_b32 exec_lo, exec_lo, s0
	v_mad_u64_u32 v[38:39], null, v14, 36, v[2:3]
                                        ; implicit-def: $vgpr32
	v_add_co_u32 v40, s0, v38, v16
	v_add_co_ci_u32_e64 v41, null, 0, v39, s0
	s_clause 0x5
	global_load_dword v22, v[38:39], off
	global_load_dword v28, v[40:41], off offset:4
	global_load_dword v31, v[40:41], off offset:20
	;; [unrolled: 1-line block ×5, first 2 shown]
	s_and_saveexec_b32 s0, vcc_lo
	s_xor_b32 s0, exec_lo, s0
	s_cbranch_execz .LBB137_9
; %bb.8:                                ;   in Loop: Header=BB137_3 Depth=1
	v_mov_b32_e32 v32, v37
	global_load_short_d16 v32, v[6:7], off
	v_lshrrev_b16 v6, 2, v37
	v_alignbit_b32 v6, v6, v37, 16
                                        ; implicit-def: $vgpr37
	v_and_b32_e32 v6, 0x30300f0f, v6
	s_waitcnt vmcnt(0)
	v_pk_lshrrev_b16 v7, 0x40002, v32
	v_and_or_b32 v32, 0xf0f3030, v7, v6
.LBB137_9:                              ;   in Loop: Header=BB137_3 Depth=1
	s_andn2_saveexec_b32 s0, s0
	s_cbranch_execz .LBB137_2
; %bb.10:                               ;   in Loop: Header=BB137_3 Depth=1
	v_and_b32_e32 v32, 0x3f3f3f3f, v37
	s_branch .LBB137_2
.LBB137_11:
	s_or_b32 exec_lo, exec_lo, s3
.LBB137_12:
	s_or_b32 exec_lo, exec_lo, s9
	s_mov_b32 s1, 0
	; wave barrier
	buffer_gl0_inv
	s_mov_b32 s0, exec_lo
	v_cmpx_eq_u32_e32 0, v1
	s_cbranch_execz .LBB137_17
; %bb.13:
	v_mbcnt_lo_u32_b32 v5, -1, 0
	s_load_dwordx2 s[4:5], s[4:5], 0x38
	s_mul_i32 s0, s14, s7
	s_mul_i32 s3, s18, s8
	s_add_i32 s0, s0, s6
	v_xor_b32_e32 v1, 16, v5
	v_xor_b32_e32 v2, 8, v5
	v_xor_b32_e32 v9, 1, v5
	s_add_i32 s0, s0, s3
	s_lshl_b64 s[0:1], s[0:1], 2
	v_cmp_gt_i32_e32 vcc_lo, 32, v1
	v_cndmask_b32_e32 v1, v5, v1, vcc_lo
	v_cmp_gt_i32_e32 vcc_lo, 32, v2
	v_lshlrev_b32_e32 v1, 2, v1
	v_cndmask_b32_e32 v2, v5, v2, vcc_lo
	s_waitcnt lgkmcnt(0)
	s_add_u32 s0, s4, s0
	s_addc_u32 s1, s5, s1
	ds_bpermute_b32 v3, v1, v10
	v_lshlrev_b32_e32 v2, 2, v2
	s_waitcnt lgkmcnt(0)
	v_add_f32_e32 v4, v10, v3
	v_xor_b32_e32 v3, 4, v5
	ds_bpermute_b32 v6, v2, v4
	v_cmp_gt_i32_e32 vcc_lo, 32, v3
	v_cndmask_b32_e32 v3, v5, v3, vcc_lo
	v_lshlrev_b32_e32 v3, 2, v3
	s_waitcnt lgkmcnt(0)
	v_add_f32_e32 v6, v4, v6
	v_xor_b32_e32 v4, 2, v5
	ds_bpermute_b32 v7, v3, v6
	v_cmp_gt_i32_e32 vcc_lo, 32, v4
	v_cndmask_b32_e32 v4, v5, v4, vcc_lo
	v_cmp_gt_i32_e32 vcc_lo, 32, v9
	v_lshlrev_b32_e32 v4, 2, v4
	v_cndmask_b32_e32 v5, v5, v9, vcc_lo
	v_cmp_eq_u32_e32 vcc_lo, 0, v0
	v_lshlrev_b32_e32 v5, 2, v5
	s_waitcnt lgkmcnt(0)
	v_add_f32_e32 v6, v6, v7
	ds_bpermute_b32 v7, v4, v6
	s_waitcnt lgkmcnt(0)
	v_add_f32_e32 v6, v6, v7
	ds_bpermute_b32 v7, v5, v6
	s_and_saveexec_b32 s3, vcc_lo
	s_cbranch_execz .LBB137_15
; %bb.14:
	s_waitcnt lgkmcnt(0)
	v_add_f32_e32 v0, v6, v7
	v_mov_b32_e32 v6, 0
	global_store_dword v6, v0, s[0:1]
.LBB137_15:
	s_or_b32 exec_lo, exec_lo, s3
	ds_bpermute_b32 v0, v1, v8
	s_waitcnt lgkmcnt(0)
	v_add_f32_e32 v0, v8, v0
	ds_bpermute_b32 v1, v2, v0
	s_waitcnt lgkmcnt(0)
	v_add_f32_e32 v0, v0, v1
	;; [unrolled: 3-line block ×4, first 2 shown]
	ds_bpermute_b32 v1, v5, v0
	s_and_b32 exec_lo, exec_lo, vcc_lo
	s_cbranch_execz .LBB137_17
; %bb.16:
	s_mov_b32 s3, 0
	s_waitcnt lgkmcnt(0)
	v_add_f32_e32 v0, v0, v1
	s_lshl_b64 s[2:3], s[2:3], 2
	v_mov_b32_e32 v1, 0
	s_add_u32 s0, s0, s2
	s_addc_u32 s1, s1, s3
	global_store_dword v1, v0, s[0:1]
.LBB137_17:
	s_endpgm
	.section	.rodata,"a",@progbits
	.p2align	6, 0x0
	.amdhsa_kernel _ZL13mul_mat_vec_qIL9ggml_type13ELi2ELb0ELb0EEvPKvS2_PKi31ggml_cuda_mm_fusion_args_devicePfj15HIP_vector_typeIjLj3EEjjjS8_jjjS8_jjjj
		.amdhsa_group_segment_fixed_size 0
		.amdhsa_private_segment_fixed_size 0
		.amdhsa_kernarg_size 144
		.amdhsa_user_sgpr_count 6
		.amdhsa_user_sgpr_private_segment_buffer 1
		.amdhsa_user_sgpr_dispatch_ptr 0
		.amdhsa_user_sgpr_queue_ptr 0
		.amdhsa_user_sgpr_kernarg_segment_ptr 1
		.amdhsa_user_sgpr_dispatch_id 0
		.amdhsa_user_sgpr_flat_scratch_init 0
		.amdhsa_user_sgpr_private_segment_size 0
		.amdhsa_wavefront_size32 1
		.amdhsa_uses_dynamic_stack 0
		.amdhsa_system_sgpr_private_segment_wavefront_offset 0
		.amdhsa_system_sgpr_workgroup_id_x 1
		.amdhsa_system_sgpr_workgroup_id_y 1
		.amdhsa_system_sgpr_workgroup_id_z 1
		.amdhsa_system_sgpr_workgroup_info 0
		.amdhsa_system_vgpr_workitem_id 1
		.amdhsa_next_free_vgpr 45
		.amdhsa_next_free_sgpr 26
		.amdhsa_reserve_vcc 1
		.amdhsa_reserve_flat_scratch 0
		.amdhsa_float_round_mode_32 0
		.amdhsa_float_round_mode_16_64 0
		.amdhsa_float_denorm_mode_32 3
		.amdhsa_float_denorm_mode_16_64 3
		.amdhsa_dx10_clamp 1
		.amdhsa_ieee_mode 1
		.amdhsa_fp16_overflow 0
		.amdhsa_workgroup_processor_mode 1
		.amdhsa_memory_ordered 1
		.amdhsa_forward_progress 1
		.amdhsa_shared_vgpr_count 0
		.amdhsa_exception_fp_ieee_invalid_op 0
		.amdhsa_exception_fp_denorm_src 0
		.amdhsa_exception_fp_ieee_div_zero 0
		.amdhsa_exception_fp_ieee_overflow 0
		.amdhsa_exception_fp_ieee_underflow 0
		.amdhsa_exception_fp_ieee_inexact 0
		.amdhsa_exception_int_div_zero 0
	.end_amdhsa_kernel
	.section	.text._ZL13mul_mat_vec_qIL9ggml_type13ELi2ELb0ELb0EEvPKvS2_PKi31ggml_cuda_mm_fusion_args_devicePfj15HIP_vector_typeIjLj3EEjjjS8_jjjS8_jjjj,"axG",@progbits,_ZL13mul_mat_vec_qIL9ggml_type13ELi2ELb0ELb0EEvPKvS2_PKi31ggml_cuda_mm_fusion_args_devicePfj15HIP_vector_typeIjLj3EEjjjS8_jjjS8_jjjj,comdat
.Lfunc_end137:
	.size	_ZL13mul_mat_vec_qIL9ggml_type13ELi2ELb0ELb0EEvPKvS2_PKi31ggml_cuda_mm_fusion_args_devicePfj15HIP_vector_typeIjLj3EEjjjS8_jjjS8_jjjj, .Lfunc_end137-_ZL13mul_mat_vec_qIL9ggml_type13ELi2ELb0ELb0EEvPKvS2_PKi31ggml_cuda_mm_fusion_args_devicePfj15HIP_vector_typeIjLj3EEjjjS8_jjjS8_jjjj
                                        ; -- End function
	.set _ZL13mul_mat_vec_qIL9ggml_type13ELi2ELb0ELb0EEvPKvS2_PKi31ggml_cuda_mm_fusion_args_devicePfj15HIP_vector_typeIjLj3EEjjjS8_jjjS8_jjjj.num_vgpr, 45
	.set _ZL13mul_mat_vec_qIL9ggml_type13ELi2ELb0ELb0EEvPKvS2_PKi31ggml_cuda_mm_fusion_args_devicePfj15HIP_vector_typeIjLj3EEjjjS8_jjjS8_jjjj.num_agpr, 0
	.set _ZL13mul_mat_vec_qIL9ggml_type13ELi2ELb0ELb0EEvPKvS2_PKi31ggml_cuda_mm_fusion_args_devicePfj15HIP_vector_typeIjLj3EEjjjS8_jjjS8_jjjj.numbered_sgpr, 26
	.set _ZL13mul_mat_vec_qIL9ggml_type13ELi2ELb0ELb0EEvPKvS2_PKi31ggml_cuda_mm_fusion_args_devicePfj15HIP_vector_typeIjLj3EEjjjS8_jjjS8_jjjj.num_named_barrier, 0
	.set _ZL13mul_mat_vec_qIL9ggml_type13ELi2ELb0ELb0EEvPKvS2_PKi31ggml_cuda_mm_fusion_args_devicePfj15HIP_vector_typeIjLj3EEjjjS8_jjjS8_jjjj.private_seg_size, 0
	.set _ZL13mul_mat_vec_qIL9ggml_type13ELi2ELb0ELb0EEvPKvS2_PKi31ggml_cuda_mm_fusion_args_devicePfj15HIP_vector_typeIjLj3EEjjjS8_jjjS8_jjjj.uses_vcc, 1
	.set _ZL13mul_mat_vec_qIL9ggml_type13ELi2ELb0ELb0EEvPKvS2_PKi31ggml_cuda_mm_fusion_args_devicePfj15HIP_vector_typeIjLj3EEjjjS8_jjjS8_jjjj.uses_flat_scratch, 0
	.set _ZL13mul_mat_vec_qIL9ggml_type13ELi2ELb0ELb0EEvPKvS2_PKi31ggml_cuda_mm_fusion_args_devicePfj15HIP_vector_typeIjLj3EEjjjS8_jjjS8_jjjj.has_dyn_sized_stack, 0
	.set _ZL13mul_mat_vec_qIL9ggml_type13ELi2ELb0ELb0EEvPKvS2_PKi31ggml_cuda_mm_fusion_args_devicePfj15HIP_vector_typeIjLj3EEjjjS8_jjjS8_jjjj.has_recursion, 0
	.set _ZL13mul_mat_vec_qIL9ggml_type13ELi2ELb0ELb0EEvPKvS2_PKi31ggml_cuda_mm_fusion_args_devicePfj15HIP_vector_typeIjLj3EEjjjS8_jjjS8_jjjj.has_indirect_call, 0
	.section	.AMDGPU.csdata,"",@progbits
; Kernel info:
; codeLenInByte = 1856
; TotalNumSgprs: 28
; NumVgprs: 45
; ScratchSize: 0
; MemoryBound: 0
; FloatMode: 240
; IeeeMode: 1
; LDSByteSize: 0 bytes/workgroup (compile time only)
; SGPRBlocks: 0
; VGPRBlocks: 5
; NumSGPRsForWavesPerEU: 28
; NumVGPRsForWavesPerEU: 45
; Occupancy: 16
; WaveLimiterHint : 0
; COMPUTE_PGM_RSRC2:SCRATCH_EN: 0
; COMPUTE_PGM_RSRC2:USER_SGPR: 6
; COMPUTE_PGM_RSRC2:TRAP_HANDLER: 0
; COMPUTE_PGM_RSRC2:TGID_X_EN: 1
; COMPUTE_PGM_RSRC2:TGID_Y_EN: 1
; COMPUTE_PGM_RSRC2:TGID_Z_EN: 1
; COMPUTE_PGM_RSRC2:TIDIG_COMP_CNT: 1
	.section	.text._ZL13mul_mat_vec_qIL9ggml_type13ELi3ELb0ELb0EEvPKvS2_PKi31ggml_cuda_mm_fusion_args_devicePfj15HIP_vector_typeIjLj3EEjjjS8_jjjS8_jjjj,"axG",@progbits,_ZL13mul_mat_vec_qIL9ggml_type13ELi3ELb0ELb0EEvPKvS2_PKi31ggml_cuda_mm_fusion_args_devicePfj15HIP_vector_typeIjLj3EEjjjS8_jjjS8_jjjj,comdat
	.globl	_ZL13mul_mat_vec_qIL9ggml_type13ELi3ELb0ELb0EEvPKvS2_PKi31ggml_cuda_mm_fusion_args_devicePfj15HIP_vector_typeIjLj3EEjjjS8_jjjS8_jjjj ; -- Begin function _ZL13mul_mat_vec_qIL9ggml_type13ELi3ELb0ELb0EEvPKvS2_PKi31ggml_cuda_mm_fusion_args_devicePfj15HIP_vector_typeIjLj3EEjjjS8_jjjS8_jjjj
	.p2align	8
	.type	_ZL13mul_mat_vec_qIL9ggml_type13ELi3ELb0ELb0EEvPKvS2_PKi31ggml_cuda_mm_fusion_args_devicePfj15HIP_vector_typeIjLj3EEjjjS8_jjjS8_jjjj,@function
_ZL13mul_mat_vec_qIL9ggml_type13ELi3ELb0ELb0EEvPKvS2_PKi31ggml_cuda_mm_fusion_args_devicePfj15HIP_vector_typeIjLj3EEjjjS8_jjjS8_jjjj: ; @_ZL13mul_mat_vec_qIL9ggml_type13ELi3ELb0ELb0EEvPKvS2_PKi31ggml_cuda_mm_fusion_args_devicePfj15HIP_vector_typeIjLj3EEjjjS8_jjjS8_jjjj
; %bb.0:
	s_clause 0x5
	s_load_dword s9, s[4:5], 0x40
	s_load_dwordx4 s[0:3], s[4:5], 0x50
	s_load_dword s11, s[4:5], 0x60
	s_load_dwordx4 s[12:15], s[4:5], 0x68
	;; [unrolled: 2-line block ×3, first 2 shown]
	v_lshl_or_b32 v2, v1, 5, v0
	v_mov_b32_e32 v8, 0
	v_mov_b32_e32 v9, 0
	;; [unrolled: 1-line block ×3, first 2 shown]
	v_lshrrev_b32_e32 v10, 4, v2
	s_waitcnt lgkmcnt(0)
	s_lshr_b32 s10, s9, 8
	s_mov_b32 s9, exec_lo
	v_cmpx_gt_u32_e64 s10, v10
	s_cbranch_execz .LBB138_16
; %bb.1:
	s_load_dwordx4 s[20:23], s[4:5], 0x0
	v_lshlrev_b32_e32 v2, 1, v0
	v_bfe_u32 v4, v0, 2, 2
	s_mul_hi_u32 s3, s3, s7
	s_mul_hi_u32 s15, s15, s8
	s_mul_i32 s17, s17, s8
	v_and_b32_e32 v6, 30, v2
	v_bfe_u32 v7, v2, 3, 2
	v_mul_hi_u32_u24_e32 v3, 0x48, v4
	v_mul_u32_u24_e32 v2, 0x48, v4
	s_add_i32 s3, s7, s3
	s_add_i32 s15, s8, s15
	s_mul_i32 s13, s13, s7
	s_mul_hi_u32 s19, s17, 36
	v_mad_u64_u32 v[4:5], null, 0x120, v10, v[2:3]
	s_mul_i32 s17, s17, 36
	s_lshr_b32 s3, s3, s11
	s_lshr_b32 s11, s15, s24
	s_mul_hi_u32 s25, s13, 36
	s_mul_i32 s13, s13, 36
	s_mul_i32 s3, s3, s12
	s_waitcnt lgkmcnt(0)
	s_add_u32 s12, s22, s17
	s_addc_u32 s15, s23, s19
	s_mul_i32 s0, s0, s6
	s_add_u32 s12, s12, s13
	v_lshlrev_b32_e32 v14, 1, v7
	s_addc_u32 s13, s15, s25
	s_add_i32 s3, s3, s0
	v_add_co_u32 v4, s0, s12, v4
	v_and_b32_e32 v13, 3, v0
	v_cmp_lt_u32_e32 vcc_lo, 15, v6
	v_add_co_ci_u32_e64 v5, null, s13, v5, s0
	v_lshlrev_b32_e32 v6, 3, v10
	v_mad_u64_u32 v[2:3], null, v14, 36, s[12:13]
	v_add_co_u32 v4, s0, v4, 36
	v_lshlrev_b32_e32 v12, 5, v7
	v_mov_b32_e32 v8, 0
	v_lshlrev_b32_e32 v15, 2, v13
	v_add_co_ci_u32_e64 v5, null, 0, v5, s0
	v_lshl_add_u32 v16, s1, 1, v6
	v_add_nc_u32_e32 v17, s1, v6
	v_lshlrev_b32_e32 v18, 1, v7
	v_mov_b32_e32 v19, 0xf0f
	v_mov_b32_e32 v20, 0x3f3f
	;; [unrolled: 1-line block ×5, first 2 shown]
	s_mul_i32 s11, s11, s16
	s_add_i32 s11, s11, s3
	s_mov_b32 s3, 0
	s_branch .LBB138_3
.LBB138_2:                              ;   in Loop: Header=BB138_3 Depth=1
	s_or_b32 exec_lo, exec_lo, s0
	s_waitcnt vmcnt(20)
	v_ashrrev_i32_e32 v6, v14, v37
	s_waitcnt vmcnt(19)
	v_ashrrev_i32_e32 v7, v14, v38
	v_lshrrev_b32_e32 v38, 4, v35
	v_and_b32_e32 v37, 0xf0f0f0f, v33
	v_and_b32_e32 v35, 0xf0f0f0f, v35
	v_lshlrev_b32_e32 v49, 4, v6
	v_lshlrev_b32_e32 v50, 4, v7
	v_lshrrev_b32_e32 v33, 4, v33
	v_and_b32_e32 v38, 0xf0f0f0f, v38
	v_lshlrev_b32_e32 v7, 3, v7
	v_and_or_b32 v37, 0x10101010, v49, v37
	v_and_or_b32 v35, 0x10101010, v50, v35
	v_mov_b32_e32 v49, 0
	v_and_b32_e32 v33, 0xf0f0f0f, v33
	v_lshlrev_b32_e32 v6, 3, v6
	v_and_or_b32 v7, 0x10101010, v7, v38
	v_mov_b32_e32 v38, 0
	s_waitcnt vmcnt(9)
	v_dot4c_i32_i8 v49, v35, v45
	v_mov_b32_e32 v50, 0
	v_and_or_b32 v6, 0x10101010, v6, v33
	v_mov_b32_e32 v33, 0
	v_dot4c_i32_i8 v38, 0x1010101, v45
	v_dot4c_i32_i8 v49, v37, v41
	s_waitcnt vmcnt(7)
	v_dot4c_i32_i8 v50, v7, v42
	v_and_b32_sdwa v45, v21, v46 dst_sel:DWORD dst_unused:UNUSED_PAD src0_sel:DWORD src1_sel:BYTE_0
	v_dot4c_i32_i8 v33, 0x1010101, v42
	v_dot4c_i32_i8 v38, 0x1010101, v41
	v_and_b32_sdwa v41, v21, v47 dst_sel:DWORD dst_unused:UNUSED_PAD src0_sel:DWORD src1_sel:BYTE_0
	v_dot4c_i32_i8 v50, v6, v40
	v_mul_lo_u32 v42, v49, v45
	v_dot4c_i32_i8 v33, 0x1010101, v40
	v_and_b32_sdwa v40, v21, v46 dst_sel:DWORD dst_unused:UNUSED_PAD src0_sel:DWORD src1_sel:BYTE_1
	v_mul_lo_u32 v38, v38, v41
	v_and_b32_sdwa v41, v21, v47 dst_sel:DWORD dst_unused:UNUSED_PAD src0_sel:DWORD src1_sel:BYTE_1
	v_mov_b32_e32 v45, 0
	v_add_nc_u32_e32 v10, 2, v10
	v_mul_lo_u32 v40, v50, v40
	v_cvt_f32_i32_e32 v42, v42
	v_mul_lo_u32 v33, v33, v41
	s_waitcnt vmcnt(3)
	v_dot4c_i32_i8 v45, 0x1010101, v48
	v_cvt_f32_i32_e32 v38, v38
	v_cvt_f32_f16_sdwa v41, v22 dst_sel:DWORD dst_unused:UNUSED_PAD src0_sel:WORD_1
	v_fma_mix_f32 v42, v36, v42, 0 op_sel_hi:[1,0,0]
	v_cmp_le_u32_e64 s0, s10, v10
	v_cvt_f32_i32_e32 v40, v40
	v_fma_mix_f32 v36, v36, v38, 0 op_sel_hi:[1,0,0]
	v_cvt_f32_i32_e32 v33, v33
	v_mov_b32_e32 v38, 0
	v_dot4c_i32_i8 v45, 0x1010101, v43
	v_fma_mix_f32 v40, v34, v40, v42 op_sel_hi:[1,0,0]
	v_mov_b32_e32 v42, 0
	v_fma_mix_f32 v33, v34, v33, v36 op_sel_hi:[1,0,0]
	v_mov_b32_e32 v34, 0
	v_dot4c_i32_i8 v38, v35, v48
	v_mov_b32_e32 v36, 0
	s_waitcnt vmcnt(1)
	v_dot4c_i32_i8 v42, v7, v44
	v_add_co_u32 v4, s1, 0x240, v4
	v_dot4c_i32_i8 v34, v35, v29
	v_mov_b32_e32 v35, 0
	v_dot4c_i32_i8 v38, v37, v43
	v_mov_b32_e32 v43, 0
	v_dot4c_i32_i8 v36, 0x1010101, v44
	v_dot4c_i32_i8 v34, v37, v27
	;; [unrolled: 1-line block ×3, first 2 shown]
	v_mov_b32_e32 v44, 0
	v_dot4c_i32_i8 v43, v7, v28
	v_dot4c_i32_i8 v42, v6, v39
	v_bfe_u32 v37, v26, 16, 8
	v_dot4c_i32_i8 v35, 0x1010101, v27
	v_and_b32_e32 v27, 0xff00ff, v32
	v_dot4c_i32_i8 v43, v6, v25
	v_and_b32_e32 v6, 0xff, v26
	v_dot4c_i32_i8 v44, 0x1010101, v28
	v_pk_lshrrev_b16 v29, 8, v32 op_sel_hi:[0,1]
	v_lshrrev_b32_e32 v28, 16, v27
	v_mul_lo_u32 v7, v34, v37
	v_mul_lo_u32 v6, v35, v6
	v_dot4c_i32_i8 v36, 0x1010101, v39
	v_dot4c_i32_i8 v44, 0x1010101, v25
	v_and_b32_sdwa v25, v21, v26 dst_sel:DWORD dst_unused:UNUSED_PAD src0_sel:DWORD src1_sel:BYTE_1
	v_and_b32_e32 v27, 0xff, v27
	v_mul_lo_u32 v28, v45, v28
	v_lshrrev_b32_e32 v32, 16, v29
	v_cvt_f32_i32_e32 v7, v7
	v_lshrrev_b32_e32 v26, 24, v26
	v_cvt_f32_i32_e32 v6, v6
	v_mul_lo_u32 v25, v44, v25
	v_mul_lo_u32 v27, v38, v27
	v_and_b32_e32 v29, 0xff, v29
	v_mul_lo_u32 v32, v36, v32
	v_cvt_f32_i32_e32 v28, v28
	v_fma_mix_f32 v7, v24, v7, 0 op_sel_hi:[1,0,0]
	v_mul_lo_u32 v26, v43, v26
	v_fma_mix_f32 v6, v24, v6, 0 op_sel_hi:[1,0,0]
	v_mul_lo_u32 v24, v42, v29
	v_cvt_f32_i32_e32 v25, v25
	v_cvt_f32_i32_e32 v27, v27
	v_fma_mix_f32 v28, v30, v28, 0 op_sel_hi:[1,0,0]
	v_cvt_f32_i32_e32 v29, v32
	v_add_co_ci_u32_e64 v5, null, 0, v5, s1
	v_cvt_f32_i32_e32 v26, v26
	v_fma_mix_f32 v6, v23, v25, v6 op_sel_hi:[1,0,0]
	v_fma_mix_f32 v25, v30, v27, 0 op_sel_hi:[1,0,0]
	v_cvt_f32_i32_e32 v24, v24
	s_waitcnt vmcnt(0)
	v_fma_mix_f32 v27, v31, v29, v28 op_sel_hi:[1,0,0]
	v_mul_f32_e32 v28, v33, v41
	v_fma_mix_f32 v7, v23, v26, v7 op_sel_hi:[1,0,0]
	v_mul_f32_e32 v6, v6, v41
	;; [unrolled: 2-line block ×3, first 2 shown]
	v_fma_mix_f32 v25, v40, v22, -v28 op_sel_hi:[0,1,0]
	v_add_nc_u32_e32 v16, 16, v16
	v_fma_mix_f32 v6, v7, v22, -v6 op_sel_hi:[0,1,0]
	v_add_nc_u32_e32 v17, 16, v17
	v_fma_mix_f32 v7, v23, v22, -v24 op_sel_hi:[0,1,0]
	v_add_f32_e32 v9, v9, v25
	s_or_b32 s3, s0, s3
	v_add_f32_e32 v11, v11, v6
	v_add_f32_e32 v8, v8, v7
	s_andn2_b32 exec_lo, exec_lo, s3
	s_cbranch_execz .LBB138_15
.LBB138_3:                              ; =>This Inner Loop Header: Depth=1
	v_add_nc_u32_e32 v6, s11, v10
                                        ; implicit-def: $vgpr49
                                        ; implicit-def: $vgpr26
	v_mad_i64_i32 v[6:7], null, 0xb0, v6, s[20:21]
	v_add_co_u32 v24, s0, v6, v12
	v_add_co_ci_u32_e64 v25, null, 0, v7, s0
	v_add_co_u32 v22, s0, v6, v15
	v_add_co_ci_u32_e64 v23, null, 0, v7, s0
	;; [unrolled: 2-line block ×4, first 2 shown]
	s_clause 0x4
	global_load_dword v33, v[24:25], off offset:48
	global_load_dword v35, v[24:25], off offset:64
	;; [unrolled: 1-line block ×4, first 2 shown]
	global_load_dword v22, v[6:7], off
	s_clause 0x5
	global_load_dword v24, v[4:5], off offset:-36
	global_load_dword v27, v[30:31], off offset:-32
	;; [unrolled: 1-line block ×3, first 2 shown]
	global_load_dword v23, v[4:5], off
	global_load_dword v25, v[30:31], off offset:4
	global_load_dword v28, v[30:31], off offset:20
	v_add_co_u32 v6, s0, v6, v18
	v_add_co_ci_u32_e64 v7, null, 0, v7, s0
	s_and_saveexec_b32 s0, vcc_lo
	s_xor_b32 s0, exec_lo, s0
	s_cbranch_execz .LBB138_5
; %bb.4:                                ;   in Loop: Header=BB138_3 Depth=1
	s_clause 0x1
	global_load_ushort v26, v[6:7], off offset:8
	global_load_ushort v30, v[6:7], off offset:4
	s_waitcnt vmcnt(1)
	v_mov_b32_e32 v31, v26
	s_waitcnt vmcnt(0)
	v_perm_b32 v49, v26, v30, 0x5040100
	global_load_short_d16_hi v31, v[6:7], off
	v_pk_lshrrev_b16 v26, 2, v49
	v_and_b32_e32 v26, 0xf0f3030, v26
	s_waitcnt vmcnt(0)
	v_pk_lshrrev_b16 v30, 0x20004, v31
	v_and_or_b32 v26, 0x30300f0f, v30, v26
.LBB138_5:                              ;   in Loop: Header=BB138_3 Depth=1
	s_andn2_saveexec_b32 s0, s0
	s_cbranch_execz .LBB138_7
; %bb.6:                                ;   in Loop: Header=BB138_3 Depth=1
	s_clause 0x1
	global_load_ushort v30, v[6:7], off offset:4
	global_load_ushort v31, v[6:7], off offset:8
	s_waitcnt vmcnt(0)
	v_perm_b32 v26, v30, v31, 0x5040100
	v_perm_b32 v49, v31, v30, 0x5040100
	v_and_b32_e32 v26, 0x3f3f3f3f, v26
.LBB138_7:                              ;   in Loop: Header=BB138_3 Depth=1
	s_or_b32 exec_lo, exec_lo, s0
	v_mad_u64_u32 v[31:32], null, v17, 36, v[2:3]
	v_lshlrev_b32_e32 v30, 2, v13
                                        ; implicit-def: $vgpr46
                                        ; implicit-def: $vgpr47
	v_add_co_u32 v42, s0, v31, v30
	v_add_co_ci_u32_e64 v43, null, 0, v32, s0
	s_clause 0x5
	global_load_dword v36, v[31:32], off
	global_load_dword v41, v[42:43], off offset:4
	global_load_dword v45, v[42:43], off offset:20
	global_load_dword v40, v[42:43], off offset:40
	global_load_dword v42, v[42:43], off offset:56
	global_load_dword v34, v[31:32], off offset:36
	s_and_saveexec_b32 s0, vcc_lo
	s_xor_b32 s0, exec_lo, s0
	s_cbranch_execz .LBB138_9
; %bb.8:                                ;   in Loop: Header=BB138_3 Depth=1
	global_load_ushort v31, v[6:7], off
	v_lshrrev_b32_e32 v32, 20, v49
	v_lshrrev_b16 v39, 2, v49
	v_and_b32_sdwa v43, v49, v19 dst_sel:DWORD dst_unused:UNUSED_PAD src0_sel:WORD_1 src1_sel:DWORD
	v_and_b32_e32 v32, 0xf0f, v32
	v_and_b32_e32 v39, 0x3030, v39
	v_or_b32_e32 v47, v39, v32
	s_waitcnt vmcnt(0)
	v_lshrrev_b16 v31, 2, v31
	v_and_b32_e32 v31, 0x3030, v31
	v_or_b32_e32 v46, v31, v43
.LBB138_9:                              ;   in Loop: Header=BB138_3 Depth=1
	s_andn2_saveexec_b32 s0, s0
; %bb.10:                               ;   in Loop: Header=BB138_3 Depth=1
	v_and_b32_e32 v46, 0x3f3f, v49
	v_and_b32_sdwa v47, v49, v20 dst_sel:DWORD dst_unused:UNUSED_PAD src0_sel:WORD_1 src1_sel:DWORD
; %bb.11:                               ;   in Loop: Header=BB138_3 Depth=1
	s_or_b32 exec_lo, exec_lo, s0
	v_mad_u64_u32 v[31:32], null, v16, 36, v[2:3]
	v_add_co_u32 v50, s0, v31, v30
	v_add_co_ci_u32_e64 v51, null, 0, v32, s0
	s_clause 0x5
	global_load_dword v30, v[31:32], off
	global_load_dword v43, v[50:51], off offset:4
	global_load_dword v48, v[50:51], off offset:20
	;; [unrolled: 1-line block ×5, first 2 shown]
                                        ; implicit-def: $vgpr32
	s_and_saveexec_b32 s0, vcc_lo
	s_xor_b32 s0, exec_lo, s0
	s_cbranch_execz .LBB138_13
; %bb.12:                               ;   in Loop: Header=BB138_3 Depth=1
	global_load_ushort v6, v[6:7], off
	v_pk_lshrrev_b16 v7, 4, v49 op_sel:[1,1] op_sel_hi:[0,1]
	v_and_b32_e32 v7, 0xf0f0f0f, v7
	s_waitcnt vmcnt(0)
	v_perm_b32 v6, v49, v6, 0x5040100
                                        ; implicit-def: $vgpr49
	v_pk_lshrrev_b16 v6, 2, v6 op_sel_hi:[0,1]
	v_and_or_b32 v32, 0x30303030, v6, v7
.LBB138_13:                             ;   in Loop: Header=BB138_3 Depth=1
	s_andn2_saveexec_b32 s0, s0
	s_cbranch_execz .LBB138_2
; %bb.14:                               ;   in Loop: Header=BB138_3 Depth=1
	v_and_b32_e32 v32, 0x3f3f3f3f, v49
	s_branch .LBB138_2
.LBB138_15:
	s_or_b32 exec_lo, exec_lo, s3
.LBB138_16:
	s_or_b32 exec_lo, exec_lo, s9
	s_mov_b32 s1, 0
	; wave barrier
	buffer_gl0_inv
	s_mov_b32 s0, exec_lo
	v_cmpx_eq_u32_e32 0, v1
	s_cbranch_execz .LBB138_23
; %bb.17:
	v_mbcnt_lo_u32_b32 v5, -1, 0
	s_load_dwordx2 s[4:5], s[4:5], 0x38
	s_mul_i32 s0, s14, s7
	s_mul_i32 s3, s18, s8
	s_add_i32 s0, s0, s6
	v_xor_b32_e32 v1, 16, v5
	v_xor_b32_e32 v2, 8, v5
	;; [unrolled: 1-line block ×3, first 2 shown]
	s_add_i32 s0, s0, s3
	s_lshl_b64 s[0:1], s[0:1], 2
	v_cmp_gt_i32_e32 vcc_lo, 32, v1
	v_cndmask_b32_e32 v1, v5, v1, vcc_lo
	v_cmp_gt_i32_e32 vcc_lo, 32, v2
	v_lshlrev_b32_e32 v1, 2, v1
	v_cndmask_b32_e32 v2, v5, v2, vcc_lo
	s_waitcnt lgkmcnt(0)
	s_add_u32 s0, s4, s0
	s_addc_u32 s1, s5, s1
	ds_bpermute_b32 v3, v1, v11
	v_lshlrev_b32_e32 v2, 2, v2
	s_waitcnt lgkmcnt(0)
	v_add_f32_e32 v4, v11, v3
	v_xor_b32_e32 v3, 4, v5
	ds_bpermute_b32 v6, v2, v4
	v_cmp_gt_i32_e32 vcc_lo, 32, v3
	v_cndmask_b32_e32 v3, v5, v3, vcc_lo
	v_lshlrev_b32_e32 v3, 2, v3
	s_waitcnt lgkmcnt(0)
	v_add_f32_e32 v6, v4, v6
	v_xor_b32_e32 v4, 2, v5
	ds_bpermute_b32 v7, v3, v6
	v_cmp_gt_i32_e32 vcc_lo, 32, v4
	v_cndmask_b32_e32 v4, v5, v4, vcc_lo
	v_cmp_gt_i32_e32 vcc_lo, 32, v10
	v_lshlrev_b32_e32 v4, 2, v4
	v_cndmask_b32_e32 v5, v5, v10, vcc_lo
	v_cmp_eq_u32_e32 vcc_lo, 0, v0
	v_lshlrev_b32_e32 v5, 2, v5
	s_waitcnt lgkmcnt(0)
	v_add_f32_e32 v6, v6, v7
	ds_bpermute_b32 v7, v4, v6
	s_waitcnt lgkmcnt(0)
	v_add_f32_e32 v6, v6, v7
	ds_bpermute_b32 v7, v5, v6
	s_and_saveexec_b32 s3, vcc_lo
	s_cbranch_execz .LBB138_19
; %bb.18:
	s_waitcnt lgkmcnt(0)
	v_add_f32_e32 v0, v6, v7
	v_mov_b32_e32 v6, 0
	global_store_dword v6, v0, s[0:1]
.LBB138_19:
	s_or_b32 exec_lo, exec_lo, s3
	ds_bpermute_b32 v0, v1, v9
	s_waitcnt lgkmcnt(0)
	v_add_f32_e32 v0, v9, v0
	ds_bpermute_b32 v6, v2, v0
	s_waitcnt lgkmcnt(0)
	v_add_f32_e32 v0, v0, v6
	;; [unrolled: 3-line block ×4, first 2 shown]
	ds_bpermute_b32 v6, v5, v0
	s_and_saveexec_b32 s4, vcc_lo
	s_cbranch_execz .LBB138_21
; %bb.20:
	s_mov_b32 s3, 0
	s_waitcnt lgkmcnt(0)
	v_add_f32_e32 v0, v0, v6
	s_lshl_b64 s[6:7], s[2:3], 2
	v_mov_b32_e32 v6, 0
	s_add_u32 s6, s0, s6
	s_addc_u32 s7, s1, s7
	global_store_dword v6, v0, s[6:7]
.LBB138_21:
	s_or_b32 exec_lo, exec_lo, s4
	ds_bpermute_b32 v0, v1, v8
	s_waitcnt lgkmcnt(0)
	v_add_f32_e32 v0, v8, v0
	ds_bpermute_b32 v1, v2, v0
	s_waitcnt lgkmcnt(0)
	v_add_f32_e32 v0, v0, v1
	;; [unrolled: 3-line block ×4, first 2 shown]
	ds_bpermute_b32 v1, v5, v0
	s_and_b32 exec_lo, exec_lo, vcc_lo
	s_cbranch_execz .LBB138_23
; %bb.22:
	s_lshl_b32 s2, s2, 1
	s_mov_b32 s3, 0
	s_waitcnt lgkmcnt(0)
	v_add_f32_e32 v0, v0, v1
	s_lshl_b64 s[2:3], s[2:3], 2
	v_mov_b32_e32 v1, 0
	s_add_u32 s0, s0, s2
	s_addc_u32 s1, s1, s3
	global_store_dword v1, v0, s[0:1]
.LBB138_23:
	s_endpgm
	.section	.rodata,"a",@progbits
	.p2align	6, 0x0
	.amdhsa_kernel _ZL13mul_mat_vec_qIL9ggml_type13ELi3ELb0ELb0EEvPKvS2_PKi31ggml_cuda_mm_fusion_args_devicePfj15HIP_vector_typeIjLj3EEjjjS8_jjjS8_jjjj
		.amdhsa_group_segment_fixed_size 0
		.amdhsa_private_segment_fixed_size 0
		.amdhsa_kernarg_size 144
		.amdhsa_user_sgpr_count 6
		.amdhsa_user_sgpr_private_segment_buffer 1
		.amdhsa_user_sgpr_dispatch_ptr 0
		.amdhsa_user_sgpr_queue_ptr 0
		.amdhsa_user_sgpr_kernarg_segment_ptr 1
		.amdhsa_user_sgpr_dispatch_id 0
		.amdhsa_user_sgpr_flat_scratch_init 0
		.amdhsa_user_sgpr_private_segment_size 0
		.amdhsa_wavefront_size32 1
		.amdhsa_uses_dynamic_stack 0
		.amdhsa_system_sgpr_private_segment_wavefront_offset 0
		.amdhsa_system_sgpr_workgroup_id_x 1
		.amdhsa_system_sgpr_workgroup_id_y 1
		.amdhsa_system_sgpr_workgroup_id_z 1
		.amdhsa_system_sgpr_workgroup_info 0
		.amdhsa_system_vgpr_workitem_id 1
		.amdhsa_next_free_vgpr 52
		.amdhsa_next_free_sgpr 26
		.amdhsa_reserve_vcc 1
		.amdhsa_reserve_flat_scratch 0
		.amdhsa_float_round_mode_32 0
		.amdhsa_float_round_mode_16_64 0
		.amdhsa_float_denorm_mode_32 3
		.amdhsa_float_denorm_mode_16_64 3
		.amdhsa_dx10_clamp 1
		.amdhsa_ieee_mode 1
		.amdhsa_fp16_overflow 0
		.amdhsa_workgroup_processor_mode 1
		.amdhsa_memory_ordered 1
		.amdhsa_forward_progress 1
		.amdhsa_shared_vgpr_count 0
		.amdhsa_exception_fp_ieee_invalid_op 0
		.amdhsa_exception_fp_denorm_src 0
		.amdhsa_exception_fp_ieee_div_zero 0
		.amdhsa_exception_fp_ieee_overflow 0
		.amdhsa_exception_fp_ieee_underflow 0
		.amdhsa_exception_fp_ieee_inexact 0
		.amdhsa_exception_int_div_zero 0
	.end_amdhsa_kernel
	.section	.text._ZL13mul_mat_vec_qIL9ggml_type13ELi3ELb0ELb0EEvPKvS2_PKi31ggml_cuda_mm_fusion_args_devicePfj15HIP_vector_typeIjLj3EEjjjS8_jjjS8_jjjj,"axG",@progbits,_ZL13mul_mat_vec_qIL9ggml_type13ELi3ELb0ELb0EEvPKvS2_PKi31ggml_cuda_mm_fusion_args_devicePfj15HIP_vector_typeIjLj3EEjjjS8_jjjS8_jjjj,comdat
.Lfunc_end138:
	.size	_ZL13mul_mat_vec_qIL9ggml_type13ELi3ELb0ELb0EEvPKvS2_PKi31ggml_cuda_mm_fusion_args_devicePfj15HIP_vector_typeIjLj3EEjjjS8_jjjS8_jjjj, .Lfunc_end138-_ZL13mul_mat_vec_qIL9ggml_type13ELi3ELb0ELb0EEvPKvS2_PKi31ggml_cuda_mm_fusion_args_devicePfj15HIP_vector_typeIjLj3EEjjjS8_jjjS8_jjjj
                                        ; -- End function
	.set _ZL13mul_mat_vec_qIL9ggml_type13ELi3ELb0ELb0EEvPKvS2_PKi31ggml_cuda_mm_fusion_args_devicePfj15HIP_vector_typeIjLj3EEjjjS8_jjjS8_jjjj.num_vgpr, 52
	.set _ZL13mul_mat_vec_qIL9ggml_type13ELi3ELb0ELb0EEvPKvS2_PKi31ggml_cuda_mm_fusion_args_devicePfj15HIP_vector_typeIjLj3EEjjjS8_jjjS8_jjjj.num_agpr, 0
	.set _ZL13mul_mat_vec_qIL9ggml_type13ELi3ELb0ELb0EEvPKvS2_PKi31ggml_cuda_mm_fusion_args_devicePfj15HIP_vector_typeIjLj3EEjjjS8_jjjS8_jjjj.numbered_sgpr, 26
	.set _ZL13mul_mat_vec_qIL9ggml_type13ELi3ELb0ELb0EEvPKvS2_PKi31ggml_cuda_mm_fusion_args_devicePfj15HIP_vector_typeIjLj3EEjjjS8_jjjS8_jjjj.num_named_barrier, 0
	.set _ZL13mul_mat_vec_qIL9ggml_type13ELi3ELb0ELb0EEvPKvS2_PKi31ggml_cuda_mm_fusion_args_devicePfj15HIP_vector_typeIjLj3EEjjjS8_jjjS8_jjjj.private_seg_size, 0
	.set _ZL13mul_mat_vec_qIL9ggml_type13ELi3ELb0ELb0EEvPKvS2_PKi31ggml_cuda_mm_fusion_args_devicePfj15HIP_vector_typeIjLj3EEjjjS8_jjjS8_jjjj.uses_vcc, 1
	.set _ZL13mul_mat_vec_qIL9ggml_type13ELi3ELb0ELb0EEvPKvS2_PKi31ggml_cuda_mm_fusion_args_devicePfj15HIP_vector_typeIjLj3EEjjjS8_jjjS8_jjjj.uses_flat_scratch, 0
	.set _ZL13mul_mat_vec_qIL9ggml_type13ELi3ELb0ELb0EEvPKvS2_PKi31ggml_cuda_mm_fusion_args_devicePfj15HIP_vector_typeIjLj3EEjjjS8_jjjS8_jjjj.has_dyn_sized_stack, 0
	.set _ZL13mul_mat_vec_qIL9ggml_type13ELi3ELb0ELb0EEvPKvS2_PKi31ggml_cuda_mm_fusion_args_devicePfj15HIP_vector_typeIjLj3EEjjjS8_jjjS8_jjjj.has_recursion, 0
	.set _ZL13mul_mat_vec_qIL9ggml_type13ELi3ELb0ELb0EEvPKvS2_PKi31ggml_cuda_mm_fusion_args_devicePfj15HIP_vector_typeIjLj3EEjjjS8_jjjS8_jjjj.has_indirect_call, 0
	.section	.AMDGPU.csdata,"",@progbits
; Kernel info:
; codeLenInByte = 2392
; TotalNumSgprs: 28
; NumVgprs: 52
; ScratchSize: 0
; MemoryBound: 0
; FloatMode: 240
; IeeeMode: 1
; LDSByteSize: 0 bytes/workgroup (compile time only)
; SGPRBlocks: 0
; VGPRBlocks: 6
; NumSGPRsForWavesPerEU: 28
; NumVGPRsForWavesPerEU: 52
; Occupancy: 16
; WaveLimiterHint : 0
; COMPUTE_PGM_RSRC2:SCRATCH_EN: 0
; COMPUTE_PGM_RSRC2:USER_SGPR: 6
; COMPUTE_PGM_RSRC2:TRAP_HANDLER: 0
; COMPUTE_PGM_RSRC2:TGID_X_EN: 1
; COMPUTE_PGM_RSRC2:TGID_Y_EN: 1
; COMPUTE_PGM_RSRC2:TGID_Z_EN: 1
; COMPUTE_PGM_RSRC2:TIDIG_COMP_CNT: 1
	.section	.text._ZL13mul_mat_vec_qIL9ggml_type13ELi4ELb0ELb0EEvPKvS2_PKi31ggml_cuda_mm_fusion_args_devicePfj15HIP_vector_typeIjLj3EEjjjS8_jjjS8_jjjj,"axG",@progbits,_ZL13mul_mat_vec_qIL9ggml_type13ELi4ELb0ELb0EEvPKvS2_PKi31ggml_cuda_mm_fusion_args_devicePfj15HIP_vector_typeIjLj3EEjjjS8_jjjS8_jjjj,comdat
	.globl	_ZL13mul_mat_vec_qIL9ggml_type13ELi4ELb0ELb0EEvPKvS2_PKi31ggml_cuda_mm_fusion_args_devicePfj15HIP_vector_typeIjLj3EEjjjS8_jjjS8_jjjj ; -- Begin function _ZL13mul_mat_vec_qIL9ggml_type13ELi4ELb0ELb0EEvPKvS2_PKi31ggml_cuda_mm_fusion_args_devicePfj15HIP_vector_typeIjLj3EEjjjS8_jjjS8_jjjj
	.p2align	8
	.type	_ZL13mul_mat_vec_qIL9ggml_type13ELi4ELb0ELb0EEvPKvS2_PKi31ggml_cuda_mm_fusion_args_devicePfj15HIP_vector_typeIjLj3EEjjjS8_jjjS8_jjjj,@function
_ZL13mul_mat_vec_qIL9ggml_type13ELi4ELb0ELb0EEvPKvS2_PKi31ggml_cuda_mm_fusion_args_devicePfj15HIP_vector_typeIjLj3EEjjjS8_jjjS8_jjjj: ; @_ZL13mul_mat_vec_qIL9ggml_type13ELi4ELb0ELb0EEvPKvS2_PKi31ggml_cuda_mm_fusion_args_devicePfj15HIP_vector_typeIjLj3EEjjjS8_jjjS8_jjjj
; %bb.0:
	s_clause 0x5
	s_load_dword s9, s[4:5], 0x40
	s_load_dwordx4 s[0:3], s[4:5], 0x50
	s_load_dword s11, s[4:5], 0x60
	s_load_dwordx4 s[12:15], s[4:5], 0x68
	s_load_dword s24, s[4:5], 0x78
	s_load_dwordx4 s[16:19], s[4:5], 0x80
	v_lshl_or_b32 v2, v1, 5, v0
	v_mov_b32_e32 v9, 0
	v_mov_b32_e32 v10, 0
	;; [unrolled: 1-line block ×4, first 2 shown]
	v_lshrrev_b32_e32 v12, 4, v2
	s_waitcnt lgkmcnt(0)
	s_lshr_b32 s10, s9, 8
	s_mov_b32 s9, exec_lo
	v_cmpx_gt_u32_e64 s10, v12
	s_cbranch_execz .LBB139_18
; %bb.1:
	s_load_dwordx4 s[20:23], s[4:5], 0x0
	v_lshlrev_b32_e32 v2, 1, v0
	v_bfe_u32 v4, v0, 2, 2
	s_mul_hi_u32 s3, s3, s7
	s_mul_hi_u32 s15, s15, s8
	s_mul_i32 s17, s17, s8
	v_and_b32_e32 v6, 30, v2
	v_bfe_u32 v10, v2, 3, 2
	v_mul_hi_u32_u24_e32 v3, 0x48, v4
	v_mul_u32_u24_e32 v2, 0x48, v4
	s_add_i32 s3, s7, s3
	s_add_i32 s15, s8, s15
	s_mul_i32 s13, s13, s7
	s_mul_hi_u32 s19, s17, 36
	v_mad_u64_u32 v[4:5], null, 0x120, v12, v[2:3]
	s_mul_i32 s17, s17, 36
	s_lshr_b32 s3, s3, s11
	s_lshr_b32 s11, s15, s24
	s_mul_hi_u32 s25, s13, 36
	s_mul_i32 s13, s13, 36
	s_mul_i32 s3, s3, s12
	s_waitcnt lgkmcnt(0)
	s_add_u32 s12, s22, s17
	s_addc_u32 s15, s23, s19
	s_mul_i32 s0, s0, s6
	s_add_u32 s12, s12, s13
	v_lshlrev_b32_e32 v16, 1, v10
	v_mov_b32_e32 v9, 0
	v_lshlrev_b32_e32 v8, 3, v12
	s_addc_u32 s13, s15, s25
	s_add_i32 s3, s3, s0
	v_add_co_u32 v4, s0, s12, v4
	v_and_b32_e32 v15, 3, v0
	v_add_co_ci_u32_e64 v5, null, s13, v5, s0
	v_cmp_lt_u32_e32 vcc_lo, 15, v6
	v_mad_u64_u32 v[2:3], null, v16, 36, s[12:13]
	v_mad_u64_u32 v[6:7], null, s1, 3, v[8:9]
	v_add_co_u32 v4, s0, v4, 36
	v_lshlrev_b32_e32 v14, 5, v10
	v_lshlrev_b32_e32 v17, 2, v15
	v_add_co_ci_u32_e64 v5, null, 0, v5, s0
	v_lshl_add_u32 v18, s1, 1, v8
	v_add_nc_u32_e32 v19, s1, v8
	v_lshlrev_b32_e32 v20, 1, v10
	v_mov_b32_e32 v21, 0xf0f
	v_mov_b32_e32 v22, 0x3f3f
	;; [unrolled: 1-line block ×6, first 2 shown]
	s_mul_i32 s11, s11, s16
	s_mov_b32 s1, 0
	s_add_i32 s3, s11, s3
	s_branch .LBB139_3
.LBB139_2:                              ;   in Loop: Header=BB139_3 Depth=1
	s_or_b32 exec_lo, exec_lo, s0
	s_waitcnt vmcnt(25)
	v_ashrrev_i32_e32 v7, v16, v46
	v_ashrrev_i32_e32 v8, v16, v45
	v_and_b32_e32 v45, 0xf0f0f0f, v44
	v_lshrrev_b32_e32 v46, 4, v43
	v_lshrrev_b32_e32 v44, 4, v44
	v_lshlrev_b32_e32 v49, 4, v7
	v_and_b32_e32 v43, 0xf0f0f0f, v43
	v_lshlrev_b32_e32 v60, 4, v8
	v_and_b32_e32 v46, 0xf0f0f0f, v46
	v_and_b32_e32 v44, 0xf0f0f0f, v44
	v_and_or_b32 v45, 0x10101010, v49, v45
	v_lshlrev_b32_e32 v8, 3, v8
	v_mov_b32_e32 v49, 0
	v_mov_b32_e32 v61, 0
	v_lshlrev_b32_e32 v7, 3, v7
	v_and_or_b32 v43, 0x10101010, v60, v43
	v_and_or_b32 v8, 0x10101010, v8, v46
	s_waitcnt vmcnt(9)
	v_dot4c_i32_i8 v49, v45, v59
	v_dot4c_i32_i8 v61, 0x1010101, v59
	v_and_or_b32 v7, 0x10101010, v7, v44
	v_mov_b32_e32 v44, 0
	v_mov_b32_e32 v46, 0
	v_dot4c_i32_i8 v49, v43, v58
	v_dot4c_i32_i8 v61, 0x1010101, v58
	v_and_b32_sdwa v58, v23, v51 dst_sel:DWORD dst_unused:UNUSED_PAD src0_sel:DWORD src1_sel:BYTE_0
	s_waitcnt vmcnt(7)
	v_dot4c_i32_i8 v44, v7, v56
	v_dot4c_i32_i8 v46, 0x1010101, v56
	v_and_b32_sdwa v56, v23, v53 dst_sel:DWORD dst_unused:UNUSED_PAD src0_sel:DWORD src1_sel:BYTE_0
	v_and_b32_sdwa v53, v23, v53 dst_sel:DWORD dst_unused:UNUSED_PAD src0_sel:DWORD src1_sel:BYTE_1
	v_mul_lo_u32 v49, v49, v58
	v_dot4c_i32_i8 v44, v8, v54
	v_dot4c_i32_i8 v46, 0x1010101, v54
	v_mul_lo_u32 v54, v61, v56
	v_and_b32_sdwa v51, v23, v51 dst_sel:DWORD dst_unused:UNUSED_PAD src0_sel:DWORD src1_sel:BYTE_1
	v_mov_b32_e32 v56, 0
	v_add_nc_u32_e32 v12, 2, v12
	v_mul_lo_u32 v46, v46, v53
	v_cvt_f32_i32_e32 v49, v49
	v_mul_lo_u32 v44, v44, v51
	v_dot4c_i32_i8 v56, v45, v41
	v_cvt_f32_i32_e32 v51, v54
	v_mov_b32_e32 v54, 0
	v_fma_mix_f32 v49, v52, v49, 0 op_sel_hi:[1,0,0]
	v_cvt_f32_f16_sdwa v53, v24 dst_sel:DWORD dst_unused:UNUSED_PAD src0_sel:WORD_1
	v_cvt_f32_i32_e32 v46, v46
	v_fma_mix_f32 v51, v52, v51, 0 op_sel_hi:[1,0,0]
	v_cvt_f32_i32_e32 v44, v44
	v_mov_b32_e32 v52, 0
	s_waitcnt vmcnt(3)
	v_dot4c_i32_i8 v54, 0x1010101, v57
	v_dot4c_i32_i8 v56, v43, v38
	v_fma_mix_f32 v46, v48, v46, v51 op_sel_hi:[1,0,0]
	v_fma_mix_f32 v44, v48, v44, v49 op_sel_hi:[1,0,0]
	v_mov_b32_e32 v48, 0
	v_dot4c_i32_i8 v52, v45, v57
	v_mov_b32_e32 v49, 0
	v_dot4c_i32_i8 v54, 0x1010101, v55
	;; [unrolled: 2-line block ×3, first 2 shown]
	v_and_b32_sdwa v41, v23, v40 dst_sel:DWORD dst_unused:UNUSED_PAD src0_sel:DWORD src1_sel:BYTE_0
	v_dot4c_i32_i8 v52, v43, v55
	v_mov_b32_e32 v55, 0
	v_dot4c_i32_i8 v49, v7, v37
	v_dot4c_i32_i8 v48, 0x1010101, v38
	v_mul_lo_u32 v38, v56, v41
	v_and_b32_sdwa v41, v23, v39 dst_sel:DWORD dst_unused:UNUSED_PAD src0_sel:DWORD src1_sel:BYTE_0
	v_dot4c_i32_i8 v55, 0x1010101, v37
	v_dot4c_i32_i8 v49, v8, v34
	v_and_b32_sdwa v37, v23, v40 dst_sel:DWORD dst_unused:UNUSED_PAD src0_sel:DWORD src1_sel:BYTE_1
	s_waitcnt vmcnt(1)
	v_dot4c_i32_i8 v51, v7, v50
	v_mul_lo_u32 v41, v48, v41
	v_dot4c_i32_i8 v55, 0x1010101, v34
	v_cvt_f32_i32_e32 v34, v38
	v_mul_lo_u32 v37, v49, v37
	v_and_b32_sdwa v38, v23, v39 dst_sel:DWORD dst_unused:UNUSED_PAD src0_sel:DWORD src1_sel:BYTE_1
	v_mov_b32_e32 v40, 0
	v_dot4c_i32_i8 v51, v8, v47
	v_fma_mix_f32 v34, v33, v34, 0 op_sel_hi:[1,0,0]
	v_cvt_f32_i32_e32 v39, v41
	v_mul_lo_u32 v38, v55, v38
	v_mov_b32_e32 v41, 0
	v_cvt_f32_i32_e32 v37, v37
	v_dot4c_i32_i8 v40, 0x1010101, v50
	v_fma_mix_f32 v33, v33, v39, 0 op_sel_hi:[1,0,0]
	v_mov_b32_e32 v39, 0
	v_dot4c_i32_i8 v41, v45, v31
	v_fma_mix_f32 v34, v32, v37, v34 op_sel_hi:[1,0,0]
	v_cvt_f32_i32_e32 v37, v38
	v_mov_b32_e32 v38, 0
	v_dot4c_i32_i8 v39, v7, v30
	v_dot4c_i32_i8 v41, v43, v29
	v_bfe_u32 v43, v28, 16, 8
	v_mov_b32_e32 v45, 0
	v_dot4c_i32_i8 v38, 0x1010101, v31
	v_dot4c_i32_i8 v39, v8, v27
	v_and_b32_e32 v8, 0xff, v28
	v_mul_lo_u32 v31, v41, v43
	v_fma_mix_f32 v7, v32, v37, v33 op_sel_hi:[1,0,0]
	v_dot4c_i32_i8 v38, 0x1010101, v29
	v_and_b32_e32 v29, 0xff00ff, v42
	v_dot4c_i32_i8 v45, 0x1010101, v30
	v_pk_lshrrev_b16 v32, 8, v42 op_sel_hi:[0,1]
	v_dot4c_i32_i8 v40, 0x1010101, v47
	v_mul_lo_u32 v8, v38, v8
	v_cvt_f32_i32_e32 v30, v31
	v_lshrrev_b32_e32 v31, 16, v29
	v_dot4c_i32_i8 v45, 0x1010101, v27
	v_and_b32_sdwa v27, v23, v28 dst_sel:DWORD dst_unused:UNUSED_PAD src0_sel:DWORD src1_sel:BYTE_1
	v_and_b32_e32 v29, 0xff, v29
	v_lshrrev_b32_e32 v33, 16, v32
	v_mul_lo_u32 v31, v54, v31
	v_lshrrev_b32_e32 v28, 24, v28
	v_cvt_f32_i32_e32 v8, v8
	v_mul_lo_u32 v27, v45, v27
	v_mul_lo_u32 v29, v52, v29
	v_and_b32_e32 v32, 0xff, v32
	v_mul_lo_u32 v33, v40, v33
	v_fma_mix_f32 v30, v26, v30, 0 op_sel_hi:[1,0,0]
	v_cvt_f32_i32_e32 v31, v31
	v_mul_lo_u32 v28, v39, v28
	v_fma_mix_f32 v8, v26, v8, 0 op_sel_hi:[1,0,0]
	v_mul_lo_u32 v26, v51, v32
	v_cvt_f32_i32_e32 v27, v27
	v_cvt_f32_i32_e32 v29, v29
	v_fma_mix_f32 v31, v35, v31, 0 op_sel_hi:[1,0,0]
	v_cvt_f32_i32_e32 v32, v33
	v_mul_f32_e32 v46, v46, v53
	v_cvt_f32_i32_e32 v28, v28
	v_fma_mix_f32 v8, v25, v27, v8 op_sel_hi:[1,0,0]
	v_fma_mix_f32 v27, v35, v29, 0 op_sel_hi:[1,0,0]
	v_cvt_f32_i32_e32 v26, v26
	s_waitcnt vmcnt(0)
	v_fma_mix_f32 v29, v36, v32, v31 op_sel_hi:[1,0,0]
	v_mul_f32_e32 v7, v7, v53
	v_fma_mix_f32 v25, v25, v28, v30 op_sel_hi:[1,0,0]
	v_mul_f32_e32 v8, v8, v53
	;; [unrolled: 2-line block ×3, first 2 shown]
	v_fma_mix_f32 v28, v44, v24, -v46 op_sel_hi:[0,1,0]
	v_fma_mix_f32 v7, v34, v24, -v7 op_sel_hi:[0,1,0]
	;; [unrolled: 1-line block ×3, first 2 shown]
	v_add_co_u32 v4, s0, 0x240, v4
	v_fma_mix_f32 v24, v26, v24, -v27 op_sel_hi:[0,1,0]
	v_add_co_ci_u32_e64 v5, null, 0, v5, s0
	v_cmp_le_u32_e64 s0, s10, v12
	v_add_f32_e32 v10, v10, v28
	v_add_f32_e32 v11, v11, v7
	v_add_f32_e32 v13, v13, v8
	v_add_f32_e32 v9, v9, v24
	v_add_nc_u32_e32 v18, 16, v18
	v_add_nc_u32_e32 v6, 16, v6
	;; [unrolled: 1-line block ×3, first 2 shown]
	s_or_b32 s1, s0, s1
	s_andn2_b32 exec_lo, exec_lo, s1
	s_cbranch_execz .LBB139_17
.LBB139_3:                              ; =>This Inner Loop Header: Depth=1
	v_add_nc_u32_e32 v7, s3, v12
                                        ; implicit-def: $vgpr49
                                        ; implicit-def: $vgpr28
	v_mad_i64_i32 v[7:8], null, 0xb0, v7, s[20:21]
	v_add_co_u32 v26, s0, v7, v14
	v_add_co_ci_u32_e64 v27, null, 0, v8, s0
	v_add_co_u32 v24, s0, v7, v17
	v_add_co_ci_u32_e64 v25, null, 0, v8, s0
	;; [unrolled: 2-line block ×4, first 2 shown]
	s_clause 0x4
	global_load_dword v43, v[26:27], off offset:48
	global_load_dword v44, v[26:27], off offset:64
	;; [unrolled: 1-line block ×4, first 2 shown]
	global_load_dword v24, v[7:8], off
	s_clause 0x5
	global_load_dword v26, v[4:5], off offset:-36
	global_load_dword v29, v[32:33], off offset:-32
	;; [unrolled: 1-line block ×3, first 2 shown]
	global_load_dword v25, v[4:5], off
	global_load_dword v27, v[32:33], off offset:4
	global_load_dword v30, v[32:33], off offset:20
	v_add_co_u32 v7, s0, v7, v20
	v_add_co_ci_u32_e64 v8, null, 0, v8, s0
	s_and_saveexec_b32 s0, vcc_lo
	s_xor_b32 s0, exec_lo, s0
	s_cbranch_execz .LBB139_5
; %bb.4:                                ;   in Loop: Header=BB139_3 Depth=1
	s_clause 0x1
	global_load_ushort v28, v[7:8], off offset:8
	global_load_ushort v32, v[7:8], off offset:4
	s_waitcnt vmcnt(1)
	v_mov_b32_e32 v33, v28
	s_waitcnt vmcnt(0)
	v_perm_b32 v49, v28, v32, 0x5040100
	global_load_short_d16_hi v33, v[7:8], off
	v_pk_lshrrev_b16 v28, 2, v49
	v_and_b32_e32 v28, 0xf0f3030, v28
	s_waitcnt vmcnt(0)
	v_pk_lshrrev_b16 v32, 0x20004, v33
	v_and_or_b32 v28, 0x30300f0f, v32, v28
.LBB139_5:                              ;   in Loop: Header=BB139_3 Depth=1
	s_andn2_saveexec_b32 s0, s0
	s_cbranch_execz .LBB139_7
; %bb.6:                                ;   in Loop: Header=BB139_3 Depth=1
	s_clause 0x1
	global_load_ushort v32, v[7:8], off offset:4
	global_load_ushort v33, v[7:8], off offset:8
	s_waitcnt vmcnt(0)
	v_perm_b32 v28, v32, v33, 0x5040100
	v_perm_b32 v49, v33, v32, 0x5040100
	v_and_b32_e32 v28, 0x3f3f3f3f, v28
.LBB139_7:                              ;   in Loop: Header=BB139_3 Depth=1
	s_or_b32 exec_lo, exec_lo, s0
	v_mad_u64_u32 v[39:40], null, v19, 36, v[2:3]
	v_lshlrev_b32_e32 v35, 2, v15
	v_lshrrev_b16 v47, 2, v49
	v_add_co_u32 v36, s0, v39, v35
	v_add_co_ci_u32_e64 v37, null, 0, v40, s0
	s_clause 0x5
	global_load_dword v33, v[39:40], off
	global_load_dword v38, v[36:37], off offset:4
	global_load_dword v41, v[36:37], off offset:20
	;; [unrolled: 1-line block ×5, first 2 shown]
	v_lshrrev_b32_e32 v39, 20, v49
	v_and_b32_sdwa v36, v49, v21 dst_sel:DWORD dst_unused:UNUSED_PAD src0_sel:WORD_1 src1_sel:DWORD
                                        ; implicit-def: $vgpr40
	v_and_b32_e32 v42, 0xf0f, v39
                                        ; implicit-def: $vgpr39
	s_and_saveexec_b32 s0, vcc_lo
	s_xor_b32 s0, exec_lo, s0
	s_cbranch_execz .LBB139_9
; %bb.8:                                ;   in Loop: Header=BB139_3 Depth=1
	global_load_ushort v39, v[7:8], off
	v_and_b32_e32 v48, 0x3030, v47
	s_waitcnt vmcnt(0)
	v_lshrrev_b16 v39, 2, v39
	v_and_b32_e32 v39, 0x3030, v39
	v_or_b32_e32 v40, v39, v36
	v_or_b32_e32 v39, v48, v42
.LBB139_9:                              ;   in Loop: Header=BB139_3 Depth=1
	s_or_saveexec_b32 s0, s0
	v_and_b32_e32 v51, 0x3f3f, v49
	v_and_b32_sdwa v53, v49, v22 dst_sel:DWORD dst_unused:UNUSED_PAD src0_sel:WORD_1 src1_sel:DWORD
	s_xor_b32 exec_lo, exec_lo, s0
; %bb.10:                               ;   in Loop: Header=BB139_3 Depth=1
	v_and_b32_e32 v40, 0x3f3f, v49
	v_and_b32_sdwa v39, v49, v22 dst_sel:DWORD dst_unused:UNUSED_PAD src0_sel:WORD_1 src1_sel:DWORD
; %bb.11:                               ;   in Loop: Header=BB139_3 Depth=1
	s_or_b32 exec_lo, exec_lo, s0
	v_mad_u64_u32 v[60:61], null, v18, 36, v[2:3]
	v_add_co_u32 v55, s0, v60, v35
	v_add_co_ci_u32_e64 v56, null, 0, v61, s0
	s_clause 0x5
	global_load_dword v52, v[60:61], off
	global_load_dword v58, v[55:56], off offset:4
	global_load_dword v59, v[55:56], off offset:20
	;; [unrolled: 1-line block ×5, first 2 shown]
	s_and_saveexec_b32 s0, vcc_lo
	s_xor_b32 s0, exec_lo, s0
	s_cbranch_execz .LBB139_13
; %bb.12:                               ;   in Loop: Header=BB139_3 Depth=1
	global_load_ushort v50, v[7:8], off
	v_and_b32_e32 v47, 0x3030, v47
	v_or_b32_e32 v53, v47, v42
	s_waitcnt vmcnt(0)
	v_lshrrev_b16 v50, 2, v50
	v_and_b32_e32 v50, 0x3030, v50
	v_or_b32_e32 v51, v50, v36
.LBB139_13:                             ;   in Loop: Header=BB139_3 Depth=1
	s_andn2_saveexec_b32 s0, s0
	s_or_b32 exec_lo, exec_lo, s0
	v_mad_u64_u32 v[60:61], null, v6, 36, v[2:3]
                                        ; implicit-def: $vgpr42
	v_add_co_u32 v62, s0, v60, v35
	v_add_co_ci_u32_e64 v63, null, 0, v61, s0
	s_clause 0x5
	global_load_dword v35, v[60:61], off
	global_load_dword v55, v[62:63], off offset:4
	global_load_dword v57, v[62:63], off offset:20
	;; [unrolled: 1-line block ×5, first 2 shown]
	s_and_saveexec_b32 s0, vcc_lo
	s_xor_b32 s0, exec_lo, s0
	s_cbranch_execz .LBB139_15
; %bb.14:                               ;   in Loop: Header=BB139_3 Depth=1
	global_load_ushort v7, v[7:8], off
	v_pk_lshrrev_b16 v8, 4, v49 op_sel:[1,1] op_sel_hi:[0,1]
	v_and_b32_e32 v8, 0xf0f0f0f, v8
	s_waitcnt vmcnt(0)
	v_perm_b32 v7, v49, v7, 0x5040100
                                        ; implicit-def: $vgpr49
	v_pk_lshrrev_b16 v7, 2, v7 op_sel_hi:[0,1]
	v_and_or_b32 v42, 0x30303030, v7, v8
.LBB139_15:                             ;   in Loop: Header=BB139_3 Depth=1
	s_andn2_saveexec_b32 s0, s0
	s_cbranch_execz .LBB139_2
; %bb.16:                               ;   in Loop: Header=BB139_3 Depth=1
	v_and_b32_e32 v42, 0x3f3f3f3f, v49
	s_branch .LBB139_2
.LBB139_17:
	s_or_b32 exec_lo, exec_lo, s1
.LBB139_18:
	s_or_b32 exec_lo, exec_lo, s9
	s_mov_b32 s1, 0
	; wave barrier
	buffer_gl0_inv
	s_mov_b32 s0, exec_lo
	v_cmpx_eq_u32_e32 0, v1
	s_cbranch_execz .LBB139_27
; %bb.19:
	v_mbcnt_lo_u32_b32 v5, -1, 0
	s_load_dwordx2 s[4:5], s[4:5], 0x38
	s_mul_i32 s0, s14, s7
	s_mul_i32 s3, s18, s8
	s_add_i32 s0, s0, s6
	v_xor_b32_e32 v1, 16, v5
	v_xor_b32_e32 v2, 8, v5
	;; [unrolled: 1-line block ×3, first 2 shown]
	s_add_i32 s0, s0, s3
	s_lshl_b64 s[0:1], s[0:1], 2
	v_cmp_gt_i32_e32 vcc_lo, 32, v1
	v_cndmask_b32_e32 v1, v5, v1, vcc_lo
	v_cmp_gt_i32_e32 vcc_lo, 32, v2
	v_lshlrev_b32_e32 v1, 2, v1
	v_cndmask_b32_e32 v2, v5, v2, vcc_lo
	s_waitcnt lgkmcnt(0)
	s_add_u32 s0, s4, s0
	s_addc_u32 s1, s5, s1
	ds_bpermute_b32 v3, v1, v13
	v_lshlrev_b32_e32 v2, 2, v2
	s_waitcnt lgkmcnt(0)
	v_add_f32_e32 v4, v13, v3
	v_xor_b32_e32 v3, 4, v5
	ds_bpermute_b32 v6, v2, v4
	v_cmp_gt_i32_e32 vcc_lo, 32, v3
	v_cndmask_b32_e32 v3, v5, v3, vcc_lo
	v_lshlrev_b32_e32 v3, 2, v3
	s_waitcnt lgkmcnt(0)
	v_add_f32_e32 v6, v4, v6
	v_xor_b32_e32 v4, 2, v5
	ds_bpermute_b32 v7, v3, v6
	v_cmp_gt_i32_e32 vcc_lo, 32, v4
	v_cndmask_b32_e32 v4, v5, v4, vcc_lo
	v_cmp_gt_i32_e32 vcc_lo, 32, v8
	v_lshlrev_b32_e32 v4, 2, v4
	v_cndmask_b32_e32 v5, v5, v8, vcc_lo
	v_cmp_eq_u32_e32 vcc_lo, 0, v0
	v_lshlrev_b32_e32 v5, 2, v5
	s_waitcnt lgkmcnt(0)
	v_add_f32_e32 v6, v6, v7
	ds_bpermute_b32 v7, v4, v6
	s_waitcnt lgkmcnt(0)
	v_add_f32_e32 v6, v6, v7
	ds_bpermute_b32 v7, v5, v6
	s_and_saveexec_b32 s3, vcc_lo
	s_cbranch_execz .LBB139_21
; %bb.20:
	s_waitcnt lgkmcnt(0)
	v_add_f32_e32 v0, v6, v7
	v_mov_b32_e32 v6, 0
	global_store_dword v6, v0, s[0:1]
.LBB139_21:
	s_or_b32 exec_lo, exec_lo, s3
	ds_bpermute_b32 v0, v1, v11
	s_waitcnt lgkmcnt(0)
	v_add_f32_e32 v0, v11, v0
	ds_bpermute_b32 v6, v2, v0
	s_waitcnt lgkmcnt(0)
	v_add_f32_e32 v0, v0, v6
	;; [unrolled: 3-line block ×4, first 2 shown]
	ds_bpermute_b32 v6, v5, v0
	s_and_saveexec_b32 s4, vcc_lo
	s_cbranch_execz .LBB139_23
; %bb.22:
	s_mov_b32 s3, 0
	s_waitcnt lgkmcnt(0)
	v_add_f32_e32 v0, v0, v6
	s_lshl_b64 s[6:7], s[2:3], 2
	v_mov_b32_e32 v6, 0
	s_add_u32 s6, s0, s6
	s_addc_u32 s7, s1, s7
	global_store_dword v6, v0, s[6:7]
.LBB139_23:
	s_or_b32 exec_lo, exec_lo, s4
	ds_bpermute_b32 v0, v1, v10
	s_waitcnt lgkmcnt(0)
	v_add_f32_e32 v0, v10, v0
	ds_bpermute_b32 v6, v2, v0
	s_waitcnt lgkmcnt(0)
	v_add_f32_e32 v0, v0, v6
	;; [unrolled: 3-line block ×4, first 2 shown]
	ds_bpermute_b32 v6, v5, v0
	s_and_saveexec_b32 s3, vcc_lo
	s_cbranch_execz .LBB139_25
; %bb.24:
	s_lshl_b32 s4, s2, 1
	s_mov_b32 s5, 0
	s_waitcnt lgkmcnt(0)
	v_add_f32_e32 v0, v0, v6
	s_lshl_b64 s[4:5], s[4:5], 2
	v_mov_b32_e32 v6, 0
	s_add_u32 s4, s0, s4
	s_addc_u32 s5, s1, s5
	global_store_dword v6, v0, s[4:5]
.LBB139_25:
	s_or_b32 exec_lo, exec_lo, s3
	ds_bpermute_b32 v0, v1, v9
	s_waitcnt lgkmcnt(0)
	v_add_f32_e32 v0, v9, v0
	ds_bpermute_b32 v1, v2, v0
	s_waitcnt lgkmcnt(0)
	v_add_f32_e32 v0, v0, v1
	;; [unrolled: 3-line block ×4, first 2 shown]
	ds_bpermute_b32 v1, v5, v0
	s_and_b32 exec_lo, exec_lo, vcc_lo
	s_cbranch_execz .LBB139_27
; %bb.26:
	s_mul_i32 s2, s2, 3
	s_mov_b32 s3, 0
	s_waitcnt lgkmcnt(0)
	v_add_f32_e32 v0, v0, v1
	s_lshl_b64 s[2:3], s[2:3], 2
	v_mov_b32_e32 v1, 0
	s_add_u32 s0, s0, s2
	s_addc_u32 s1, s1, s3
	global_store_dword v1, v0, s[0:1]
.LBB139_27:
	s_endpgm
	.section	.rodata,"a",@progbits
	.p2align	6, 0x0
	.amdhsa_kernel _ZL13mul_mat_vec_qIL9ggml_type13ELi4ELb0ELb0EEvPKvS2_PKi31ggml_cuda_mm_fusion_args_devicePfj15HIP_vector_typeIjLj3EEjjjS8_jjjS8_jjjj
		.amdhsa_group_segment_fixed_size 0
		.amdhsa_private_segment_fixed_size 0
		.amdhsa_kernarg_size 144
		.amdhsa_user_sgpr_count 6
		.amdhsa_user_sgpr_private_segment_buffer 1
		.amdhsa_user_sgpr_dispatch_ptr 0
		.amdhsa_user_sgpr_queue_ptr 0
		.amdhsa_user_sgpr_kernarg_segment_ptr 1
		.amdhsa_user_sgpr_dispatch_id 0
		.amdhsa_user_sgpr_flat_scratch_init 0
		.amdhsa_user_sgpr_private_segment_size 0
		.amdhsa_wavefront_size32 1
		.amdhsa_uses_dynamic_stack 0
		.amdhsa_system_sgpr_private_segment_wavefront_offset 0
		.amdhsa_system_sgpr_workgroup_id_x 1
		.amdhsa_system_sgpr_workgroup_id_y 1
		.amdhsa_system_sgpr_workgroup_id_z 1
		.amdhsa_system_sgpr_workgroup_info 0
		.amdhsa_system_vgpr_workitem_id 1
		.amdhsa_next_free_vgpr 64
		.amdhsa_next_free_sgpr 26
		.amdhsa_reserve_vcc 1
		.amdhsa_reserve_flat_scratch 0
		.amdhsa_float_round_mode_32 0
		.amdhsa_float_round_mode_16_64 0
		.amdhsa_float_denorm_mode_32 3
		.amdhsa_float_denorm_mode_16_64 3
		.amdhsa_dx10_clamp 1
		.amdhsa_ieee_mode 1
		.amdhsa_fp16_overflow 0
		.amdhsa_workgroup_processor_mode 1
		.amdhsa_memory_ordered 1
		.amdhsa_forward_progress 1
		.amdhsa_shared_vgpr_count 0
		.amdhsa_exception_fp_ieee_invalid_op 0
		.amdhsa_exception_fp_denorm_src 0
		.amdhsa_exception_fp_ieee_div_zero 0
		.amdhsa_exception_fp_ieee_overflow 0
		.amdhsa_exception_fp_ieee_underflow 0
		.amdhsa_exception_fp_ieee_inexact 0
		.amdhsa_exception_int_div_zero 0
	.end_amdhsa_kernel
	.section	.text._ZL13mul_mat_vec_qIL9ggml_type13ELi4ELb0ELb0EEvPKvS2_PKi31ggml_cuda_mm_fusion_args_devicePfj15HIP_vector_typeIjLj3EEjjjS8_jjjS8_jjjj,"axG",@progbits,_ZL13mul_mat_vec_qIL9ggml_type13ELi4ELb0ELb0EEvPKvS2_PKi31ggml_cuda_mm_fusion_args_devicePfj15HIP_vector_typeIjLj3EEjjjS8_jjjS8_jjjj,comdat
.Lfunc_end139:
	.size	_ZL13mul_mat_vec_qIL9ggml_type13ELi4ELb0ELb0EEvPKvS2_PKi31ggml_cuda_mm_fusion_args_devicePfj15HIP_vector_typeIjLj3EEjjjS8_jjjS8_jjjj, .Lfunc_end139-_ZL13mul_mat_vec_qIL9ggml_type13ELi4ELb0ELb0EEvPKvS2_PKi31ggml_cuda_mm_fusion_args_devicePfj15HIP_vector_typeIjLj3EEjjjS8_jjjS8_jjjj
                                        ; -- End function
	.set _ZL13mul_mat_vec_qIL9ggml_type13ELi4ELb0ELb0EEvPKvS2_PKi31ggml_cuda_mm_fusion_args_devicePfj15HIP_vector_typeIjLj3EEjjjS8_jjjS8_jjjj.num_vgpr, 64
	.set _ZL13mul_mat_vec_qIL9ggml_type13ELi4ELb0ELb0EEvPKvS2_PKi31ggml_cuda_mm_fusion_args_devicePfj15HIP_vector_typeIjLj3EEjjjS8_jjjS8_jjjj.num_agpr, 0
	.set _ZL13mul_mat_vec_qIL9ggml_type13ELi4ELb0ELb0EEvPKvS2_PKi31ggml_cuda_mm_fusion_args_devicePfj15HIP_vector_typeIjLj3EEjjjS8_jjjS8_jjjj.numbered_sgpr, 26
	.set _ZL13mul_mat_vec_qIL9ggml_type13ELi4ELb0ELb0EEvPKvS2_PKi31ggml_cuda_mm_fusion_args_devicePfj15HIP_vector_typeIjLj3EEjjjS8_jjjS8_jjjj.num_named_barrier, 0
	.set _ZL13mul_mat_vec_qIL9ggml_type13ELi4ELb0ELb0EEvPKvS2_PKi31ggml_cuda_mm_fusion_args_devicePfj15HIP_vector_typeIjLj3EEjjjS8_jjjS8_jjjj.private_seg_size, 0
	.set _ZL13mul_mat_vec_qIL9ggml_type13ELi4ELb0ELb0EEvPKvS2_PKi31ggml_cuda_mm_fusion_args_devicePfj15HIP_vector_typeIjLj3EEjjjS8_jjjS8_jjjj.uses_vcc, 1
	.set _ZL13mul_mat_vec_qIL9ggml_type13ELi4ELb0ELb0EEvPKvS2_PKi31ggml_cuda_mm_fusion_args_devicePfj15HIP_vector_typeIjLj3EEjjjS8_jjjS8_jjjj.uses_flat_scratch, 0
	.set _ZL13mul_mat_vec_qIL9ggml_type13ELi4ELb0ELb0EEvPKvS2_PKi31ggml_cuda_mm_fusion_args_devicePfj15HIP_vector_typeIjLj3EEjjjS8_jjjS8_jjjj.has_dyn_sized_stack, 0
	.set _ZL13mul_mat_vec_qIL9ggml_type13ELi4ELb0ELb0EEvPKvS2_PKi31ggml_cuda_mm_fusion_args_devicePfj15HIP_vector_typeIjLj3EEjjjS8_jjjS8_jjjj.has_recursion, 0
	.set _ZL13mul_mat_vec_qIL9ggml_type13ELi4ELb0ELb0EEvPKvS2_PKi31ggml_cuda_mm_fusion_args_devicePfj15HIP_vector_typeIjLj3EEjjjS8_jjjS8_jjjj.has_indirect_call, 0
	.section	.AMDGPU.csdata,"",@progbits
; Kernel info:
; codeLenInByte = 2884
; TotalNumSgprs: 28
; NumVgprs: 64
; ScratchSize: 0
; MemoryBound: 0
; FloatMode: 240
; IeeeMode: 1
; LDSByteSize: 0 bytes/workgroup (compile time only)
; SGPRBlocks: 0
; VGPRBlocks: 7
; NumSGPRsForWavesPerEU: 28
; NumVGPRsForWavesPerEU: 64
; Occupancy: 16
; WaveLimiterHint : 0
; COMPUTE_PGM_RSRC2:SCRATCH_EN: 0
; COMPUTE_PGM_RSRC2:USER_SGPR: 6
; COMPUTE_PGM_RSRC2:TRAP_HANDLER: 0
; COMPUTE_PGM_RSRC2:TGID_X_EN: 1
; COMPUTE_PGM_RSRC2:TGID_Y_EN: 1
; COMPUTE_PGM_RSRC2:TGID_Z_EN: 1
; COMPUTE_PGM_RSRC2:TIDIG_COMP_CNT: 1
	.section	.text._ZL13mul_mat_vec_qIL9ggml_type13ELi5ELb0ELb0EEvPKvS2_PKi31ggml_cuda_mm_fusion_args_devicePfj15HIP_vector_typeIjLj3EEjjjS8_jjjS8_jjjj,"axG",@progbits,_ZL13mul_mat_vec_qIL9ggml_type13ELi5ELb0ELb0EEvPKvS2_PKi31ggml_cuda_mm_fusion_args_devicePfj15HIP_vector_typeIjLj3EEjjjS8_jjjS8_jjjj,comdat
	.globl	_ZL13mul_mat_vec_qIL9ggml_type13ELi5ELb0ELb0EEvPKvS2_PKi31ggml_cuda_mm_fusion_args_devicePfj15HIP_vector_typeIjLj3EEjjjS8_jjjS8_jjjj ; -- Begin function _ZL13mul_mat_vec_qIL9ggml_type13ELi5ELb0ELb0EEvPKvS2_PKi31ggml_cuda_mm_fusion_args_devicePfj15HIP_vector_typeIjLj3EEjjjS8_jjjS8_jjjj
	.p2align	8
	.type	_ZL13mul_mat_vec_qIL9ggml_type13ELi5ELb0ELb0EEvPKvS2_PKi31ggml_cuda_mm_fusion_args_devicePfj15HIP_vector_typeIjLj3EEjjjS8_jjjS8_jjjj,@function
_ZL13mul_mat_vec_qIL9ggml_type13ELi5ELb0ELb0EEvPKvS2_PKi31ggml_cuda_mm_fusion_args_devicePfj15HIP_vector_typeIjLj3EEjjjS8_jjjS8_jjjj: ; @_ZL13mul_mat_vec_qIL9ggml_type13ELi5ELb0ELb0EEvPKvS2_PKi31ggml_cuda_mm_fusion_args_devicePfj15HIP_vector_typeIjLj3EEjjjS8_jjjS8_jjjj
; %bb.0:
	s_clause 0x5
	s_load_dword s9, s[4:5], 0x40
	s_load_dwordx4 s[0:3], s[4:5], 0x50
	s_load_dword s11, s[4:5], 0x60
	s_load_dwordx4 s[12:15], s[4:5], 0x68
	;; [unrolled: 2-line block ×3, first 2 shown]
	v_lshl_or_b32 v2, v1, 5, v0
	v_mov_b32_e32 v9, 0
	v_mov_b32_e32 v10, 0
	;; [unrolled: 1-line block ×4, first 2 shown]
	v_lshrrev_b32_e32 v13, 4, v2
	v_mov_b32_e32 v14, 0
	s_waitcnt lgkmcnt(0)
	s_lshr_b32 s10, s9, 8
	s_mov_b32 s9, exec_lo
	v_cmpx_gt_u32_e64 s10, v13
	s_cbranch_execz .LBB140_22
; %bb.1:
	s_load_dwordx4 s[20:23], s[4:5], 0x0
	v_lshlrev_b32_e32 v2, 1, v0
	v_bfe_u32 v4, v0, 2, 2
	s_mul_hi_u32 s3, s3, s7
	s_mul_hi_u32 s15, s15, s8
	s_mul_i32 s17, s17, s8
	v_and_b32_e32 v6, 30, v2
	v_bfe_u32 v10, v2, 3, 2
	v_mul_hi_u32_u24_e32 v3, 0x48, v4
	v_mul_u32_u24_e32 v2, 0x48, v4
	s_add_i32 s3, s7, s3
	s_add_i32 s15, s8, s15
	s_mul_i32 s13, s13, s7
	s_mul_hi_u32 s19, s17, 36
	v_mad_u64_u32 v[4:5], null, 0x120, v13, v[2:3]
	s_mul_i32 s17, s17, 36
	s_lshr_b32 s3, s3, s11
	s_lshr_b32 s11, s15, s24
	s_mul_hi_u32 s25, s13, 36
	s_mul_i32 s13, s13, 36
	s_mul_i32 s3, s3, s12
	s_waitcnt lgkmcnt(0)
	s_add_u32 s12, s22, s17
	s_addc_u32 s15, s23, s19
	s_mul_i32 s0, s0, s6
	s_add_u32 s12, s12, s13
	v_lshlrev_b32_e32 v17, 1, v10
	v_mov_b32_e32 v9, 0
	v_lshlrev_b32_e32 v8, 3, v13
	s_addc_u32 s13, s15, s25
	s_add_i32 s3, s3, s0
	v_add_co_u32 v4, s0, s12, v4
	v_and_b32_e32 v16, 3, v0
	v_add_co_ci_u32_e64 v5, null, s13, v5, s0
	v_cmp_lt_u32_e32 vcc_lo, 15, v6
	v_mad_u64_u32 v[2:3], null, v17, 36, s[12:13]
	v_mad_u64_u32 v[6:7], null, s1, 3, v[8:9]
	v_add_co_u32 v4, s0, v4, 36
	v_lshlrev_b32_e32 v15, 5, v10
	v_lshlrev_b32_e32 v18, 2, v16
	v_add_co_ci_u32_e64 v5, null, 0, v5, s0
	v_lshl_add_u32 v19, s1, 1, v8
	v_lshl_add_u32 v20, s1, 2, v8
	v_add_nc_u32_e32 v21, s1, v8
	v_lshlrev_b32_e32 v22, 1, v10
	v_mov_b32_e32 v23, 0xf0f
	v_mov_b32_e32 v24, 0x3f3f
	;; [unrolled: 1-line block ×7, first 2 shown]
	s_mul_i32 s11, s11, s16
	s_mov_b32 s1, 0
	s_add_i32 s3, s11, s3
	s_branch .LBB140_3
.LBB140_2:                              ;   in Loop: Header=BB140_3 Depth=1
	s_or_b32 exec_lo, exec_lo, s0
	s_waitcnt vmcnt(32)
	v_ashrrev_i32_e32 v7, v17, v53
	s_waitcnt vmcnt(31)
	v_ashrrev_i32_e32 v8, v17, v54
	v_and_b32_e32 v53, 0xf0f0f0f, v51
	v_and_b32_e32 v54, 0xf0f0f0f, v48
	v_lshrrev_b32_e32 v51, 4, v51
	v_lshlrev_b32_e32 v57, 4, v7
	v_lshlrev_b32_e32 v70, 4, v8
	v_lshrrev_b32_e32 v48, 4, v48
	v_lshlrev_b32_e32 v7, 3, v7
	v_and_b32_e32 v51, 0xf0f0f0f, v51
	v_and_or_b32 v53, 0x10101010, v57, v53
	v_and_or_b32 v54, 0x10101010, v70, v54
	v_mov_b32_e32 v57, 0
	v_and_b32_e32 v48, 0xf0f0f0f, v48
	v_lshlrev_b32_e32 v8, 3, v8
	v_mov_b32_e32 v70, 0
	v_and_or_b32 v7, 0x10101010, v7, v51
	s_waitcnt vmcnt(9)
	v_dot4c_i32_i8 v57, 0x1010101, v69
	v_mov_b32_e32 v51, 0
	v_and_or_b32 v8, 0x10101010, v8, v48
	v_dot4c_i32_i8 v70, v54, v69
	v_mov_b32_e32 v48, 0
	v_dot4c_i32_i8 v57, 0x1010101, v66
	s_waitcnt vmcnt(7)
	v_dot4c_i32_i8 v51, 0x1010101, v67
	v_and_b32_sdwa v69, v25, v59 dst_sel:DWORD dst_unused:UNUSED_PAD src0_sel:DWORD src1_sel:BYTE_0
	v_dot4c_i32_i8 v70, v53, v66
	v_dot4c_i32_i8 v48, v8, v67
	v_and_b32_sdwa v66, v25, v58 dst_sel:DWORD dst_unused:UNUSED_PAD src0_sel:DWORD src1_sel:BYTE_0
	v_dot4c_i32_i8 v51, 0x1010101, v64
	v_mul_lo_u32 v57, v57, v69
	v_and_b32_sdwa v59, v25, v59 dst_sel:DWORD dst_unused:UNUSED_PAD src0_sel:DWORD src1_sel:BYTE_1
	v_dot4c_i32_i8 v48, v7, v64
	v_mul_lo_u32 v64, v70, v66
	v_and_b32_sdwa v58, v25, v58 dst_sel:DWORD dst_unused:UNUSED_PAD src0_sel:DWORD src1_sel:BYTE_1
	v_mov_b32_e32 v66, 0
	v_mul_lo_u32 v51, v51, v59
	v_and_b32_sdwa v67, v25, v49 dst_sel:DWORD dst_unused:UNUSED_PAD src0_sel:DWORD src1_sel:BYTE_0
	v_cvt_f32_i32_e32 v57, v57
	v_mul_lo_u32 v48, v48, v58
	v_dot4c_i32_i8 v66, 0x1010101, v52
	v_cvt_f32_i32_e32 v58, v64
	v_mov_b32_e32 v64, 0
	v_fma_mix_f32 v57, v61, v57, 0 op_sel_hi:[1,0,0]
	v_cvt_f32_i32_e32 v51, v51
	v_dot4c_i32_i8 v66, 0x1010101, v50
	v_fma_mix_f32 v58, v61, v58, 0 op_sel_hi:[1,0,0]
	v_cvt_f32_i32_e32 v48, v48
	v_mov_b32_e32 v61, 0
	s_waitcnt vmcnt(6)
	v_fma_mix_f32 v51, v62, v51, v57 op_sel_hi:[1,0,0]
	v_mov_b32_e32 v57, 0
	s_waitcnt vmcnt(1)
	v_dot4c_i32_i8 v64, v8, v63
	v_fma_mix_f32 v48, v62, v48, v58 op_sel_hi:[1,0,0]
	v_mov_b32_e32 v58, 0
	v_mov_b32_e32 v62, 0
	v_dot4c_i32_i8 v57, v54, v68
	v_dot4c_i32_i8 v61, v54, v56
	;; [unrolled: 1-line block ×7, first 2 shown]
	v_mov_b32_e32 v56, 0
	v_dot4c_i32_i8 v58, 0x1010101, v65
	v_dot4c_i32_i8 v62, 0x1010101, v55
	v_mov_b32_e32 v55, 0
	v_and_b32_sdwa v65, v25, v47 dst_sel:DWORD dst_unused:UNUSED_PAD src0_sel:DWORD src1_sel:BYTE_0
	v_dot4c_i32_i8 v56, 0x1010101, v63
	v_and_b32_sdwa v47, v25, v47 dst_sel:DWORD dst_unused:UNUSED_PAD src0_sel:DWORD src1_sel:BYTE_1
	v_and_b32_sdwa v49, v25, v49 dst_sel:DWORD dst_unused:UNUSED_PAD src0_sel:DWORD src1_sel:BYTE_1
	v_dot4c_i32_i8 v55, v8, v52
	v_mul_lo_u32 v61, v61, v65
	v_mul_lo_u32 v52, v62, v67
	v_dot4c_i32_i8 v56, 0x1010101, v60
	v_mul_lo_u32 v49, v66, v49
	v_dot4c_i32_i8 v55, v7, v50
	v_mov_b32_e32 v50, 0
	v_cvt_f32_f16_sdwa v59, v26 dst_sel:DWORD dst_unused:UNUSED_PAD src0_sel:WORD_1
	v_add_nc_u32_e32 v13, 2, v13
	v_cvt_f32_i32_e32 v60, v61
	v_cvt_f32_i32_e32 v52, v52
	v_dot4c_i32_i8 v50, v54, v41
	v_mov_b32_e32 v61, 0
	v_mul_lo_u32 v47, v55, v47
	v_fma_mix_f32 v60, v45, v60, 0 op_sel_hi:[1,0,0]
	v_fma_mix_f32 v45, v45, v52, 0 op_sel_hi:[1,0,0]
	v_mov_b32_e32 v52, 0
	v_dot4c_i32_i8 v50, v53, v38
	v_dot4c_i32_i8 v61, 0x1010101, v41
	v_and_b32_sdwa v41, v25, v40 dst_sel:DWORD dst_unused:UNUSED_PAD src0_sel:DWORD src1_sel:BYTE_0
	v_mov_b32_e32 v55, 0
	v_dot4c_i32_i8 v52, v8, v37
	v_mul_f32_e32 v51, v51, v59
	v_dot4c_i32_i8 v61, 0x1010101, v38
	v_mul_lo_u32 v38, v50, v41
	v_dot4c_i32_i8 v55, 0x1010101, v37
	v_dot4c_i32_i8 v52, v7, v36
	v_and_b32_sdwa v37, v25, v40 dst_sel:DWORD dst_unused:UNUSED_PAD src0_sel:DWORD src1_sel:BYTE_1
	v_and_b32_sdwa v41, v25, v39 dst_sel:DWORD dst_unused:UNUSED_PAD src0_sel:DWORD src1_sel:BYTE_0
	v_cvt_f32_i32_e32 v40, v49
	v_dot4c_i32_i8 v55, 0x1010101, v36
	v_add_co_u32 v4, s0, 0x240, v4
	v_cvt_f32_i32_e32 v36, v38
	v_mul_lo_u32 v37, v52, v37
	v_and_b32_sdwa v38, v25, v39 dst_sel:DWORD dst_unused:UNUSED_PAD src0_sel:DWORD src1_sel:BYTE_1
	v_mul_lo_u32 v41, v61, v41
	v_fma_mix_f32 v40, v42, v40, v45 op_sel_hi:[1,0,0]
	v_mov_b32_e32 v45, 0
	v_fma_mix_f32 v36, v35, v36, 0 op_sel_hi:[1,0,0]
	v_mul_lo_u32 v38, v55, v38
	v_cvt_f32_i32_e32 v39, v47
	v_cvt_f32_i32_e32 v37, v37
	v_dot4c_i32_i8 v45, v54, v33
	v_cvt_f32_i32_e32 v41, v41
	v_mov_b32_e32 v47, 0
	v_fma_mix_f32 v39, v42, v39, v60 op_sel_hi:[1,0,0]
	v_fma_mix_f32 v36, v34, v37, v36 op_sel_hi:[1,0,0]
	v_cvt_f32_i32_e32 v37, v38
	v_mov_b32_e32 v38, 0
	v_fma_mix_f32 v35, v35, v41, 0 op_sel_hi:[1,0,0]
	v_mov_b32_e32 v41, 0
	v_dot4c_i32_i8 v45, v53, v31
	v_bfe_u32 v42, v30, 16, 8
	v_dot4c_i32_i8 v38, 0x1010101, v33
	v_dot4c_i32_i8 v47, 0x1010101, v32
	;; [unrolled: 1-line block ×3, first 2 shown]
	v_fma_mix_f32 v8, v34, v37, v35 op_sel_hi:[1,0,0]
	v_mul_lo_u32 v33, v45, v42
	v_dot4c_i32_i8 v38, 0x1010101, v31
	v_and_b32_e32 v31, 0xff00ff, v46
	v_dot4c_i32_i8 v41, v7, v29
	v_and_b32_e32 v7, 0xff, v30
	v_pk_lshrrev_b16 v34, 8, v46 op_sel_hi:[0,1]
	v_dot4c_i32_i8 v47, 0x1010101, v29
	v_and_b32_sdwa v29, v25, v30 dst_sel:DWORD dst_unused:UNUSED_PAD src0_sel:DWORD src1_sel:BYTE_1
	v_cvt_f32_i32_e32 v32, v33
	v_lshrrev_b32_e32 v33, 16, v31
	v_mul_lo_u32 v7, v38, v7
	v_and_b32_e32 v31, 0xff, v31
	v_lshrrev_b32_e32 v35, 16, v34
	v_lshrrev_b32_e32 v30, 24, v30
	v_mul_lo_u32 v33, v58, v33
	v_mul_lo_u32 v29, v47, v29
	;; [unrolled: 1-line block ×3, first 2 shown]
	v_and_b32_e32 v34, 0xff, v34
	v_cvt_f32_i32_e32 v7, v7
	v_mul_lo_u32 v35, v56, v35
	v_fma_mix_f32 v32, v28, v32, 0 op_sel_hi:[1,0,0]
	v_mul_lo_u32 v30, v41, v30
	v_cvt_f32_i32_e32 v33, v33
	v_fma_mix_f32 v7, v28, v7, 0 op_sel_hi:[1,0,0]
	v_mul_lo_u32 v28, v64, v34
	v_cvt_f32_i32_e32 v29, v29
	v_cvt_f32_i32_e32 v31, v31
	v_fma_mix_f32 v33, v43, v33, 0 op_sel_hi:[1,0,0]
	v_cvt_f32_i32_e32 v34, v35
	v_cvt_f32_i32_e32 v30, v30
	v_fma_mix_f32 v7, v27, v29, v7 op_sel_hi:[1,0,0]
	v_fma_mix_f32 v29, v43, v31, 0 op_sel_hi:[1,0,0]
	v_cvt_f32_i32_e32 v28, v28
	s_waitcnt vmcnt(0)
	v_fma_mix_f32 v31, v44, v34, v33 op_sel_hi:[1,0,0]
	v_mul_f32_e32 v40, v40, v59
	v_mul_f32_e32 v8, v8, v59
	v_fma_mix_f32 v27, v27, v30, v32 op_sel_hi:[1,0,0]
	v_mul_f32_e32 v7, v7, v59
	v_fma_mix_f32 v28, v44, v28, v29 op_sel_hi:[1,0,0]
	v_mul_f32_e32 v29, v31, v59
	v_fma_mix_f32 v30, v48, v26, -v51 op_sel_hi:[0,1,0]
	v_fma_mix_f32 v31, v39, v26, -v40 op_sel_hi:[0,1,0]
	;; [unrolled: 1-line block ×5, first 2 shown]
	v_add_co_ci_u32_e64 v5, null, 0, v5, s0
	v_cmp_le_u32_e64 s0, s10, v13
	v_add_f32_e32 v10, v10, v30
	v_add_f32_e32 v11, v11, v31
	;; [unrolled: 1-line block ×5, first 2 shown]
	v_add_nc_u32_e32 v19, 16, v19
	v_add_nc_u32_e32 v6, 16, v6
	;; [unrolled: 1-line block ×4, first 2 shown]
	s_or_b32 s1, s0, s1
	s_andn2_b32 exec_lo, exec_lo, s1
	s_cbranch_execz .LBB140_21
.LBB140_3:                              ; =>This Inner Loop Header: Depth=1
	v_add_nc_u32_e32 v7, s3, v13
                                        ; implicit-def: $vgpr57
                                        ; implicit-def: $vgpr30
	v_mad_i64_i32 v[7:8], null, 0xb0, v7, s[20:21]
	v_add_co_u32 v28, s0, v7, v15
	v_add_co_ci_u32_e64 v29, null, 0, v8, s0
	v_add_co_u32 v26, s0, v7, v18
	v_add_co_ci_u32_e64 v27, null, 0, v8, s0
	;; [unrolled: 2-line block ×4, first 2 shown]
	s_clause 0x4
	global_load_dword v51, v[28:29], off offset:48
	global_load_dword v48, v[28:29], off offset:64
	;; [unrolled: 1-line block ×4, first 2 shown]
	global_load_dword v26, v[7:8], off
	s_clause 0x5
	global_load_dword v28, v[4:5], off offset:-36
	global_load_dword v31, v[34:35], off offset:-32
	;; [unrolled: 1-line block ×3, first 2 shown]
	global_load_dword v27, v[4:5], off
	global_load_dword v29, v[34:35], off offset:4
	global_load_dword v32, v[34:35], off offset:20
	v_add_co_u32 v7, s0, v7, v22
	v_add_co_ci_u32_e64 v8, null, 0, v8, s0
	s_and_saveexec_b32 s0, vcc_lo
	s_xor_b32 s0, exec_lo, s0
	s_cbranch_execz .LBB140_5
; %bb.4:                                ;   in Loop: Header=BB140_3 Depth=1
	s_clause 0x1
	global_load_ushort v30, v[7:8], off offset:8
	global_load_ushort v34, v[7:8], off offset:4
	s_waitcnt vmcnt(1)
	v_mov_b32_e32 v35, v30
	s_waitcnt vmcnt(0)
	v_perm_b32 v57, v30, v34, 0x5040100
	global_load_short_d16_hi v35, v[7:8], off
	v_pk_lshrrev_b16 v30, 2, v57
	v_and_b32_e32 v30, 0xf0f3030, v30
	s_waitcnt vmcnt(0)
	v_pk_lshrrev_b16 v34, 0x20004, v35
	v_and_or_b32 v30, 0x30300f0f, v34, v30
.LBB140_5:                              ;   in Loop: Header=BB140_3 Depth=1
	s_andn2_saveexec_b32 s0, s0
	s_cbranch_execz .LBB140_7
; %bb.6:                                ;   in Loop: Header=BB140_3 Depth=1
	s_clause 0x1
	global_load_ushort v34, v[7:8], off offset:4
	global_load_ushort v35, v[7:8], off offset:8
	s_waitcnt vmcnt(0)
	v_perm_b32 v30, v34, v35, 0x5040100
	v_perm_b32 v57, v35, v34, 0x5040100
	v_and_b32_e32 v30, 0x3f3f3f3f, v30
.LBB140_7:                              ;   in Loop: Header=BB140_3 Depth=1
	s_or_b32 exec_lo, exec_lo, s0
	v_mad_u64_u32 v[39:40], null, v21, 36, v[2:3]
	v_lshlrev_b32_e32 v43, 2, v16
	v_lshrrev_b16 v60, 2, v57
	v_add_co_u32 v44, s0, v39, v43
	v_add_co_ci_u32_e64 v45, null, 0, v40, s0
	s_clause 0x5
	global_load_dword v35, v[39:40], off
	global_load_dword v38, v[44:45], off offset:4
	global_load_dword v41, v[44:45], off offset:20
	;; [unrolled: 1-line block ×5, first 2 shown]
	v_lshrrev_b32_e32 v39, 20, v57
	v_and_b32_sdwa v44, v57, v23 dst_sel:DWORD dst_unused:UNUSED_PAD src0_sel:WORD_1 src1_sel:DWORD
                                        ; implicit-def: $vgpr40
	v_and_b32_e32 v46, 0xf0f, v39
                                        ; implicit-def: $vgpr39
	s_and_saveexec_b32 s0, vcc_lo
	s_xor_b32 s0, exec_lo, s0
	s_cbranch_execz .LBB140_9
; %bb.8:                                ;   in Loop: Header=BB140_3 Depth=1
	global_load_ushort v39, v[7:8], off
	v_and_b32_e32 v42, 0x3030, v60
	s_waitcnt vmcnt(0)
	v_lshrrev_b16 v39, 2, v39
	v_and_b32_e32 v39, 0x3030, v39
	v_or_b32_e32 v40, v39, v44
	v_or_b32_e32 v39, v42, v46
.LBB140_9:                              ;   in Loop: Header=BB140_3 Depth=1
	s_or_saveexec_b32 s0, s0
	v_and_b32_e32 v58, 0x3f3f, v57
	v_and_b32_sdwa v59, v57, v24 dst_sel:DWORD dst_unused:UNUSED_PAD src0_sel:WORD_1 src1_sel:DWORD
	s_xor_b32 exec_lo, exec_lo, s0
; %bb.10:                               ;   in Loop: Header=BB140_3 Depth=1
	v_and_b32_e32 v40, 0x3f3f, v57
	v_and_b32_sdwa v39, v57, v24 dst_sel:DWORD dst_unused:UNUSED_PAD src0_sel:WORD_1 src1_sel:DWORD
; %bb.11:                               ;   in Loop: Header=BB140_3 Depth=1
	s_or_b32 exec_lo, exec_lo, s0
	v_mad_u64_u32 v[61:62], null, v19, 36, v[2:3]
                                        ; implicit-def: $vgpr47
                                        ; implicit-def: $vgpr49
	v_add_co_u32 v63, s0, v61, v43
	v_add_co_ci_u32_e64 v64, null, 0, v62, s0
	s_clause 0x5
	global_load_dword v45, v[61:62], off
	global_load_dword v55, v[63:64], off offset:4
	global_load_dword v56, v[63:64], off offset:20
	;; [unrolled: 1-line block ×5, first 2 shown]
	s_and_saveexec_b32 s0, vcc_lo
	s_xor_b32 s0, exec_lo, s0
	s_cbranch_execz .LBB140_13
; %bb.12:                               ;   in Loop: Header=BB140_3 Depth=1
	global_load_ushort v47, v[7:8], off
	v_and_b32_e32 v49, 0x3030, v60
	v_or_b32_e32 v49, v49, v46
	s_waitcnt vmcnt(0)
	v_lshrrev_b16 v47, 2, v47
	v_and_b32_e32 v47, 0x3030, v47
	v_or_b32_e32 v47, v47, v44
.LBB140_13:                             ;   in Loop: Header=BB140_3 Depth=1
	s_andn2_saveexec_b32 s0, s0
; %bb.14:                               ;   in Loop: Header=BB140_3 Depth=1
	v_and_b32_e32 v47, 0x3f3f, v57
	v_and_b32_sdwa v49, v57, v24 dst_sel:DWORD dst_unused:UNUSED_PAD src0_sel:WORD_1 src1_sel:DWORD
; %bb.15:                               ;   in Loop: Header=BB140_3 Depth=1
	s_or_b32 exec_lo, exec_lo, s0
	v_mad_u64_u32 v[62:63], null, v6, 36, v[2:3]
	v_add_co_u32 v67, s0, v62, v43
	v_add_co_ci_u32_e64 v68, null, 0, v63, s0
	s_clause 0x5
	global_load_dword v61, v[62:63], off
	global_load_dword v66, v[67:68], off offset:4
	global_load_dword v69, v[67:68], off offset:20
	;; [unrolled: 1-line block ×5, first 2 shown]
	s_and_saveexec_b32 s0, vcc_lo
	s_xor_b32 s0, exec_lo, s0
	s_cbranch_execz .LBB140_17
; %bb.16:                               ;   in Loop: Header=BB140_3 Depth=1
	global_load_ushort v58, v[7:8], off
	v_and_b32_e32 v59, 0x3030, v60
	v_or_b32_e32 v59, v59, v46
	s_waitcnt vmcnt(0)
	v_lshrrev_b16 v58, 2, v58
	v_and_b32_e32 v58, 0x3030, v58
	v_or_b32_e32 v58, v58, v44
.LBB140_17:                             ;   in Loop: Header=BB140_3 Depth=1
	s_andn2_saveexec_b32 s0, s0
	s_or_b32 exec_lo, exec_lo, s0
	v_mad_u64_u32 v[70:71], null, v20, 36, v[2:3]
                                        ; implicit-def: $vgpr46
	v_add_co_u32 v72, s0, v70, v43
	v_add_co_ci_u32_e64 v73, null, 0, v71, s0
	s_clause 0x5
	global_load_dword v43, v[70:71], off
	global_load_dword v65, v[72:73], off offset:4
	global_load_dword v68, v[72:73], off offset:20
	;; [unrolled: 1-line block ×5, first 2 shown]
	s_and_saveexec_b32 s0, vcc_lo
	s_xor_b32 s0, exec_lo, s0
	s_cbranch_execz .LBB140_19
; %bb.18:                               ;   in Loop: Header=BB140_3 Depth=1
	global_load_ushort v7, v[7:8], off
	v_pk_lshrrev_b16 v8, 4, v57 op_sel:[1,1] op_sel_hi:[0,1]
	v_and_b32_e32 v8, 0xf0f0f0f, v8
	s_waitcnt vmcnt(0)
	v_perm_b32 v7, v57, v7, 0x5040100
                                        ; implicit-def: $vgpr57
	v_pk_lshrrev_b16 v7, 2, v7 op_sel_hi:[0,1]
	v_and_or_b32 v46, 0x30303030, v7, v8
.LBB140_19:                             ;   in Loop: Header=BB140_3 Depth=1
	s_andn2_saveexec_b32 s0, s0
	s_cbranch_execz .LBB140_2
; %bb.20:                               ;   in Loop: Header=BB140_3 Depth=1
	v_and_b32_e32 v46, 0x3f3f3f3f, v57
	s_branch .LBB140_2
.LBB140_21:
	s_or_b32 exec_lo, exec_lo, s1
.LBB140_22:
	s_or_b32 exec_lo, exec_lo, s9
	s_mov_b32 s1, 0
	; wave barrier
	buffer_gl0_inv
	s_mov_b32 s0, exec_lo
	v_cmpx_eq_u32_e32 0, v1
	s_cbranch_execz .LBB140_33
; %bb.23:
	v_mbcnt_lo_u32_b32 v5, -1, 0
	s_load_dwordx2 s[4:5], s[4:5], 0x38
	s_mul_i32 s0, s14, s7
	s_mul_i32 s3, s18, s8
	s_add_i32 s0, s0, s6
	v_xor_b32_e32 v1, 16, v5
	v_xor_b32_e32 v2, 8, v5
	;; [unrolled: 1-line block ×3, first 2 shown]
	s_add_i32 s0, s0, s3
	s_lshl_b64 s[0:1], s[0:1], 2
	v_cmp_gt_i32_e32 vcc_lo, 32, v1
	v_cndmask_b32_e32 v1, v5, v1, vcc_lo
	v_cmp_gt_i32_e32 vcc_lo, 32, v2
	v_lshlrev_b32_e32 v1, 2, v1
	v_cndmask_b32_e32 v2, v5, v2, vcc_lo
	s_waitcnt lgkmcnt(0)
	s_add_u32 s0, s4, s0
	s_addc_u32 s1, s5, s1
	ds_bpermute_b32 v3, v1, v14
	v_lshlrev_b32_e32 v2, 2, v2
	s_waitcnt lgkmcnt(0)
	v_add_f32_e32 v4, v14, v3
	v_xor_b32_e32 v3, 4, v5
	ds_bpermute_b32 v6, v2, v4
	v_cmp_gt_i32_e32 vcc_lo, 32, v3
	v_cndmask_b32_e32 v3, v5, v3, vcc_lo
	v_lshlrev_b32_e32 v3, 2, v3
	s_waitcnt lgkmcnt(0)
	v_add_f32_e32 v6, v4, v6
	v_xor_b32_e32 v4, 2, v5
	ds_bpermute_b32 v7, v3, v6
	v_cmp_gt_i32_e32 vcc_lo, 32, v4
	v_cndmask_b32_e32 v4, v5, v4, vcc_lo
	v_cmp_gt_i32_e32 vcc_lo, 32, v8
	v_lshlrev_b32_e32 v4, 2, v4
	v_cndmask_b32_e32 v5, v5, v8, vcc_lo
	v_cmp_eq_u32_e32 vcc_lo, 0, v0
	v_lshlrev_b32_e32 v5, 2, v5
	s_waitcnt lgkmcnt(0)
	v_add_f32_e32 v6, v6, v7
	ds_bpermute_b32 v7, v4, v6
	s_waitcnt lgkmcnt(0)
	v_add_f32_e32 v6, v6, v7
	ds_bpermute_b32 v7, v5, v6
	s_and_saveexec_b32 s3, vcc_lo
	s_cbranch_execz .LBB140_25
; %bb.24:
	s_waitcnt lgkmcnt(0)
	v_add_f32_e32 v0, v6, v7
	v_mov_b32_e32 v6, 0
	global_store_dword v6, v0, s[0:1]
.LBB140_25:
	s_or_b32 exec_lo, exec_lo, s3
	ds_bpermute_b32 v0, v1, v12
	s_waitcnt lgkmcnt(0)
	v_add_f32_e32 v0, v12, v0
	ds_bpermute_b32 v6, v2, v0
	s_waitcnt lgkmcnt(0)
	v_add_f32_e32 v0, v0, v6
	ds_bpermute_b32 v6, v3, v0
	s_waitcnt lgkmcnt(0)
	v_add_f32_e32 v0, v0, v6
	ds_bpermute_b32 v6, v4, v0
	s_waitcnt lgkmcnt(0)
	v_add_f32_e32 v0, v0, v6
	ds_bpermute_b32 v6, v5, v0
	s_and_saveexec_b32 s4, vcc_lo
	s_cbranch_execz .LBB140_27
; %bb.26:
	s_mov_b32 s3, 0
	s_waitcnt lgkmcnt(0)
	v_add_f32_e32 v0, v0, v6
	s_lshl_b64 s[6:7], s[2:3], 2
	v_mov_b32_e32 v6, 0
	s_add_u32 s6, s0, s6
	s_addc_u32 s7, s1, s7
	global_store_dword v6, v0, s[6:7]
.LBB140_27:
	s_or_b32 exec_lo, exec_lo, s4
	ds_bpermute_b32 v0, v1, v11
	s_waitcnt lgkmcnt(0)
	v_add_f32_e32 v0, v11, v0
	ds_bpermute_b32 v6, v2, v0
	s_waitcnt lgkmcnt(0)
	v_add_f32_e32 v0, v0, v6
	;; [unrolled: 3-line block ×4, first 2 shown]
	ds_bpermute_b32 v6, v5, v0
	s_and_saveexec_b32 s3, vcc_lo
	s_cbranch_execz .LBB140_29
; %bb.28:
	s_lshl_b32 s4, s2, 1
	s_mov_b32 s5, 0
	s_waitcnt lgkmcnt(0)
	v_add_f32_e32 v0, v0, v6
	s_lshl_b64 s[4:5], s[4:5], 2
	v_mov_b32_e32 v6, 0
	s_add_u32 s4, s0, s4
	s_addc_u32 s5, s1, s5
	global_store_dword v6, v0, s[4:5]
.LBB140_29:
	s_or_b32 exec_lo, exec_lo, s3
	ds_bpermute_b32 v0, v1, v10
	s_waitcnt lgkmcnt(0)
	v_add_f32_e32 v0, v10, v0
	ds_bpermute_b32 v6, v2, v0
	s_waitcnt lgkmcnt(0)
	v_add_f32_e32 v0, v0, v6
	ds_bpermute_b32 v6, v3, v0
	s_waitcnt lgkmcnt(0)
	v_add_f32_e32 v0, v0, v6
	ds_bpermute_b32 v6, v4, v0
	s_waitcnt lgkmcnt(0)
	v_add_f32_e32 v0, v0, v6
	ds_bpermute_b32 v6, v5, v0
	s_and_saveexec_b32 s3, vcc_lo
	s_cbranch_execz .LBB140_31
; %bb.30:
	s_mul_i32 s4, s2, 3
	s_mov_b32 s5, 0
	s_waitcnt lgkmcnt(0)
	v_add_f32_e32 v0, v0, v6
	s_lshl_b64 s[4:5], s[4:5], 2
	v_mov_b32_e32 v6, 0
	s_add_u32 s4, s0, s4
	s_addc_u32 s5, s1, s5
	global_store_dword v6, v0, s[4:5]
.LBB140_31:
	s_or_b32 exec_lo, exec_lo, s3
	ds_bpermute_b32 v0, v1, v9
	s_waitcnt lgkmcnt(0)
	v_add_f32_e32 v0, v9, v0
	ds_bpermute_b32 v1, v2, v0
	s_waitcnt lgkmcnt(0)
	v_add_f32_e32 v0, v0, v1
	;; [unrolled: 3-line block ×4, first 2 shown]
	ds_bpermute_b32 v1, v5, v0
	s_and_b32 exec_lo, exec_lo, vcc_lo
	s_cbranch_execz .LBB140_33
; %bb.32:
	s_lshl_b32 s2, s2, 2
	s_mov_b32 s3, 0
	s_waitcnt lgkmcnt(0)
	v_add_f32_e32 v0, v0, v1
	s_lshl_b64 s[2:3], s[2:3], 2
	v_mov_b32_e32 v1, 0
	s_add_u32 s0, s0, s2
	s_addc_u32 s1, s1, s3
	global_store_dword v1, v0, s[0:1]
.LBB140_33:
	s_endpgm
	.section	.rodata,"a",@progbits
	.p2align	6, 0x0
	.amdhsa_kernel _ZL13mul_mat_vec_qIL9ggml_type13ELi5ELb0ELb0EEvPKvS2_PKi31ggml_cuda_mm_fusion_args_devicePfj15HIP_vector_typeIjLj3EEjjjS8_jjjS8_jjjj
		.amdhsa_group_segment_fixed_size 0
		.amdhsa_private_segment_fixed_size 0
		.amdhsa_kernarg_size 144
		.amdhsa_user_sgpr_count 6
		.amdhsa_user_sgpr_private_segment_buffer 1
		.amdhsa_user_sgpr_dispatch_ptr 0
		.amdhsa_user_sgpr_queue_ptr 0
		.amdhsa_user_sgpr_kernarg_segment_ptr 1
		.amdhsa_user_sgpr_dispatch_id 0
		.amdhsa_user_sgpr_flat_scratch_init 0
		.amdhsa_user_sgpr_private_segment_size 0
		.amdhsa_wavefront_size32 1
		.amdhsa_uses_dynamic_stack 0
		.amdhsa_system_sgpr_private_segment_wavefront_offset 0
		.amdhsa_system_sgpr_workgroup_id_x 1
		.amdhsa_system_sgpr_workgroup_id_y 1
		.amdhsa_system_sgpr_workgroup_id_z 1
		.amdhsa_system_sgpr_workgroup_info 0
		.amdhsa_system_vgpr_workitem_id 1
		.amdhsa_next_free_vgpr 74
		.amdhsa_next_free_sgpr 26
		.amdhsa_reserve_vcc 1
		.amdhsa_reserve_flat_scratch 0
		.amdhsa_float_round_mode_32 0
		.amdhsa_float_round_mode_16_64 0
		.amdhsa_float_denorm_mode_32 3
		.amdhsa_float_denorm_mode_16_64 3
		.amdhsa_dx10_clamp 1
		.amdhsa_ieee_mode 1
		.amdhsa_fp16_overflow 0
		.amdhsa_workgroup_processor_mode 1
		.amdhsa_memory_ordered 1
		.amdhsa_forward_progress 1
		.amdhsa_shared_vgpr_count 0
		.amdhsa_exception_fp_ieee_invalid_op 0
		.amdhsa_exception_fp_denorm_src 0
		.amdhsa_exception_fp_ieee_div_zero 0
		.amdhsa_exception_fp_ieee_overflow 0
		.amdhsa_exception_fp_ieee_underflow 0
		.amdhsa_exception_fp_ieee_inexact 0
		.amdhsa_exception_int_div_zero 0
	.end_amdhsa_kernel
	.section	.text._ZL13mul_mat_vec_qIL9ggml_type13ELi5ELb0ELb0EEvPKvS2_PKi31ggml_cuda_mm_fusion_args_devicePfj15HIP_vector_typeIjLj3EEjjjS8_jjjS8_jjjj,"axG",@progbits,_ZL13mul_mat_vec_qIL9ggml_type13ELi5ELb0ELb0EEvPKvS2_PKi31ggml_cuda_mm_fusion_args_devicePfj15HIP_vector_typeIjLj3EEjjjS8_jjjS8_jjjj,comdat
.Lfunc_end140:
	.size	_ZL13mul_mat_vec_qIL9ggml_type13ELi5ELb0ELb0EEvPKvS2_PKi31ggml_cuda_mm_fusion_args_devicePfj15HIP_vector_typeIjLj3EEjjjS8_jjjS8_jjjj, .Lfunc_end140-_ZL13mul_mat_vec_qIL9ggml_type13ELi5ELb0ELb0EEvPKvS2_PKi31ggml_cuda_mm_fusion_args_devicePfj15HIP_vector_typeIjLj3EEjjjS8_jjjS8_jjjj
                                        ; -- End function
	.set _ZL13mul_mat_vec_qIL9ggml_type13ELi5ELb0ELb0EEvPKvS2_PKi31ggml_cuda_mm_fusion_args_devicePfj15HIP_vector_typeIjLj3EEjjjS8_jjjS8_jjjj.num_vgpr, 74
	.set _ZL13mul_mat_vec_qIL9ggml_type13ELi5ELb0ELb0EEvPKvS2_PKi31ggml_cuda_mm_fusion_args_devicePfj15HIP_vector_typeIjLj3EEjjjS8_jjjS8_jjjj.num_agpr, 0
	.set _ZL13mul_mat_vec_qIL9ggml_type13ELi5ELb0ELb0EEvPKvS2_PKi31ggml_cuda_mm_fusion_args_devicePfj15HIP_vector_typeIjLj3EEjjjS8_jjjS8_jjjj.numbered_sgpr, 26
	.set _ZL13mul_mat_vec_qIL9ggml_type13ELi5ELb0ELb0EEvPKvS2_PKi31ggml_cuda_mm_fusion_args_devicePfj15HIP_vector_typeIjLj3EEjjjS8_jjjS8_jjjj.num_named_barrier, 0
	.set _ZL13mul_mat_vec_qIL9ggml_type13ELi5ELb0ELb0EEvPKvS2_PKi31ggml_cuda_mm_fusion_args_devicePfj15HIP_vector_typeIjLj3EEjjjS8_jjjS8_jjjj.private_seg_size, 0
	.set _ZL13mul_mat_vec_qIL9ggml_type13ELi5ELb0ELb0EEvPKvS2_PKi31ggml_cuda_mm_fusion_args_devicePfj15HIP_vector_typeIjLj3EEjjjS8_jjjS8_jjjj.uses_vcc, 1
	.set _ZL13mul_mat_vec_qIL9ggml_type13ELi5ELb0ELb0EEvPKvS2_PKi31ggml_cuda_mm_fusion_args_devicePfj15HIP_vector_typeIjLj3EEjjjS8_jjjS8_jjjj.uses_flat_scratch, 0
	.set _ZL13mul_mat_vec_qIL9ggml_type13ELi5ELb0ELb0EEvPKvS2_PKi31ggml_cuda_mm_fusion_args_devicePfj15HIP_vector_typeIjLj3EEjjjS8_jjjS8_jjjj.has_dyn_sized_stack, 0
	.set _ZL13mul_mat_vec_qIL9ggml_type13ELi5ELb0ELb0EEvPKvS2_PKi31ggml_cuda_mm_fusion_args_devicePfj15HIP_vector_typeIjLj3EEjjjS8_jjjS8_jjjj.has_recursion, 0
	.set _ZL13mul_mat_vec_qIL9ggml_type13ELi5ELb0ELb0EEvPKvS2_PKi31ggml_cuda_mm_fusion_args_devicePfj15HIP_vector_typeIjLj3EEjjjS8_jjjS8_jjjj.has_indirect_call, 0
	.section	.AMDGPU.csdata,"",@progbits
; Kernel info:
; codeLenInByte = 3380
; TotalNumSgprs: 28
; NumVgprs: 74
; ScratchSize: 0
; MemoryBound: 0
; FloatMode: 240
; IeeeMode: 1
; LDSByteSize: 0 bytes/workgroup (compile time only)
; SGPRBlocks: 0
; VGPRBlocks: 9
; NumSGPRsForWavesPerEU: 28
; NumVGPRsForWavesPerEU: 74
; Occupancy: 12
; WaveLimiterHint : 0
; COMPUTE_PGM_RSRC2:SCRATCH_EN: 0
; COMPUTE_PGM_RSRC2:USER_SGPR: 6
; COMPUTE_PGM_RSRC2:TRAP_HANDLER: 0
; COMPUTE_PGM_RSRC2:TGID_X_EN: 1
; COMPUTE_PGM_RSRC2:TGID_Y_EN: 1
; COMPUTE_PGM_RSRC2:TGID_Z_EN: 1
; COMPUTE_PGM_RSRC2:TIDIG_COMP_CNT: 1
	.section	.text._ZL13mul_mat_vec_qIL9ggml_type13ELi6ELb0ELb0EEvPKvS2_PKi31ggml_cuda_mm_fusion_args_devicePfj15HIP_vector_typeIjLj3EEjjjS8_jjjS8_jjjj,"axG",@progbits,_ZL13mul_mat_vec_qIL9ggml_type13ELi6ELb0ELb0EEvPKvS2_PKi31ggml_cuda_mm_fusion_args_devicePfj15HIP_vector_typeIjLj3EEjjjS8_jjjS8_jjjj,comdat
	.globl	_ZL13mul_mat_vec_qIL9ggml_type13ELi6ELb0ELb0EEvPKvS2_PKi31ggml_cuda_mm_fusion_args_devicePfj15HIP_vector_typeIjLj3EEjjjS8_jjjS8_jjjj ; -- Begin function _ZL13mul_mat_vec_qIL9ggml_type13ELi6ELb0ELb0EEvPKvS2_PKi31ggml_cuda_mm_fusion_args_devicePfj15HIP_vector_typeIjLj3EEjjjS8_jjjS8_jjjj
	.p2align	8
	.type	_ZL13mul_mat_vec_qIL9ggml_type13ELi6ELb0ELb0EEvPKvS2_PKi31ggml_cuda_mm_fusion_args_devicePfj15HIP_vector_typeIjLj3EEjjjS8_jjjS8_jjjj,@function
_ZL13mul_mat_vec_qIL9ggml_type13ELi6ELb0ELb0EEvPKvS2_PKi31ggml_cuda_mm_fusion_args_devicePfj15HIP_vector_typeIjLj3EEjjjS8_jjjS8_jjjj: ; @_ZL13mul_mat_vec_qIL9ggml_type13ELi6ELb0ELb0EEvPKvS2_PKi31ggml_cuda_mm_fusion_args_devicePfj15HIP_vector_typeIjLj3EEjjjS8_jjjS8_jjjj
; %bb.0:
	s_clause 0x5
	s_load_dword s9, s[4:5], 0x40
	s_load_dwordx4 s[0:3], s[4:5], 0x50
	s_load_dword s11, s[4:5], 0x60
	s_load_dwordx4 s[12:15], s[4:5], 0x68
	;; [unrolled: 2-line block ×3, first 2 shown]
	v_lshl_or_b32 v2, v1, 5, v0
	v_mov_b32_e32 v10, 0
	v_mov_b32_e32 v11, 0
	;; [unrolled: 1-line block ×4, first 2 shown]
	v_lshrrev_b32_e32 v15, 4, v2
	v_mov_b32_e32 v14, 0
	v_mov_b32_e32 v16, 0
	s_waitcnt lgkmcnt(0)
	s_lshr_b32 s10, s9, 8
	s_mov_b32 s9, exec_lo
	v_cmpx_gt_u32_e64 s10, v15
	s_cbranch_execz .LBB141_26
; %bb.1:
	s_load_dwordx4 s[20:23], s[4:5], 0x0
	v_lshlrev_b32_e32 v2, 1, v0
	v_bfe_u32 v4, v0, 2, 2
	s_mul_hi_u32 s3, s3, s7
	s_mul_hi_u32 s15, s15, s8
	s_mul_i32 s17, s17, s8
	v_and_b32_e32 v6, 30, v2
	v_bfe_u32 v11, v2, 3, 2
	v_mul_hi_u32_u24_e32 v3, 0x48, v4
	v_mul_u32_u24_e32 v2, 0x48, v4
	s_add_i32 s3, s7, s3
	s_add_i32 s15, s8, s15
	s_mul_i32 s13, s13, s7
	s_mul_hi_u32 s19, s17, 36
	v_mad_u64_u32 v[4:5], null, 0x120, v15, v[2:3]
	s_mul_i32 s17, s17, 36
	s_lshr_b32 s3, s3, s11
	s_lshr_b32 s11, s15, s24
	s_mul_hi_u32 s25, s13, 36
	s_mul_i32 s13, s13, 36
	s_mul_i32 s3, s3, s12
	s_waitcnt lgkmcnt(0)
	s_add_u32 s12, s22, s17
	s_addc_u32 s15, s23, s19
	s_mul_i32 s0, s0, s6
	s_add_u32 s12, s12, s13
	v_mov_b32_e32 v10, 0
	v_lshlrev_b32_e32 v9, 3, v15
	v_lshlrev_b32_e32 v19, 1, v11
	s_addc_u32 s13, s15, s25
	s_add_i32 s3, s3, s0
	v_add_co_u32 v4, s0, s12, v4
	v_and_b32_e32 v18, 3, v0
	v_add_co_ci_u32_e64 v5, null, s13, v5, s0
	v_cmp_lt_u32_e32 vcc_lo, 15, v6
	v_mad_u64_u32 v[6:7], null, s1, 3, v[9:10]
	v_mad_u64_u32 v[2:3], null, v19, 36, s[12:13]
	;; [unrolled: 1-line block ×3, first 2 shown]
	v_add_co_u32 v4, s0, v4, 36
	v_lshlrev_b32_e32 v17, 5, v11
	v_lshlrev_b32_e32 v20, 2, v18
	v_add_co_ci_u32_e64 v5, null, 0, v5, s0
	v_lshl_add_u32 v21, s1, 1, v9
	v_lshl_add_u32 v22, s1, 2, v9
	v_add_nc_u32_e32 v23, s1, v9
	v_lshlrev_b32_e32 v24, 1, v11
	v_mov_b32_e32 v25, 0xf0f
	v_mov_b32_e32 v26, 0x3f3f
	;; [unrolled: 1-line block ×8, first 2 shown]
	s_mul_i32 s11, s11, s16
	s_mov_b32 s1, 0
	s_add_i32 s3, s11, s3
	s_branch .LBB141_3
.LBB141_2:                              ;   in Loop: Header=BB141_3 Depth=1
	s_or_b32 exec_lo, exec_lo, s0
	s_waitcnt vmcnt(38)
	v_ashrrev_i32_e32 v8, v19, v58
	s_waitcnt vmcnt(37)
	v_ashrrev_i32_e32 v9, v19, v59
	v_and_b32_e32 v58, 0xf0f0f0f, v57
	v_lshrrev_b32_e32 v57, 4, v57
	v_and_b32_e32 v59, 0xf0f0f0f, v55
	v_lshlrev_b32_e32 v61, 4, v8
	v_lshlrev_b32_e32 v80, 4, v9
	v_lshrrev_b32_e32 v55, 4, v55
	v_and_b32_e32 v57, 0xf0f0f0f, v57
	v_lshlrev_b32_e32 v8, 3, v8
	v_and_or_b32 v58, 0x10101010, v61, v58
	v_mov_b32_e32 v61, 0
	v_and_or_b32 v59, 0x10101010, v80, v59
	v_and_b32_e32 v55, 0xf0f0f0f, v55
	v_lshlrev_b32_e32 v9, 3, v9
	v_mov_b32_e32 v80, 0
	v_and_or_b32 v8, 0x10101010, v8, v57
	v_mov_b32_e32 v57, 0
	s_waitcnt vmcnt(9)
	v_dot4c_i32_i8 v61, 0x1010101, v79
	v_and_or_b32 v9, 0x10101010, v9, v55
	v_dot4c_i32_i8 v80, v59, v79
	v_mov_b32_e32 v55, 0
	s_waitcnt vmcnt(7)
	v_dot4c_i32_i8 v57, 0x1010101, v77
	v_dot4c_i32_i8 v61, 0x1010101, v75
	v_and_b32_sdwa v79, v27, v66 dst_sel:DWORD dst_unused:UNUSED_PAD src0_sel:DWORD src1_sel:BYTE_0
	v_dot4c_i32_i8 v80, v58, v75
	v_dot4c_i32_i8 v55, v9, v77
	;; [unrolled: 1-line block ×3, first 2 shown]
	v_and_b32_sdwa v75, v27, v64 dst_sel:DWORD dst_unused:UNUSED_PAD src0_sel:DWORD src1_sel:BYTE_0
	v_mul_lo_u32 v61, v61, v79
	v_and_b32_sdwa v66, v27, v66 dst_sel:DWORD dst_unused:UNUSED_PAD src0_sel:DWORD src1_sel:BYTE_1
	v_dot4c_i32_i8 v55, v8, v74
	v_and_b32_sdwa v64, v27, v64 dst_sel:DWORD dst_unused:UNUSED_PAD src0_sel:DWORD src1_sel:BYTE_1
	v_mul_lo_u32 v74, v80, v75
	v_mov_b32_e32 v75, 0
	v_mul_lo_u32 v57, v57, v66
	v_cvt_f32_f16_sdwa v66, v28 dst_sel:DWORD dst_unused:UNUSED_PAD src0_sel:WORD_1
	v_cvt_f32_i32_e32 v61, v61
	v_mul_lo_u32 v55, v55, v64
	s_waitcnt vmcnt(1)
	v_dot4c_i32_i8 v75, 0x1010101, v71
	v_add_nc_u32_e32 v15, 2, v15
	v_cvt_f32_i32_e32 v64, v74
	v_fma_mix_f32 v61, v72, v61, 0 op_sel_hi:[1,0,0]
	v_cvt_f32_i32_e32 v57, v57
	v_mov_b32_e32 v74, 0
	v_dot4c_i32_i8 v75, 0x1010101, v70
	v_fma_mix_f32 v64, v72, v64, 0 op_sel_hi:[1,0,0]
	v_cvt_f32_i32_e32 v55, v55
	v_fma_mix_f32 v57, v73, v57, v61 op_sel_hi:[1,0,0]
	v_dot4c_i32_i8 v74, 0x1010101, v65
	v_mov_b32_e32 v72, 0
	v_mov_b32_e32 v61, 0
	v_fma_mix_f32 v55, v73, v55, v64 op_sel_hi:[1,0,0]
	v_mul_f32_e32 v57, v57, v66
	v_mov_b32_e32 v73, 0
	v_dot4c_i32_i8 v74, 0x1010101, v62
	v_mov_b32_e32 v64, 0
	v_dot4c_i32_i8 v72, v9, v71
	v_fma_mix_f32 v55, v55, v28, -v57 op_sel_hi:[0,1,0]
	v_mov_b32_e32 v57, 0
	v_dot4c_i32_i8 v73, v9, v65
	v_and_b32_sdwa v65, v27, v67 dst_sel:DWORD dst_unused:UNUSED_PAD src0_sel:DWORD src1_sel:BYTE_1
	v_dot4c_i32_i8 v64, 0x1010101, v78
	v_add_f32_e32 v11, v11, v55
	v_mov_b32_e32 v55, 0
	v_dot4c_i32_i8 v57, v59, v69
	v_dot4c_i32_i8 v73, v8, v62
	v_and_b32_sdwa v62, v27, v68 dst_sel:DWORD dst_unused:UNUSED_PAD src0_sel:DWORD src1_sel:BYTE_1
	v_dot4c_i32_i8 v72, v8, v70
	v_dot4c_i32_i8 v55, 0x1010101, v69
	;; [unrolled: 1-line block ×3, first 2 shown]
	v_and_b32_sdwa v69, v27, v67 dst_sel:DWORD dst_unused:UNUSED_PAD src0_sel:DWORD src1_sel:BYTE_0
	v_mov_b32_e32 v67, 0
	v_mul_lo_u32 v62, v74, v62
	v_dot4c_i32_i8 v55, 0x1010101, v63
	v_and_b32_sdwa v63, v27, v68 dst_sel:DWORD dst_unused:UNUSED_PAD src0_sel:DWORD src1_sel:BYTE_0
	v_mul_lo_u32 v57, v57, v69
	v_dot4c_i32_i8 v67, 0x1010101, v53
	v_and_b32_sdwa v68, v27, v49 dst_sel:DWORD dst_unused:UNUSED_PAD src0_sel:DWORD src1_sel:BYTE_0
	v_and_b32_sdwa v49, v27, v49 dst_sel:DWORD dst_unused:UNUSED_PAD src0_sel:DWORD src1_sel:BYTE_1
	v_mul_lo_u32 v55, v55, v63
	v_mul_lo_u32 v63, v73, v65
	v_mov_b32_e32 v65, 0
	v_dot4c_i32_i8 v67, 0x1010101, v52
	v_cvt_f32_i32_e32 v57, v57
	v_dot4c_i32_i8 v61, v59, v78
	v_dot4c_i32_i8 v64, 0x1010101, v76
	;; [unrolled: 1-line block ×3, first 2 shown]
	v_cvt_f32_i32_e32 v55, v55
	v_fma_mix_f32 v57, v60, v57, 0 op_sel_hi:[1,0,0]
	v_dot4c_i32_i8 v61, v58, v76
	v_add_co_u32 v4, s0, 0x240, v4
	v_fma_mix_f32 v53, v60, v55, 0 op_sel_hi:[1,0,0]
	v_cvt_f32_i32_e32 v55, v63
	v_cvt_f32_i32_e32 v60, v62
	v_dot4c_i32_i8 v65, v58, v52
	v_mov_b32_e32 v52, 0
	v_and_b32_sdwa v62, v27, v48 dst_sel:DWORD dst_unused:UNUSED_PAD src0_sel:DWORD src1_sel:BYTE_0
	v_mov_b32_e32 v63, 0
	v_fma_mix_f32 v53, v56, v60, v53 op_sel_hi:[1,0,0]
	v_fma_mix_f32 v55, v56, v55, v57 op_sel_hi:[1,0,0]
	v_dot4c_i32_i8 v52, v9, v51
	v_mul_lo_u32 v60, v65, v62
	v_dot4c_i32_i8 v63, 0x1010101, v51
	v_mul_lo_u32 v51, v67, v68
	v_mov_b32_e32 v57, 0
	v_dot4c_i32_i8 v52, v8, v50
	v_and_b32_sdwa v48, v27, v48 dst_sel:DWORD dst_unused:UNUSED_PAD src0_sel:DWORD src1_sel:BYTE_1
	v_dot4c_i32_i8 v63, 0x1010101, v50
	v_mov_b32_e32 v50, 0
	v_cvt_f32_i32_e32 v56, v60
	v_dot4c_i32_i8 v57, 0x1010101, v43
	v_cvt_f32_i32_e32 v51, v51
	v_mul_lo_u32 v48, v52, v48
	v_dot4c_i32_i8 v50, v59, v43
	v_fma_mix_f32 v56, v45, v56, 0 op_sel_hi:[1,0,0]
	v_and_b32_sdwa v43, v27, v42 dst_sel:DWORD dst_unused:UNUSED_PAD src0_sel:DWORD src1_sel:BYTE_0
	v_fma_mix_f32 v45, v45, v51, 0 op_sel_hi:[1,0,0]
	v_mov_b32_e32 v51, 0
	v_dot4c_i32_i8 v50, v58, v40
	v_mov_b32_e32 v52, 0
	v_mul_lo_u32 v49, v63, v49
	v_dot4c_i32_i8 v57, 0x1010101, v40
	v_dot4c_i32_i8 v51, v9, v39
	v_mul_lo_u32 v40, v50, v43
	v_dot4c_i32_i8 v52, 0x1010101, v39
	v_and_b32_sdwa v39, v27, v42 dst_sel:DWORD dst_unused:UNUSED_PAD src0_sel:DWORD src1_sel:BYTE_1
	v_and_b32_sdwa v43, v27, v41 dst_sel:DWORD dst_unused:UNUSED_PAD src0_sel:DWORD src1_sel:BYTE_0
	v_dot4c_i32_i8 v51, v8, v38
	v_cvt_f32_i32_e32 v42, v49
	v_dot4c_i32_i8 v52, 0x1010101, v38
	v_mul_f32_e32 v53, v53, v66
	v_cvt_f32_i32_e32 v38, v40
	v_mul_lo_u32 v39, v51, v39
	v_and_b32_sdwa v40, v27, v41 dst_sel:DWORD dst_unused:UNUSED_PAD src0_sel:DWORD src1_sel:BYTE_1
	v_mul_lo_u32 v43, v57, v43
	v_fma_mix_f32 v42, v44, v42, v45 op_sel_hi:[1,0,0]
	v_mov_b32_e32 v45, 0
	v_fma_mix_f32 v38, v37, v38, 0 op_sel_hi:[1,0,0]
	v_mul_lo_u32 v40, v52, v40
	v_cvt_f32_i32_e32 v41, v48
	v_cvt_f32_i32_e32 v39, v39
	v_dot4c_i32_i8 v45, v59, v35
	v_cvt_f32_i32_e32 v43, v43
	v_mov_b32_e32 v48, 0
	v_fma_mix_f32 v41, v44, v41, v56 op_sel_hi:[1,0,0]
	v_fma_mix_f32 v38, v36, v39, v38 op_sel_hi:[1,0,0]
	v_cvt_f32_i32_e32 v39, v40
	v_mov_b32_e32 v40, 0
	v_fma_mix_f32 v37, v37, v43, 0 op_sel_hi:[1,0,0]
	v_mov_b32_e32 v43, 0
	v_dot4c_i32_i8 v45, v58, v33
	v_bfe_u32 v44, v32, 16, 8
	v_dot4c_i32_i8 v40, 0x1010101, v35
	v_dot4c_i32_i8 v48, 0x1010101, v34
	;; [unrolled: 1-line block ×3, first 2 shown]
	v_fma_mix_f32 v9, v36, v39, v37 op_sel_hi:[1,0,0]
	v_mul_lo_u32 v35, v45, v44
	v_dot4c_i32_i8 v40, 0x1010101, v33
	v_and_b32_e32 v33, 0xff00ff, v54
	v_dot4c_i32_i8 v43, v8, v31
	v_and_b32_e32 v8, 0xff, v32
	v_pk_lshrrev_b16 v36, 8, v54 op_sel_hi:[0,1]
	v_dot4c_i32_i8 v48, 0x1010101, v31
	v_and_b32_sdwa v31, v27, v32 dst_sel:DWORD dst_unused:UNUSED_PAD src0_sel:DWORD src1_sel:BYTE_1
	v_cvt_f32_i32_e32 v34, v35
	v_lshrrev_b32_e32 v35, 16, v33
	v_mul_lo_u32 v8, v40, v8
	v_and_b32_e32 v33, 0xff, v33
	v_lshrrev_b32_e32 v37, 16, v36
	v_lshrrev_b32_e32 v32, 24, v32
	v_mul_lo_u32 v35, v64, v35
	v_mul_lo_u32 v31, v48, v31
	;; [unrolled: 1-line block ×3, first 2 shown]
	v_and_b32_e32 v36, 0xff, v36
	v_cvt_f32_i32_e32 v8, v8
	v_mul_lo_u32 v37, v75, v37
	v_fma_mix_f32 v34, v30, v34, 0 op_sel_hi:[1,0,0]
	v_mul_lo_u32 v32, v43, v32
	v_cvt_f32_i32_e32 v35, v35
	v_fma_mix_f32 v8, v30, v8, 0 op_sel_hi:[1,0,0]
	v_mul_lo_u32 v30, v72, v36
	v_cvt_f32_i32_e32 v31, v31
	v_cvt_f32_i32_e32 v33, v33
	v_fma_mix_f32 v35, v46, v35, 0 op_sel_hi:[1,0,0]
	v_cvt_f32_i32_e32 v36, v37
	v_cvt_f32_i32_e32 v32, v32
	v_fma_mix_f32 v8, v29, v31, v8 op_sel_hi:[1,0,0]
	v_fma_mix_f32 v31, v46, v33, 0 op_sel_hi:[1,0,0]
	v_cvt_f32_i32_e32 v30, v30
	s_waitcnt vmcnt(0)
	v_fma_mix_f32 v33, v47, v36, v35 op_sel_hi:[1,0,0]
	v_mul_f32_e32 v42, v42, v66
	v_mul_f32_e32 v9, v9, v66
	v_fma_mix_f32 v29, v29, v32, v34 op_sel_hi:[1,0,0]
	v_mul_f32_e32 v8, v8, v66
	v_fma_mix_f32 v30, v47, v30, v31 op_sel_hi:[1,0,0]
	v_mul_f32_e32 v31, v33, v66
	v_fma_mix_f32 v32, v55, v28, -v53 op_sel_hi:[0,1,0]
	v_fma_mix_f32 v33, v41, v28, -v42 op_sel_hi:[0,1,0]
	v_fma_mix_f32 v9, v38, v28, -v9 op_sel_hi:[0,1,0]
	v_fma_mix_f32 v8, v29, v28, -v8 op_sel_hi:[0,1,0]
	v_fma_mix_f32 v28, v30, v28, -v31 op_sel_hi:[0,1,0]
	v_add_co_ci_u32_e64 v5, null, 0, v5, s0
	v_cmp_le_u32_e64 s0, s10, v15
	v_add_f32_e32 v12, v12, v32
	v_add_f32_e32 v13, v13, v33
	;; [unrolled: 1-line block ×5, first 2 shown]
	v_add_nc_u32_e32 v21, 16, v21
	v_add_nc_u32_e32 v6, 16, v6
	;; [unrolled: 1-line block ×5, first 2 shown]
	s_or_b32 s1, s0, s1
	s_andn2_b32 exec_lo, exec_lo, s1
	s_cbranch_execz .LBB141_25
.LBB141_3:                              ; =>This Inner Loop Header: Depth=1
	v_add_nc_u32_e32 v8, s3, v15
                                        ; implicit-def: $vgpr61
                                        ; implicit-def: $vgpr32
	v_mad_i64_i32 v[8:9], null, 0xb0, v8, s[20:21]
	v_add_co_u32 v30, s0, v8, v17
	v_add_co_ci_u32_e64 v31, null, 0, v9, s0
	v_add_co_u32 v28, s0, v8, v20
	v_add_co_ci_u32_e64 v29, null, 0, v9, s0
	;; [unrolled: 2-line block ×4, first 2 shown]
	s_clause 0x4
	global_load_dword v57, v[30:31], off offset:48
	global_load_dword v55, v[30:31], off offset:64
	;; [unrolled: 1-line block ×4, first 2 shown]
	global_load_dword v28, v[8:9], off
	s_clause 0x5
	global_load_dword v30, v[4:5], off offset:-36
	global_load_dword v33, v[36:37], off offset:-32
	global_load_dword v35, v[36:37], off offset:-16
	global_load_dword v29, v[4:5], off
	global_load_dword v31, v[36:37], off offset:4
	global_load_dword v34, v[36:37], off offset:20
	v_add_co_u32 v8, s0, v8, v24
	v_add_co_ci_u32_e64 v9, null, 0, v9, s0
	s_and_saveexec_b32 s0, vcc_lo
	s_xor_b32 s0, exec_lo, s0
	s_cbranch_execz .LBB141_5
; %bb.4:                                ;   in Loop: Header=BB141_3 Depth=1
	s_clause 0x1
	global_load_ushort v32, v[8:9], off offset:8
	global_load_ushort v36, v[8:9], off offset:4
	s_waitcnt vmcnt(1)
	v_mov_b32_e32 v37, v32
	s_waitcnt vmcnt(0)
	v_perm_b32 v61, v32, v36, 0x5040100
	global_load_short_d16_hi v37, v[8:9], off
	v_pk_lshrrev_b16 v32, 2, v61
	v_and_b32_e32 v32, 0xf0f3030, v32
	s_waitcnt vmcnt(0)
	v_pk_lshrrev_b16 v36, 0x20004, v37
	v_and_or_b32 v32, 0x30300f0f, v36, v32
.LBB141_5:                              ;   in Loop: Header=BB141_3 Depth=1
	s_andn2_saveexec_b32 s0, s0
	s_cbranch_execz .LBB141_7
; %bb.6:                                ;   in Loop: Header=BB141_3 Depth=1
	s_clause 0x1
	global_load_ushort v36, v[8:9], off offset:4
	global_load_ushort v37, v[8:9], off offset:8
	s_waitcnt vmcnt(0)
	v_perm_b32 v32, v36, v37, 0x5040100
	v_perm_b32 v61, v37, v36, 0x5040100
	v_and_b32_e32 v32, 0x3f3f3f3f, v32
.LBB141_7:                              ;   in Loop: Header=BB141_3 Depth=1
	s_or_b32 exec_lo, exec_lo, s0
	v_mad_u64_u32 v[41:42], null, v23, 36, v[2:3]
	v_lshlrev_b32_e32 v46, 2, v18
	v_and_b32_sdwa v47, v61, v25 dst_sel:DWORD dst_unused:UNUSED_PAD src0_sel:WORD_1 src1_sel:DWORD
	v_lshrrev_b16 v70, 2, v61
	v_add_co_u32 v44, s0, v41, v46
	v_add_co_ci_u32_e64 v45, null, 0, v42, s0
	s_clause 0x5
	global_load_dword v37, v[41:42], off
	global_load_dword v40, v[44:45], off offset:4
	global_load_dword v43, v[44:45], off offset:20
	;; [unrolled: 1-line block ×5, first 2 shown]
	v_lshrrev_b32_e32 v41, 20, v61
                                        ; implicit-def: $vgpr42
	v_and_b32_e32 v54, 0xf0f, v41
                                        ; implicit-def: $vgpr41
	s_and_saveexec_b32 s0, vcc_lo
	s_xor_b32 s0, exec_lo, s0
	s_cbranch_execz .LBB141_9
; %bb.8:                                ;   in Loop: Header=BB141_3 Depth=1
	global_load_ushort v41, v[8:9], off
	v_and_b32_e32 v44, 0x3030, v70
	s_waitcnt vmcnt(0)
	v_lshrrev_b16 v41, 2, v41
	v_and_b32_e32 v41, 0x3030, v41
	v_or_b32_e32 v42, v41, v47
	v_or_b32_e32 v41, v44, v54
.LBB141_9:                              ;   in Loop: Header=BB141_3 Depth=1
	s_or_saveexec_b32 s0, s0
	v_and_b32_e32 v64, 0x3f3f, v61
	v_and_b32_sdwa v66, v61, v26 dst_sel:DWORD dst_unused:UNUSED_PAD src0_sel:WORD_1 src1_sel:DWORD
	s_xor_b32 exec_lo, exec_lo, s0
; %bb.10:                               ;   in Loop: Header=BB141_3 Depth=1
	v_and_b32_e32 v42, 0x3f3f, v61
	v_and_b32_sdwa v41, v61, v26 dst_sel:DWORD dst_unused:UNUSED_PAD src0_sel:WORD_1 src1_sel:DWORD
; %bb.11:                               ;   in Loop: Header=BB141_3 Depth=1
	s_or_b32 exec_lo, exec_lo, s0
	v_mad_u64_u32 v[48:49], null, v21, 36, v[2:3]
	v_add_co_u32 v62, s0, v48, v46
	v_add_co_ci_u32_e64 v63, null, 0, v49, s0
	s_clause 0x5
	global_load_dword v45, v[48:49], off
	global_load_dword v52, v[62:63], off offset:4
	global_load_dword v53, v[62:63], off offset:20
	;; [unrolled: 1-line block ×5, first 2 shown]
                                        ; implicit-def: $vgpr48
                                        ; implicit-def: $vgpr49
	s_and_saveexec_b32 s0, vcc_lo
	s_xor_b32 s0, exec_lo, s0
	s_cbranch_execz .LBB141_13
; %bb.12:                               ;   in Loop: Header=BB141_3 Depth=1
	global_load_ushort v48, v[8:9], off
	v_and_b32_e32 v49, 0x3030, v70
	v_or_b32_e32 v49, v49, v54
	s_waitcnt vmcnt(0)
	v_lshrrev_b16 v48, 2, v48
	v_and_b32_e32 v48, 0x3030, v48
	v_or_b32_e32 v48, v48, v47
.LBB141_13:                             ;   in Loop: Header=BB141_3 Depth=1
	s_andn2_saveexec_b32 s0, s0
; %bb.14:                               ;   in Loop: Header=BB141_3 Depth=1
	v_and_b32_e32 v48, 0x3f3f, v61
	v_and_b32_sdwa v49, v61, v26 dst_sel:DWORD dst_unused:UNUSED_PAD src0_sel:WORD_1 src1_sel:DWORD
; %bb.15:                               ;   in Loop: Header=BB141_3 Depth=1
	s_or_b32 exec_lo, exec_lo, s0
	v_mad_u64_u32 v[67:68], null, v6, 36, v[2:3]
	v_add_co_u32 v71, s0, v67, v46
	v_add_co_ci_u32_e64 v72, null, 0, v68, s0
	s_clause 0x5
	global_load_dword v60, v[67:68], off
	global_load_dword v63, v[71:72], off offset:4
	global_load_dword v69, v[71:72], off offset:20
	global_load_dword v62, v[71:72], off offset:40
	global_load_dword v65, v[71:72], off offset:56
	global_load_dword v56, v[67:68], off offset:36
                                        ; implicit-def: $vgpr67
                                        ; implicit-def: $vgpr68
	s_and_saveexec_b32 s0, vcc_lo
	s_xor_b32 s0, exec_lo, s0
	s_cbranch_execz .LBB141_17
; %bb.16:                               ;   in Loop: Header=BB141_3 Depth=1
	global_load_ushort v67, v[8:9], off
	v_and_b32_e32 v68, 0x3030, v70
	v_or_b32_e32 v68, v68, v54
	s_waitcnt vmcnt(0)
	v_lshrrev_b16 v67, 2, v67
	v_and_b32_e32 v67, 0x3030, v67
	v_or_b32_e32 v67, v67, v47
.LBB141_17:                             ;   in Loop: Header=BB141_3 Depth=1
	s_andn2_saveexec_b32 s0, s0
; %bb.18:                               ;   in Loop: Header=BB141_3 Depth=1
	v_and_b32_e32 v67, 0x3f3f, v61
	v_and_b32_sdwa v68, v61, v26 dst_sel:DWORD dst_unused:UNUSED_PAD src0_sel:WORD_1 src1_sel:DWORD
; %bb.19:                               ;   in Loop: Header=BB141_3 Depth=1
	s_or_b32 exec_lo, exec_lo, s0
	v_mad_u64_u32 v[80:81], null, v22, 36, v[2:3]
	v_add_co_u32 v76, s0, v80, v46
	v_add_co_ci_u32_e64 v77, null, 0, v81, s0
	s_clause 0x5
	global_load_dword v72, v[80:81], off
	global_load_dword v75, v[76:77], off offset:4
	global_load_dword v79, v[76:77], off offset:20
	;; [unrolled: 1-line block ×5, first 2 shown]
	s_and_saveexec_b32 s0, vcc_lo
	s_xor_b32 s0, exec_lo, s0
	s_cbranch_execz .LBB141_21
; %bb.20:                               ;   in Loop: Header=BB141_3 Depth=1
	global_load_ushort v64, v[8:9], off
	v_and_b32_e32 v66, 0x3030, v70
	v_or_b32_e32 v66, v66, v54
	s_waitcnt vmcnt(0)
	v_lshrrev_b16 v64, 2, v64
	v_and_b32_e32 v64, 0x3030, v64
	v_or_b32_e32 v64, v64, v47
.LBB141_21:                             ;   in Loop: Header=BB141_3 Depth=1
	s_andn2_saveexec_b32 s0, s0
	s_or_b32 exec_lo, exec_lo, s0
	v_mad_u64_u32 v[80:81], null, v7, 36, v[2:3]
                                        ; implicit-def: $vgpr54
	v_add_co_u32 v82, s0, v80, v46
	v_add_co_ci_u32_e64 v83, null, 0, v81, s0
	s_clause 0x5
	global_load_dword v46, v[80:81], off
	global_load_dword v76, v[82:83], off offset:4
	global_load_dword v78, v[82:83], off offset:20
	;; [unrolled: 1-line block ×5, first 2 shown]
	s_and_saveexec_b32 s0, vcc_lo
	s_xor_b32 s0, exec_lo, s0
	s_cbranch_execz .LBB141_23
; %bb.22:                               ;   in Loop: Header=BB141_3 Depth=1
	global_load_ushort v8, v[8:9], off
	v_pk_lshrrev_b16 v9, 4, v61 op_sel:[1,1] op_sel_hi:[0,1]
	v_and_b32_e32 v9, 0xf0f0f0f, v9
	s_waitcnt vmcnt(0)
	v_perm_b32 v8, v61, v8, 0x5040100
                                        ; implicit-def: $vgpr61
	v_pk_lshrrev_b16 v8, 2, v8 op_sel_hi:[0,1]
	v_and_or_b32 v54, 0x30303030, v8, v9
.LBB141_23:                             ;   in Loop: Header=BB141_3 Depth=1
	s_andn2_saveexec_b32 s0, s0
	s_cbranch_execz .LBB141_2
; %bb.24:                               ;   in Loop: Header=BB141_3 Depth=1
	v_and_b32_e32 v54, 0x3f3f3f3f, v61
	s_branch .LBB141_2
.LBB141_25:
	s_or_b32 exec_lo, exec_lo, s1
.LBB141_26:
	s_or_b32 exec_lo, exec_lo, s9
	s_mov_b32 s1, 0
	; wave barrier
	buffer_gl0_inv
	s_mov_b32 s0, exec_lo
	v_cmpx_eq_u32_e32 0, v1
	s_cbranch_execz .LBB141_39
; %bb.27:
	v_mbcnt_lo_u32_b32 v5, -1, 0
	s_load_dwordx2 s[4:5], s[4:5], 0x38
	s_mul_i32 s0, s14, s7
	s_mul_i32 s3, s18, s8
	s_add_i32 s0, s0, s6
	v_xor_b32_e32 v1, 16, v5
	v_xor_b32_e32 v2, 8, v5
	;; [unrolled: 1-line block ×3, first 2 shown]
	s_add_i32 s0, s0, s3
	s_lshl_b64 s[0:1], s[0:1], 2
	v_cmp_gt_i32_e32 vcc_lo, 32, v1
	v_cndmask_b32_e32 v1, v5, v1, vcc_lo
	v_cmp_gt_i32_e32 vcc_lo, 32, v2
	v_lshlrev_b32_e32 v1, 2, v1
	v_cndmask_b32_e32 v2, v5, v2, vcc_lo
	s_waitcnt lgkmcnt(0)
	s_add_u32 s0, s4, s0
	s_addc_u32 s1, s5, s1
	ds_bpermute_b32 v3, v1, v16
	v_lshlrev_b32_e32 v2, 2, v2
	s_waitcnt lgkmcnt(0)
	v_add_f32_e32 v4, v16, v3
	v_xor_b32_e32 v3, 4, v5
	ds_bpermute_b32 v6, v2, v4
	v_cmp_gt_i32_e32 vcc_lo, 32, v3
	v_cndmask_b32_e32 v3, v5, v3, vcc_lo
	v_lshlrev_b32_e32 v3, 2, v3
	s_waitcnt lgkmcnt(0)
	v_add_f32_e32 v6, v4, v6
	v_xor_b32_e32 v4, 2, v5
	ds_bpermute_b32 v7, v3, v6
	v_cmp_gt_i32_e32 vcc_lo, 32, v4
	v_cndmask_b32_e32 v4, v5, v4, vcc_lo
	v_cmp_gt_i32_e32 vcc_lo, 32, v8
	v_lshlrev_b32_e32 v4, 2, v4
	v_cndmask_b32_e32 v5, v5, v8, vcc_lo
	v_cmp_eq_u32_e32 vcc_lo, 0, v0
	v_lshlrev_b32_e32 v5, 2, v5
	s_waitcnt lgkmcnt(0)
	v_add_f32_e32 v6, v6, v7
	ds_bpermute_b32 v7, v4, v6
	s_waitcnt lgkmcnt(0)
	v_add_f32_e32 v6, v6, v7
	ds_bpermute_b32 v7, v5, v6
	s_and_saveexec_b32 s3, vcc_lo
	s_cbranch_execz .LBB141_29
; %bb.28:
	s_waitcnt lgkmcnt(0)
	v_add_f32_e32 v0, v6, v7
	v_mov_b32_e32 v6, 0
	global_store_dword v6, v0, s[0:1]
.LBB141_29:
	s_or_b32 exec_lo, exec_lo, s3
	ds_bpermute_b32 v0, v1, v14
	s_waitcnt lgkmcnt(0)
	v_add_f32_e32 v0, v14, v0
	ds_bpermute_b32 v6, v2, v0
	s_waitcnt lgkmcnt(0)
	v_add_f32_e32 v0, v0, v6
	;; [unrolled: 3-line block ×4, first 2 shown]
	ds_bpermute_b32 v6, v5, v0
	s_and_saveexec_b32 s4, vcc_lo
	s_cbranch_execz .LBB141_31
; %bb.30:
	s_mov_b32 s3, 0
	s_waitcnt lgkmcnt(0)
	v_add_f32_e32 v0, v0, v6
	s_lshl_b64 s[6:7], s[2:3], 2
	v_mov_b32_e32 v6, 0
	s_add_u32 s6, s0, s6
	s_addc_u32 s7, s1, s7
	global_store_dword v6, v0, s[6:7]
.LBB141_31:
	s_or_b32 exec_lo, exec_lo, s4
	ds_bpermute_b32 v0, v1, v13
	s_waitcnt lgkmcnt(0)
	v_add_f32_e32 v0, v13, v0
	ds_bpermute_b32 v6, v2, v0
	s_waitcnt lgkmcnt(0)
	v_add_f32_e32 v0, v0, v6
	;; [unrolled: 3-line block ×4, first 2 shown]
	ds_bpermute_b32 v6, v5, v0
	s_and_saveexec_b32 s3, vcc_lo
	s_cbranch_execz .LBB141_33
; %bb.32:
	s_lshl_b32 s4, s2, 1
	s_mov_b32 s5, 0
	s_waitcnt lgkmcnt(0)
	v_add_f32_e32 v0, v0, v6
	s_lshl_b64 s[4:5], s[4:5], 2
	v_mov_b32_e32 v6, 0
	s_add_u32 s4, s0, s4
	s_addc_u32 s5, s1, s5
	global_store_dword v6, v0, s[4:5]
.LBB141_33:
	s_or_b32 exec_lo, exec_lo, s3
	ds_bpermute_b32 v0, v1, v12
	s_waitcnt lgkmcnt(0)
	v_add_f32_e32 v0, v12, v0
	ds_bpermute_b32 v6, v2, v0
	s_waitcnt lgkmcnt(0)
	v_add_f32_e32 v0, v0, v6
	;; [unrolled: 3-line block ×4, first 2 shown]
	ds_bpermute_b32 v6, v5, v0
	s_and_saveexec_b32 s3, vcc_lo
	s_cbranch_execz .LBB141_35
; %bb.34:
	s_mul_i32 s4, s2, 3
	s_mov_b32 s5, 0
	s_waitcnt lgkmcnt(0)
	v_add_f32_e32 v0, v0, v6
	s_lshl_b64 s[4:5], s[4:5], 2
	v_mov_b32_e32 v6, 0
	s_add_u32 s4, s0, s4
	s_addc_u32 s5, s1, s5
	global_store_dword v6, v0, s[4:5]
.LBB141_35:
	s_or_b32 exec_lo, exec_lo, s3
	ds_bpermute_b32 v0, v1, v11
	s_waitcnt lgkmcnt(0)
	v_add_f32_e32 v0, v11, v0
	ds_bpermute_b32 v6, v2, v0
	s_waitcnt lgkmcnt(0)
	v_add_f32_e32 v0, v0, v6
	;; [unrolled: 3-line block ×4, first 2 shown]
	ds_bpermute_b32 v6, v5, v0
	s_and_saveexec_b32 s3, vcc_lo
	s_cbranch_execz .LBB141_37
; %bb.36:
	s_lshl_b32 s4, s2, 2
	s_mov_b32 s5, 0
	s_waitcnt lgkmcnt(0)
	v_add_f32_e32 v0, v0, v6
	s_lshl_b64 s[4:5], s[4:5], 2
	v_mov_b32_e32 v6, 0
	s_add_u32 s4, s0, s4
	s_addc_u32 s5, s1, s5
	global_store_dword v6, v0, s[4:5]
.LBB141_37:
	s_or_b32 exec_lo, exec_lo, s3
	ds_bpermute_b32 v0, v1, v10
	s_waitcnt lgkmcnt(0)
	v_add_f32_e32 v0, v10, v0
	ds_bpermute_b32 v1, v2, v0
	s_waitcnt lgkmcnt(0)
	v_add_f32_e32 v0, v0, v1
	;; [unrolled: 3-line block ×4, first 2 shown]
	ds_bpermute_b32 v1, v5, v0
	s_and_b32 exec_lo, exec_lo, vcc_lo
	s_cbranch_execz .LBB141_39
; %bb.38:
	s_mul_i32 s2, s2, 5
	s_mov_b32 s3, 0
	s_waitcnt lgkmcnt(0)
	v_add_f32_e32 v0, v0, v1
	s_lshl_b64 s[2:3], s[2:3], 2
	v_mov_b32_e32 v1, 0
	s_add_u32 s0, s0, s2
	s_addc_u32 s1, s1, s3
	global_store_dword v1, v0, s[0:1]
.LBB141_39:
	s_endpgm
	.section	.rodata,"a",@progbits
	.p2align	6, 0x0
	.amdhsa_kernel _ZL13mul_mat_vec_qIL9ggml_type13ELi6ELb0ELb0EEvPKvS2_PKi31ggml_cuda_mm_fusion_args_devicePfj15HIP_vector_typeIjLj3EEjjjS8_jjjS8_jjjj
		.amdhsa_group_segment_fixed_size 0
		.amdhsa_private_segment_fixed_size 0
		.amdhsa_kernarg_size 144
		.amdhsa_user_sgpr_count 6
		.amdhsa_user_sgpr_private_segment_buffer 1
		.amdhsa_user_sgpr_dispatch_ptr 0
		.amdhsa_user_sgpr_queue_ptr 0
		.amdhsa_user_sgpr_kernarg_segment_ptr 1
		.amdhsa_user_sgpr_dispatch_id 0
		.amdhsa_user_sgpr_flat_scratch_init 0
		.amdhsa_user_sgpr_private_segment_size 0
		.amdhsa_wavefront_size32 1
		.amdhsa_uses_dynamic_stack 0
		.amdhsa_system_sgpr_private_segment_wavefront_offset 0
		.amdhsa_system_sgpr_workgroup_id_x 1
		.amdhsa_system_sgpr_workgroup_id_y 1
		.amdhsa_system_sgpr_workgroup_id_z 1
		.amdhsa_system_sgpr_workgroup_info 0
		.amdhsa_system_vgpr_workitem_id 1
		.amdhsa_next_free_vgpr 84
		.amdhsa_next_free_sgpr 26
		.amdhsa_reserve_vcc 1
		.amdhsa_reserve_flat_scratch 0
		.amdhsa_float_round_mode_32 0
		.amdhsa_float_round_mode_16_64 0
		.amdhsa_float_denorm_mode_32 3
		.amdhsa_float_denorm_mode_16_64 3
		.amdhsa_dx10_clamp 1
		.amdhsa_ieee_mode 1
		.amdhsa_fp16_overflow 0
		.amdhsa_workgroup_processor_mode 1
		.amdhsa_memory_ordered 1
		.amdhsa_forward_progress 1
		.amdhsa_shared_vgpr_count 0
		.amdhsa_exception_fp_ieee_invalid_op 0
		.amdhsa_exception_fp_denorm_src 0
		.amdhsa_exception_fp_ieee_div_zero 0
		.amdhsa_exception_fp_ieee_overflow 0
		.amdhsa_exception_fp_ieee_underflow 0
		.amdhsa_exception_fp_ieee_inexact 0
		.amdhsa_exception_int_div_zero 0
	.end_amdhsa_kernel
	.section	.text._ZL13mul_mat_vec_qIL9ggml_type13ELi6ELb0ELb0EEvPKvS2_PKi31ggml_cuda_mm_fusion_args_devicePfj15HIP_vector_typeIjLj3EEjjjS8_jjjS8_jjjj,"axG",@progbits,_ZL13mul_mat_vec_qIL9ggml_type13ELi6ELb0ELb0EEvPKvS2_PKi31ggml_cuda_mm_fusion_args_devicePfj15HIP_vector_typeIjLj3EEjjjS8_jjjS8_jjjj,comdat
.Lfunc_end141:
	.size	_ZL13mul_mat_vec_qIL9ggml_type13ELi6ELb0ELb0EEvPKvS2_PKi31ggml_cuda_mm_fusion_args_devicePfj15HIP_vector_typeIjLj3EEjjjS8_jjjS8_jjjj, .Lfunc_end141-_ZL13mul_mat_vec_qIL9ggml_type13ELi6ELb0ELb0EEvPKvS2_PKi31ggml_cuda_mm_fusion_args_devicePfj15HIP_vector_typeIjLj3EEjjjS8_jjjS8_jjjj
                                        ; -- End function
	.set _ZL13mul_mat_vec_qIL9ggml_type13ELi6ELb0ELb0EEvPKvS2_PKi31ggml_cuda_mm_fusion_args_devicePfj15HIP_vector_typeIjLj3EEjjjS8_jjjS8_jjjj.num_vgpr, 84
	.set _ZL13mul_mat_vec_qIL9ggml_type13ELi6ELb0ELb0EEvPKvS2_PKi31ggml_cuda_mm_fusion_args_devicePfj15HIP_vector_typeIjLj3EEjjjS8_jjjS8_jjjj.num_agpr, 0
	.set _ZL13mul_mat_vec_qIL9ggml_type13ELi6ELb0ELb0EEvPKvS2_PKi31ggml_cuda_mm_fusion_args_devicePfj15HIP_vector_typeIjLj3EEjjjS8_jjjS8_jjjj.numbered_sgpr, 26
	.set _ZL13mul_mat_vec_qIL9ggml_type13ELi6ELb0ELb0EEvPKvS2_PKi31ggml_cuda_mm_fusion_args_devicePfj15HIP_vector_typeIjLj3EEjjjS8_jjjS8_jjjj.num_named_barrier, 0
	.set _ZL13mul_mat_vec_qIL9ggml_type13ELi6ELb0ELb0EEvPKvS2_PKi31ggml_cuda_mm_fusion_args_devicePfj15HIP_vector_typeIjLj3EEjjjS8_jjjS8_jjjj.private_seg_size, 0
	.set _ZL13mul_mat_vec_qIL9ggml_type13ELi6ELb0ELb0EEvPKvS2_PKi31ggml_cuda_mm_fusion_args_devicePfj15HIP_vector_typeIjLj3EEjjjS8_jjjS8_jjjj.uses_vcc, 1
	.set _ZL13mul_mat_vec_qIL9ggml_type13ELi6ELb0ELb0EEvPKvS2_PKi31ggml_cuda_mm_fusion_args_devicePfj15HIP_vector_typeIjLj3EEjjjS8_jjjS8_jjjj.uses_flat_scratch, 0
	.set _ZL13mul_mat_vec_qIL9ggml_type13ELi6ELb0ELb0EEvPKvS2_PKi31ggml_cuda_mm_fusion_args_devicePfj15HIP_vector_typeIjLj3EEjjjS8_jjjS8_jjjj.has_dyn_sized_stack, 0
	.set _ZL13mul_mat_vec_qIL9ggml_type13ELi6ELb0ELb0EEvPKvS2_PKi31ggml_cuda_mm_fusion_args_devicePfj15HIP_vector_typeIjLj3EEjjjS8_jjjS8_jjjj.has_recursion, 0
	.set _ZL13mul_mat_vec_qIL9ggml_type13ELi6ELb0ELb0EEvPKvS2_PKi31ggml_cuda_mm_fusion_args_devicePfj15HIP_vector_typeIjLj3EEjjjS8_jjjS8_jjjj.has_indirect_call, 0
	.section	.AMDGPU.csdata,"",@progbits
; Kernel info:
; codeLenInByte = 3868
; TotalNumSgprs: 28
; NumVgprs: 84
; ScratchSize: 0
; MemoryBound: 0
; FloatMode: 240
; IeeeMode: 1
; LDSByteSize: 0 bytes/workgroup (compile time only)
; SGPRBlocks: 0
; VGPRBlocks: 10
; NumSGPRsForWavesPerEU: 28
; NumVGPRsForWavesPerEU: 84
; Occupancy: 10
; WaveLimiterHint : 0
; COMPUTE_PGM_RSRC2:SCRATCH_EN: 0
; COMPUTE_PGM_RSRC2:USER_SGPR: 6
; COMPUTE_PGM_RSRC2:TRAP_HANDLER: 0
; COMPUTE_PGM_RSRC2:TGID_X_EN: 1
; COMPUTE_PGM_RSRC2:TGID_Y_EN: 1
; COMPUTE_PGM_RSRC2:TGID_Z_EN: 1
; COMPUTE_PGM_RSRC2:TIDIG_COMP_CNT: 1
	.section	.text._ZL13mul_mat_vec_qIL9ggml_type13ELi7ELb0ELb0EEvPKvS2_PKi31ggml_cuda_mm_fusion_args_devicePfj15HIP_vector_typeIjLj3EEjjjS8_jjjS8_jjjj,"axG",@progbits,_ZL13mul_mat_vec_qIL9ggml_type13ELi7ELb0ELb0EEvPKvS2_PKi31ggml_cuda_mm_fusion_args_devicePfj15HIP_vector_typeIjLj3EEjjjS8_jjjS8_jjjj,comdat
	.globl	_ZL13mul_mat_vec_qIL9ggml_type13ELi7ELb0ELb0EEvPKvS2_PKi31ggml_cuda_mm_fusion_args_devicePfj15HIP_vector_typeIjLj3EEjjjS8_jjjS8_jjjj ; -- Begin function _ZL13mul_mat_vec_qIL9ggml_type13ELi7ELb0ELb0EEvPKvS2_PKi31ggml_cuda_mm_fusion_args_devicePfj15HIP_vector_typeIjLj3EEjjjS8_jjjS8_jjjj
	.p2align	8
	.type	_ZL13mul_mat_vec_qIL9ggml_type13ELi7ELb0ELb0EEvPKvS2_PKi31ggml_cuda_mm_fusion_args_devicePfj15HIP_vector_typeIjLj3EEjjjS8_jjjS8_jjjj,@function
_ZL13mul_mat_vec_qIL9ggml_type13ELi7ELb0ELb0EEvPKvS2_PKi31ggml_cuda_mm_fusion_args_devicePfj15HIP_vector_typeIjLj3EEjjjS8_jjjS8_jjjj: ; @_ZL13mul_mat_vec_qIL9ggml_type13ELi7ELb0ELb0EEvPKvS2_PKi31ggml_cuda_mm_fusion_args_devicePfj15HIP_vector_typeIjLj3EEjjjS8_jjjS8_jjjj
; %bb.0:
	s_clause 0x5
	s_load_dword s9, s[4:5], 0x40
	s_load_dwordx4 s[12:15], s[4:5], 0x50
	s_load_dword s11, s[4:5], 0x60
	s_load_dwordx4 s[0:3], s[4:5], 0x68
	;; [unrolled: 2-line block ×3, first 2 shown]
	v_lshl_or_b32 v2, v1, 5, v0
	v_mov_b32_e32 v8, 0
	v_mov_b32_e32 v9, 0
	;; [unrolled: 1-line block ×4, first 2 shown]
	v_lshrrev_b32_e32 v14, 4, v2
	v_mov_b32_e32 v12, 0
	v_mov_b32_e32 v13, 0
	v_mov_b32_e32 v15, 0
	s_waitcnt lgkmcnt(0)
	s_lshr_b32 s10, s9, 8
	s_mov_b32 s9, exec_lo
	v_cmpx_gt_u32_e64 s10, v14
	s_cbranch_execz .LBB142_30
; %bb.1:
	s_load_dwordx4 s[20:23], s[4:5], 0x0
	v_bfe_u32 v2, v0, 2, 2
	s_mul_hi_u32 s15, s15, s7
	v_lshlrev_b32_e32 v4, 1, v0
	s_mul_hi_u32 s3, s3, s8
	s_mul_i32 s17, s17, s8
	v_mul_hi_u32_u24_e32 v3, 0x48, v2
	v_mul_u32_u24_e32 v2, 0x48, v2
	s_add_i32 s15, s7, s15
	s_add_i32 s3, s8, s3
	s_mul_i32 s1, s1, s7
	s_mul_hi_u32 s19, s17, 36
	v_mad_u64_u32 v[2:3], null, 0x120, v14, v[2:3]
	s_mul_i32 s17, s17, 36
	s_lshr_b32 s11, s15, s11
	s_lshr_b32 s3, s3, s24
	v_bfe_u32 v6, v4, 3, 2
	s_mul_hi_u32 s25, s1, 36
	s_mul_i32 s1, s1, 36
	s_mul_i32 s0, s11, s0
	s_waitcnt lgkmcnt(0)
	s_add_u32 s11, s22, s17
	s_mul_i32 s12, s12, s6
	s_addc_u32 s15, s23, s19
	v_and_b32_e32 v5, 30, v4
	s_mul_i32 s3, s3, s16
	s_add_u32 s16, s11, s1
	s_addc_u32 s17, s15, s25
	s_add_i32 s0, s0, s12
	v_lshlrev_b32_e32 v19, 1, v6
	s_add_i32 s3, s3, s0
	v_add_co_u32 v4, s0, s16, v2
	v_and_b32_e32 v16, 3, v0
	v_cmp_lt_u32_e32 vcc_lo, 15, v5
	v_add_co_ci_u32_e64 v5, null, s17, v3, s0
	v_mad_u64_u32 v[2:3], null, v19, 36, s[16:17]
	v_add_co_u32 v4, s0, v4, 36
	v_lshlrev_b32_e32 v17, 5, v6
	v_mov_b32_e32 v8, 0
	v_lshlrev_b32_e32 v18, 2, v16
	v_add_co_ci_u32_e64 v5, null, 0, v5, s0
	v_lshlrev_b32_e32 v20, 3, v14
	v_lshlrev_b32_e32 v21, 1, v6
	v_mov_b32_e32 v22, 0xf0f
	v_mov_b32_e32 v23, 0x3f3f
	;; [unrolled: 1-line block ×9, first 2 shown]
	s_lshl_b32 s11, s13, 1
	s_mul_i32 s12, s13, 3
	s_lshl_b32 s15, s13, 2
	s_mul_i32 s16, s13, 5
	s_mul_i32 s19, s13, 6
	s_mov_b32 s17, 0
	s_branch .LBB142_3
.LBB142_2:                              ;   in Loop: Header=BB142_3 Depth=1
	s_or_b32 exec_lo, exec_lo, s0
	s_waitcnt vmcnt(44)
	v_ashrrev_i32_e32 v6, v19, v57
	s_waitcnt vmcnt(43)
	v_ashrrev_i32_e32 v7, v19, v58
	v_and_b32_e32 v57, 0xf0f0f0f, v55
	v_and_b32_e32 v58, 0xf0f0f0f, v54
	v_lshrrev_b32_e32 v54, 4, v54
	v_lshlrev_b32_e32 v64, 4, v6
	v_lshlrev_b32_e32 v85, 4, v7
	v_lshrrev_b32_e32 v55, 4, v55
	v_mov_b32_e32 v86, 0
	v_and_b32_e32 v54, 0xf0f0f0f, v54
	v_and_or_b32 v57, 0x10101010, v64, v57
	v_and_or_b32 v58, 0x10101010, v85, v58
	v_lshlrev_b32_e32 v7, 3, v7
	v_mov_b32_e32 v64, 0
	v_and_b32_e32 v55, 0xf0f0f0f, v55
	s_waitcnt vmcnt(9)
	v_dot4c_i32_i8 v86, 0x1010101, v84
	v_lshlrev_b32_e32 v6, 3, v6
	v_and_or_b32 v7, 0x10101010, v7, v54
	v_dot4c_i32_i8 v64, v58, v84
	v_mov_b32_e32 v54, 0
	v_dot4c_i32_i8 v86, 0x1010101, v81
	v_and_or_b32 v6, 0x10101010, v6, v55
	v_and_b32_sdwa v84, v24, v67 dst_sel:DWORD dst_unused:UNUSED_PAD src0_sel:DWORD src1_sel:BYTE_0
	v_dot4c_i32_i8 v64, v57, v81
	s_waitcnt vmcnt(7)
	v_dot4c_i32_i8 v54, v7, v82
	v_and_b32_sdwa v81, v24, v66 dst_sel:DWORD dst_unused:UNUSED_PAD src0_sel:DWORD src1_sel:BYTE_0
	v_and_b32_sdwa v66, v24, v66 dst_sel:DWORD dst_unused:UNUSED_PAD src0_sel:DWORD src1_sel:BYTE_1
	v_mul_lo_u32 v55, v86, v84
	v_mov_b32_e32 v85, 0
	v_dot4c_i32_i8 v54, v6, v80
	v_mul_lo_u32 v64, v64, v81
	v_and_b32_sdwa v81, v24, v70 dst_sel:DWORD dst_unused:UNUSED_PAD src0_sel:DWORD src1_sel:BYTE_0
	v_and_b32_sdwa v70, v24, v70 dst_sel:DWORD dst_unused:UNUSED_PAD src0_sel:DWORD src1_sel:BYTE_1
	v_dot4c_i32_i8 v85, 0x1010101, v82
	v_mul_lo_u32 v54, v54, v66
	v_cvt_f32_i32_e32 v55, v55
	v_and_b32_sdwa v67, v24, v67 dst_sel:DWORD dst_unused:UNUSED_PAD src0_sel:DWORD src1_sel:BYTE_1
	v_add_nc_u32_e32 v14, 2, v14
	v_cvt_f32_i32_e32 v64, v64
	v_dot4c_i32_i8 v85, 0x1010101, v80
	v_fma_mix_f32 v55, v77, v55, 0 op_sel_hi:[1,0,0]
	v_and_b32_sdwa v80, v24, v72 dst_sel:DWORD dst_unused:UNUSED_PAD src0_sel:DWORD src1_sel:BYTE_0
	v_cvt_f32_i32_e32 v54, v54
	v_fma_mix_f32 v64, v77, v64, 0 op_sel_hi:[1,0,0]
	v_mov_b32_e32 v77, 0
	v_and_b32_sdwa v72, v24, v72 dst_sel:DWORD dst_unused:UNUSED_PAD src0_sel:DWORD src1_sel:BYTE_1
	v_mul_lo_u32 v67, v85, v67
	v_cmp_le_u32_e64 s0, s10, v14
	s_waitcnt vmcnt(6)
	v_fma_mix_f32 v54, v78, v54, v64 op_sel_hi:[1,0,0]
	v_mov_b32_e32 v64, 0
	v_dot4c_i32_i8 v77, 0x1010101, v74
	v_add_co_u32 v4, s1, 0x240, v4
	v_add_co_ci_u32_e64 v5, null, 0, v5, s1
	v_dot4c_i32_i8 v64, v58, v74
	v_mov_b32_e32 v74, 0
	v_dot4c_i32_i8 v77, 0x1010101, v73
	v_cvt_f32_i32_e32 v66, v67
	v_cvt_f32_f16_sdwa v67, v25 dst_sel:DWORD dst_unused:UNUSED_PAD src0_sel:WORD_1
	v_dot4c_i32_i8 v64, v57, v73
	v_mov_b32_e32 v73, 0
	v_dot4c_i32_i8 v74, v7, v71
	v_fma_mix_f32 v55, v78, v66, v55 op_sel_hi:[1,0,0]
	v_mov_b32_e32 v66, 0
	v_mul_lo_u32 v64, v64, v80
	v_dot4c_i32_i8 v73, 0x1010101, v71
	v_mul_lo_u32 v71, v77, v81
	v_dot4c_i32_i8 v74, v6, v69
	v_mul_f32_e32 v55, v55, v67
	v_mov_b32_e32 v78, 0
	v_dot4c_i32_i8 v73, 0x1010101, v69
	s_waitcnt vmcnt(3)
	v_dot4c_i32_i8 v66, v58, v83
	v_mul_lo_u32 v69, v74, v72
	v_cvt_f32_i32_e32 v64, v64
	v_cvt_f32_i32_e32 v71, v71
	v_mov_b32_e32 v72, 0
	v_mov_b32_e32 v74, 0
	v_fma_mix_f32 v54, v54, v25, -v55 op_sel_hi:[0,1,0]
	v_fma_mix_f32 v64, v68, v64, 0 op_sel_hi:[1,0,0]
	v_fma_mix_f32 v68, v68, v71, 0 op_sel_hi:[1,0,0]
	v_dot4c_i32_i8 v72, v58, v63
	v_dot4c_i32_i8 v74, 0x1010101, v63
	v_mul_lo_u32 v63, v73, v70
	v_mov_b32_e32 v70, 0
	v_mov_b32_e32 v71, 0
	v_dot4c_i32_i8 v72, v57, v62
	v_dot4c_i32_i8 v74, 0x1010101, v62
	v_and_b32_sdwa v62, v24, v59 dst_sel:DWORD dst_unused:UNUSED_PAD src0_sel:DWORD src1_sel:BYTE_0
	v_dot4c_i32_i8 v70, v7, v60
	v_dot4c_i32_i8 v71, 0x1010101, v60
	v_and_b32_sdwa v60, v24, v61 dst_sel:DWORD dst_unused:UNUSED_PAD src0_sel:DWORD src1_sel:BYTE_0
	v_and_b32_sdwa v59, v24, v59 dst_sel:DWORD dst_unused:UNUSED_PAD src0_sel:DWORD src1_sel:BYTE_1
	v_mul_lo_u32 v62, v72, v62
	v_dot4c_i32_i8 v70, v6, v56
	v_dot4c_i32_i8 v71, 0x1010101, v56
	v_mul_lo_u32 v56, v74, v60
	v_and_b32_sdwa v60, v24, v61 dst_sel:DWORD dst_unused:UNUSED_PAD src0_sel:DWORD src1_sel:BYTE_1
	v_cvt_f32_i32_e32 v69, v69
	v_cvt_f32_i32_e32 v63, v63
	v_mul_lo_u32 v59, v70, v59
	v_cvt_f32_i32_e32 v62, v62
	v_mul_lo_u32 v60, v71, v60
	v_fma_mix_f32 v61, v65, v69, v64 op_sel_hi:[1,0,0]
	v_fma_mix_f32 v63, v65, v63, v68 op_sel_hi:[1,0,0]
	v_cvt_f32_i32_e32 v56, v56
	v_mov_b32_e32 v64, 0
	v_mov_b32_e32 v65, 0
	v_fma_mix_f32 v62, v51, v62, 0 op_sel_hi:[1,0,0]
	v_mul_f32_e32 v63, v63, v67
	v_fma_mix_f32 v51, v51, v56, 0 op_sel_hi:[1,0,0]
	v_cvt_f32_i32_e32 v56, v59
	v_cvt_f32_i32_e32 v59, v60
	v_dot4c_i32_i8 v64, v58, v48
	v_dot4c_i32_i8 v65, 0x1010101, v48
	v_and_b32_sdwa v60, v24, v44 dst_sel:DWORD dst_unused:UNUSED_PAD src0_sel:DWORD src1_sel:BYTE_0
	v_fma_mix_f32 v56, v52, v56, v62 op_sel_hi:[1,0,0]
	v_fma_mix_f32 v51, v52, v59, v51 op_sel_hi:[1,0,0]
	v_dot4c_i32_i8 v64, v57, v47
	v_dot4c_i32_i8 v65, 0x1010101, v47
	v_mov_b32_e32 v47, 0
	v_and_b32_sdwa v52, v24, v43 dst_sel:DWORD dst_unused:UNUSED_PAD src0_sel:DWORD src1_sel:BYTE_0
	v_mov_b32_e32 v59, 0
	v_fma_mix_f32 v48, v61, v25, -v63 op_sel_hi:[0,1,0]
	v_mul_f32_e32 v51, v51, v67
	v_dot4c_i32_i8 v47, v7, v46
	v_mul_lo_u32 v52, v64, v52
	v_dot4c_i32_i8 v59, 0x1010101, v46
	v_mul_lo_u32 v46, v65, v60
	v_add_f32_e32 v10, v10, v48
	v_dot4c_i32_i8 v47, v6, v45
	v_fma_mix_f32 v48, v56, v25, -v51 op_sel_hi:[0,1,0]
	v_dot4c_i32_i8 v59, 0x1010101, v45
	v_mov_b32_e32 v45, 0
	v_cvt_f32_i32_e32 v51, v52
	v_mov_b32_e32 v52, 0
	v_cvt_f32_i32_e32 v46, v46
	v_and_b32_sdwa v43, v24, v43 dst_sel:DWORD dst_unused:UNUSED_PAD src0_sel:DWORD src1_sel:BYTE_1
	v_dot4c_i32_i8 v45, v58, v40
	v_fma_mix_f32 v51, v42, v51, 0 op_sel_hi:[1,0,0]
	v_and_b32_sdwa v44, v24, v44 dst_sel:DWORD dst_unused:UNUSED_PAD src0_sel:DWORD src1_sel:BYTE_1
	v_fma_mix_f32 v42, v42, v46, 0 op_sel_hi:[1,0,0]
	v_mov_b32_e32 v46, 0
	v_dot4c_i32_i8 v45, v57, v37
	v_dot4c_i32_i8 v52, 0x1010101, v40
	v_and_b32_sdwa v40, v24, v39 dst_sel:DWORD dst_unused:UNUSED_PAD src0_sel:DWORD src1_sel:BYTE_0
	v_mul_lo_u32 v43, v47, v43
	v_mov_b32_e32 v47, 0
	v_dot4c_i32_i8 v46, v7, v36
	v_mul_lo_u32 v44, v59, v44
	v_dot4c_i32_i8 v52, 0x1010101, v37
	v_mul_lo_u32 v37, v45, v40
	v_dot4c_i32_i8 v47, 0x1010101, v36
	v_dot4c_i32_i8 v46, v6, v35
	v_and_b32_sdwa v36, v24, v39 dst_sel:DWORD dst_unused:UNUSED_PAD src0_sel:DWORD src1_sel:BYTE_1
	v_and_b32_sdwa v40, v24, v38 dst_sel:DWORD dst_unused:UNUSED_PAD src0_sel:DWORD src1_sel:BYTE_0
	v_add_f32_e32 v9, v9, v54
	v_cvt_f32_i32_e32 v39, v44
	v_dot4c_i32_i8 v47, 0x1010101, v35
	v_cvt_f32_i32_e32 v35, v37
	v_mul_lo_u32 v36, v46, v36
	v_and_b32_sdwa v37, v24, v38 dst_sel:DWORD dst_unused:UNUSED_PAD src0_sel:DWORD src1_sel:BYTE_1
	v_mul_lo_u32 v40, v52, v40
	v_fma_mix_f32 v39, v41, v39, v42 op_sel_hi:[1,0,0]
	v_mov_b32_e32 v42, 0
	v_fma_mix_f32 v35, v34, v35, 0 op_sel_hi:[1,0,0]
	v_mul_lo_u32 v37, v47, v37
	v_cvt_f32_i32_e32 v38, v43
	v_cvt_f32_i32_e32 v36, v36
	v_dot4c_i32_i8 v42, v58, v32
	v_cvt_f32_i32_e32 v40, v40
	v_mov_b32_e32 v54, 0
	v_fma_mix_f32 v38, v41, v38, v51 op_sel_hi:[1,0,0]
	v_fma_mix_f32 v35, v33, v36, v35 op_sel_hi:[1,0,0]
	v_cvt_f32_i32_e32 v36, v37
	v_mov_b32_e32 v37, 0
	v_fma_mix_f32 v34, v34, v40, 0 op_sel_hi:[1,0,0]
	v_mov_b32_e32 v40, 0
	v_dot4c_i32_i8 v42, v57, v30
	v_bfe_u32 v41, v29, 16, 8
	v_mov_b32_e32 v55, 0
	v_dot4c_i32_i8 v37, 0x1010101, v32
	s_waitcnt vmcnt(1)
	v_dot4c_i32_i8 v54, v7, v79
	v_dot4c_i32_i8 v40, v7, v31
	v_mul_lo_u32 v32, v42, v41
	v_dot4c_i32_i8 v55, 0x1010101, v83
	v_mov_b32_e32 v43, 0
	v_dot4c_i32_i8 v37, 0x1010101, v30
	v_and_b32_e32 v30, 0xff00ff, v53
	v_dot4c_i32_i8 v54, v6, v76
	v_dot4c_i32_i8 v40, v6, v28
	v_and_b32_e32 v6, 0xff, v29
	v_dot4c_i32_i8 v78, 0x1010101, v79
	v_dot4c_i32_i8 v55, 0x1010101, v75
	v_fma_mix_f32 v7, v33, v36, v34 op_sel_hi:[1,0,0]
	v_dot4c_i32_i8 v43, 0x1010101, v31
	v_cvt_f32_i32_e32 v31, v32
	v_lshrrev_b32_e32 v32, 16, v30
	v_pk_lshrrev_b16 v33, 8, v53 op_sel_hi:[0,1]
	v_mul_lo_u32 v6, v37, v6
	v_dot4c_i32_i8 v66, v57, v75
	v_dot4c_i32_i8 v78, 0x1010101, v76
	;; [unrolled: 1-line block ×3, first 2 shown]
	v_and_b32_sdwa v28, v24, v29 dst_sel:DWORD dst_unused:UNUSED_PAD src0_sel:DWORD src1_sel:BYTE_1
	v_and_b32_e32 v30, 0xff, v30
	v_mul_lo_u32 v32, v55, v32
	v_lshrrev_b32_e32 v34, 16, v33
	v_lshrrev_b32_e32 v29, 24, v29
	v_cvt_f32_i32_e32 v6, v6
	v_mul_lo_u32 v28, v43, v28
	v_mul_lo_u32 v30, v66, v30
	v_and_b32_e32 v33, 0xff, v33
	v_mul_lo_u32 v34, v78, v34
	v_cvt_f32_i32_e32 v32, v32
	v_fma_mix_f32 v31, v27, v31, 0 op_sel_hi:[1,0,0]
	v_mul_lo_u32 v29, v40, v29
	v_fma_mix_f32 v6, v27, v6, 0 op_sel_hi:[1,0,0]
	v_mul_lo_u32 v27, v54, v33
	v_cvt_f32_i32_e32 v28, v28
	v_cvt_f32_i32_e32 v30, v30
	v_fma_mix_f32 v32, v49, v32, 0 op_sel_hi:[1,0,0]
	v_cvt_f32_i32_e32 v33, v34
	v_mul_f32_e32 v39, v39, v67
	v_cvt_f32_i32_e32 v29, v29
	v_fma_mix_f32 v6, v26, v28, v6 op_sel_hi:[1,0,0]
	v_fma_mix_f32 v28, v49, v30, 0 op_sel_hi:[1,0,0]
	v_cvt_f32_i32_e32 v27, v27
	s_waitcnt vmcnt(0)
	v_fma_mix_f32 v30, v50, v33, v32 op_sel_hi:[1,0,0]
	v_mul_f32_e32 v7, v7, v67
	v_fma_mix_f32 v26, v26, v29, v31 op_sel_hi:[1,0,0]
	v_mul_f32_e32 v6, v6, v67
	;; [unrolled: 2-line block ×3, first 2 shown]
	v_fma_mix_f32 v29, v38, v25, -v39 op_sel_hi:[0,1,0]
	v_fma_mix_f32 v7, v35, v25, -v7 op_sel_hi:[0,1,0]
	;; [unrolled: 1-line block ×3, first 2 shown]
	v_add_f32_e32 v11, v11, v48
	v_fma_mix_f32 v25, v27, v25, -v28 op_sel_hi:[0,1,0]
	v_add_f32_e32 v12, v12, v29
	v_add_f32_e32 v13, v13, v7
	;; [unrolled: 1-line block ×3, first 2 shown]
	v_add_nc_u32_e32 v20, 16, v20
	v_add_f32_e32 v8, v8, v25
	s_or_b32 s17, s0, s17
	s_andn2_b32 exec_lo, exec_lo, s17
	s_cbranch_execz .LBB142_29
.LBB142_3:                              ; =>This Inner Loop Header: Depth=1
	v_add_nc_u32_e32 v6, s3, v14
                                        ; implicit-def: $vgpr64
                                        ; implicit-def: $vgpr29
	v_mad_i64_i32 v[6:7], null, 0xb0, v6, s[20:21]
	v_add_co_u32 v27, s0, v6, v17
	v_add_co_ci_u32_e64 v28, null, 0, v7, s0
	v_add_co_u32 v25, s0, v6, v18
	v_add_co_ci_u32_e64 v26, null, 0, v7, s0
	;; [unrolled: 2-line block ×4, first 2 shown]
	s_clause 0x4
	global_load_dword v55, v[27:28], off offset:48
	global_load_dword v54, v[27:28], off offset:64
	;; [unrolled: 1-line block ×4, first 2 shown]
	global_load_dword v25, v[6:7], off
	s_clause 0x5
	global_load_dword v27, v[4:5], off offset:-36
	global_load_dword v30, v[33:34], off offset:-32
	;; [unrolled: 1-line block ×3, first 2 shown]
	global_load_dword v26, v[4:5], off
	global_load_dword v28, v[33:34], off offset:4
	global_load_dword v31, v[33:34], off offset:20
	v_add_co_u32 v6, s0, v6, v21
	v_add_co_ci_u32_e64 v7, null, 0, v7, s0
	s_and_saveexec_b32 s0, vcc_lo
	s_xor_b32 s0, exec_lo, s0
	s_cbranch_execz .LBB142_5
; %bb.4:                                ;   in Loop: Header=BB142_3 Depth=1
	s_clause 0x1
	global_load_ushort v29, v[6:7], off offset:8
	global_load_ushort v33, v[6:7], off offset:4
	s_waitcnt vmcnt(1)
	v_mov_b32_e32 v34, v29
	s_waitcnt vmcnt(0)
	v_perm_b32 v64, v29, v33, 0x5040100
	global_load_short_d16_hi v34, v[6:7], off
	v_pk_lshrrev_b16 v29, 2, v64
	v_and_b32_e32 v29, 0xf0f3030, v29
	s_waitcnt vmcnt(0)
	v_pk_lshrrev_b16 v33, 0x20004, v34
	v_and_or_b32 v29, 0x30300f0f, v33, v29
.LBB142_5:                              ;   in Loop: Header=BB142_3 Depth=1
	s_andn2_saveexec_b32 s0, s0
	s_cbranch_execz .LBB142_7
; %bb.6:                                ;   in Loop: Header=BB142_3 Depth=1
	s_clause 0x1
	global_load_ushort v33, v[6:7], off offset:4
	global_load_ushort v34, v[6:7], off offset:8
	s_waitcnt vmcnt(0)
	v_perm_b32 v29, v33, v34, 0x5040100
	v_perm_b32 v64, v34, v33, 0x5040100
	v_and_b32_e32 v29, 0x3f3f3f3f, v29
.LBB142_7:                              ;   in Loop: Header=BB142_3 Depth=1
	s_or_b32 exec_lo, exec_lo, s0
	v_add_nc_u32_e32 v33, s13, v20
	v_lshlrev_b32_e32 v49, 2, v16
	v_and_b32_sdwa v50, v64, v22 dst_sel:DWORD dst_unused:UNUSED_PAD src0_sel:WORD_1 src1_sel:DWORD
	v_lshrrev_b16 v75, 2, v64
	v_mad_u64_u32 v[38:39], null, v33, 36, v[2:3]
	v_add_co_u32 v41, s0, v38, v49
	v_add_co_ci_u32_e64 v42, null, 0, v39, s0
	s_clause 0x5
	global_load_dword v34, v[38:39], off
	global_load_dword v37, v[41:42], off offset:4
	global_load_dword v40, v[41:42], off offset:20
	;; [unrolled: 1-line block ×5, first 2 shown]
	v_lshrrev_b32_e32 v38, 20, v64
                                        ; implicit-def: $vgpr39
	v_and_b32_e32 v53, 0xf0f, v38
                                        ; implicit-def: $vgpr38
	s_and_saveexec_b32 s0, vcc_lo
	s_xor_b32 s0, exec_lo, s0
	s_cbranch_execz .LBB142_9
; %bb.8:                                ;   in Loop: Header=BB142_3 Depth=1
	global_load_ushort v38, v[6:7], off
	v_and_b32_e32 v41, 0x3030, v75
	s_waitcnt vmcnt(0)
	v_lshrrev_b16 v38, 2, v38
	v_and_b32_e32 v38, 0x3030, v38
	v_or_b32_e32 v39, v38, v50
	v_or_b32_e32 v38, v41, v53
.LBB142_9:                              ;   in Loop: Header=BB142_3 Depth=1
	s_or_saveexec_b32 s0, s0
	v_and_b32_e32 v66, 0x3f3f, v64
	v_and_b32_sdwa v67, v64, v23 dst_sel:DWORD dst_unused:UNUSED_PAD src0_sel:WORD_1 src1_sel:DWORD
	s_xor_b32 exec_lo, exec_lo, s0
; %bb.10:                               ;   in Loop: Header=BB142_3 Depth=1
	v_and_b32_e32 v39, 0x3f3f, v64
	v_and_b32_sdwa v38, v64, v23 dst_sel:DWORD dst_unused:UNUSED_PAD src0_sel:WORD_1 src1_sel:DWORD
; %bb.11:                               ;   in Loop: Header=BB142_3 Depth=1
	s_or_b32 exec_lo, exec_lo, s0
	v_add_nc_u32_e32 v41, s11, v20
	v_mad_u64_u32 v[43:44], null, v41, 36, v[2:3]
	v_add_co_u32 v51, s0, v43, v49
	v_add_co_ci_u32_e64 v52, null, 0, v44, s0
	s_clause 0x5
	global_load_dword v42, v[43:44], off
	global_load_dword v47, v[51:52], off offset:4
	global_load_dword v48, v[51:52], off offset:20
	;; [unrolled: 1-line block ×5, first 2 shown]
                                        ; implicit-def: $vgpr43
                                        ; implicit-def: $vgpr44
	s_and_saveexec_b32 s0, vcc_lo
	s_xor_b32 s0, exec_lo, s0
	s_cbranch_execz .LBB142_13
; %bb.12:                               ;   in Loop: Header=BB142_3 Depth=1
	global_load_ushort v43, v[6:7], off
	v_and_b32_e32 v44, 0x3030, v75
	v_or_b32_e32 v44, v44, v53
	s_waitcnt vmcnt(0)
	v_lshrrev_b16 v43, 2, v43
	v_and_b32_e32 v43, 0x3030, v43
	v_or_b32_e32 v43, v43, v50
.LBB142_13:                             ;   in Loop: Header=BB142_3 Depth=1
	s_andn2_saveexec_b32 s0, s0
; %bb.14:                               ;   in Loop: Header=BB142_3 Depth=1
	v_and_b32_e32 v43, 0x3f3f, v64
	v_and_b32_sdwa v44, v64, v23 dst_sel:DWORD dst_unused:UNUSED_PAD src0_sel:WORD_1 src1_sel:DWORD
; %bb.15:                               ;   in Loop: Header=BB142_3 Depth=1
	s_or_b32 exec_lo, exec_lo, s0
	v_add_nc_u32_e32 v51, s12, v20
                                        ; implicit-def: $vgpr61
	v_mad_u64_u32 v[68:69], null, v51, 36, v[2:3]
	v_add_co_u32 v59, s0, v68, v49
	v_add_co_ci_u32_e64 v60, null, 0, v69, s0
	s_clause 0x5
	global_load_dword v51, v[68:69], off
	global_load_dword v62, v[59:60], off offset:4
	global_load_dword v63, v[59:60], off offset:20
	;; [unrolled: 1-line block ×5, first 2 shown]
                                        ; implicit-def: $vgpr59
	s_and_saveexec_b32 s0, vcc_lo
	s_xor_b32 s0, exec_lo, s0
	s_cbranch_execz .LBB142_17
; %bb.16:                               ;   in Loop: Header=BB142_3 Depth=1
	global_load_ushort v59, v[6:7], off
	v_and_b32_e32 v61, 0x3030, v75
	v_or_b32_e32 v61, v61, v53
	s_waitcnt vmcnt(0)
	v_lshrrev_b16 v59, 2, v59
	v_and_b32_e32 v59, 0x3030, v59
	v_or_b32_e32 v59, v59, v50
.LBB142_17:                             ;   in Loop: Header=BB142_3 Depth=1
	s_andn2_saveexec_b32 s0, s0
; %bb.18:                               ;   in Loop: Header=BB142_3 Depth=1
	v_and_b32_e32 v59, 0x3f3f, v64
	v_and_b32_sdwa v61, v64, v23 dst_sel:DWORD dst_unused:UNUSED_PAD src0_sel:WORD_1 src1_sel:DWORD
; %bb.19:                               ;   in Loop: Header=BB142_3 Depth=1
	s_or_b32 exec_lo, exec_lo, s0
	v_add_nc_u32_e32 v65, s15, v20
                                        ; implicit-def: $vgpr72
	v_mad_u64_u32 v[76:77], null, v65, 36, v[2:3]
	v_add_co_u32 v70, s0, v76, v49
	v_add_co_ci_u32_e64 v71, null, 0, v77, s0
	s_clause 0x5
	global_load_dword v68, v[76:77], off
	global_load_dword v73, v[70:71], off offset:4
	global_load_dword v74, v[70:71], off offset:20
	;; [unrolled: 1-line block ×5, first 2 shown]
                                        ; implicit-def: $vgpr70
	s_and_saveexec_b32 s0, vcc_lo
	s_xor_b32 s0, exec_lo, s0
	s_cbranch_execz .LBB142_21
; %bb.20:                               ;   in Loop: Header=BB142_3 Depth=1
	global_load_ushort v70, v[6:7], off
	v_and_b32_e32 v76, 0x3030, v75
	s_waitcnt vmcnt(0)
	v_lshrrev_b16 v70, 2, v70
	v_and_b32_e32 v70, 0x3030, v70
	v_or_b32_e32 v72, v70, v50
	v_or_b32_e32 v70, v76, v53
.LBB142_21:                             ;   in Loop: Header=BB142_3 Depth=1
	s_andn2_saveexec_b32 s0, s0
; %bb.22:                               ;   in Loop: Header=BB142_3 Depth=1
	v_and_b32_e32 v72, 0x3f3f, v64
	v_and_b32_sdwa v70, v64, v23 dst_sel:DWORD dst_unused:UNUSED_PAD src0_sel:WORD_1 src1_sel:DWORD
; %bb.23:                               ;   in Loop: Header=BB142_3 Depth=1
	s_or_b32 exec_lo, exec_lo, s0
	v_add_nc_u32_e32 v76, s16, v20
	v_mad_u64_u32 v[78:79], null, v76, 36, v[2:3]
	v_add_co_u32 v82, s0, v78, v49
	v_add_co_ci_u32_e64 v83, null, 0, v79, s0
	s_clause 0x5
	global_load_dword v77, v[78:79], off
	global_load_dword v81, v[82:83], off offset:4
	global_load_dword v84, v[82:83], off offset:20
	;; [unrolled: 1-line block ×5, first 2 shown]
	s_and_saveexec_b32 s0, vcc_lo
	s_xor_b32 s0, exec_lo, s0
	s_cbranch_execz .LBB142_25
; %bb.24:                               ;   in Loop: Header=BB142_3 Depth=1
	global_load_ushort v66, v[6:7], off
	v_and_b32_e32 v67, 0x3030, v75
	v_or_b32_e32 v67, v67, v53
	s_waitcnt vmcnt(0)
	v_lshrrev_b16 v66, 2, v66
	v_and_b32_e32 v66, 0x3030, v66
	v_or_b32_e32 v66, v66, v50
.LBB142_25:                             ;   in Loop: Header=BB142_3 Depth=1
	s_andn2_saveexec_b32 s0, s0
	s_or_b32 exec_lo, exec_lo, s0
	v_add_nc_u32_e32 v50, s19, v20
                                        ; implicit-def: $vgpr53
	v_mad_u64_u32 v[85:86], null, v50, 36, v[2:3]
	v_add_co_u32 v87, s0, v85, v49
	v_add_co_ci_u32_e64 v88, null, 0, v86, s0
	s_clause 0x5
	global_load_dword v49, v[85:86], off
	global_load_dword v75, v[87:88], off offset:4
	global_load_dword v83, v[87:88], off offset:20
	;; [unrolled: 1-line block ×5, first 2 shown]
	s_and_saveexec_b32 s0, vcc_lo
	s_xor_b32 s0, exec_lo, s0
	s_cbranch_execz .LBB142_27
; %bb.26:                               ;   in Loop: Header=BB142_3 Depth=1
	global_load_ushort v6, v[6:7], off
	v_pk_lshrrev_b16 v7, 4, v64 op_sel:[1,1] op_sel_hi:[0,1]
	v_and_b32_e32 v7, 0xf0f0f0f, v7
	s_waitcnt vmcnt(0)
	v_perm_b32 v6, v64, v6, 0x5040100
                                        ; implicit-def: $vgpr64
	v_pk_lshrrev_b16 v6, 2, v6 op_sel_hi:[0,1]
	v_and_or_b32 v53, 0x30303030, v6, v7
.LBB142_27:                             ;   in Loop: Header=BB142_3 Depth=1
	s_andn2_saveexec_b32 s0, s0
	s_cbranch_execz .LBB142_2
; %bb.28:                               ;   in Loop: Header=BB142_3 Depth=1
	v_and_b32_e32 v53, 0x3f3f3f3f, v64
	s_branch .LBB142_2
.LBB142_29:
	s_or_b32 exec_lo, exec_lo, s17
.LBB142_30:
	s_or_b32 exec_lo, exec_lo, s9
	s_mov_b32 s1, 0
	; wave barrier
	buffer_gl0_inv
	s_mov_b32 s0, exec_lo
	v_cmpx_eq_u32_e32 0, v1
	s_cbranch_execz .LBB142_45
; %bb.31:
	v_mbcnt_lo_u32_b32 v5, -1, 0
	s_load_dwordx2 s[4:5], s[4:5], 0x38
	s_mul_i32 s0, s2, s7
	s_mul_i32 s2, s18, s8
	s_add_i32 s0, s0, s6
	v_xor_b32_e32 v1, 16, v5
	v_xor_b32_e32 v2, 8, v5
	;; [unrolled: 1-line block ×3, first 2 shown]
	s_add_i32 s0, s0, s2
	s_lshl_b64 s[0:1], s[0:1], 2
	v_cmp_gt_i32_e32 vcc_lo, 32, v1
	v_cndmask_b32_e32 v1, v5, v1, vcc_lo
	v_cmp_gt_i32_e32 vcc_lo, 32, v2
	v_lshlrev_b32_e32 v1, 2, v1
	v_cndmask_b32_e32 v2, v5, v2, vcc_lo
	s_waitcnt lgkmcnt(0)
	s_add_u32 s0, s4, s0
	s_addc_u32 s1, s5, s1
	ds_bpermute_b32 v3, v1, v15
	v_lshlrev_b32_e32 v2, 2, v2
	s_waitcnt lgkmcnt(0)
	v_add_f32_e32 v4, v15, v3
	v_xor_b32_e32 v3, 4, v5
	ds_bpermute_b32 v6, v2, v4
	v_cmp_gt_i32_e32 vcc_lo, 32, v3
	v_cndmask_b32_e32 v3, v5, v3, vcc_lo
	v_lshlrev_b32_e32 v3, 2, v3
	s_waitcnt lgkmcnt(0)
	v_add_f32_e32 v6, v4, v6
	v_xor_b32_e32 v4, 2, v5
	ds_bpermute_b32 v7, v3, v6
	v_cmp_gt_i32_e32 vcc_lo, 32, v4
	v_cndmask_b32_e32 v4, v5, v4, vcc_lo
	v_cmp_gt_i32_e32 vcc_lo, 32, v14
	v_lshlrev_b32_e32 v4, 2, v4
	v_cndmask_b32_e32 v5, v5, v14, vcc_lo
	v_cmp_eq_u32_e32 vcc_lo, 0, v0
	v_lshlrev_b32_e32 v5, 2, v5
	s_waitcnt lgkmcnt(0)
	v_add_f32_e32 v6, v6, v7
	ds_bpermute_b32 v7, v4, v6
	s_waitcnt lgkmcnt(0)
	v_add_f32_e32 v6, v6, v7
	ds_bpermute_b32 v7, v5, v6
	s_and_saveexec_b32 s2, vcc_lo
	s_cbranch_execz .LBB142_33
; %bb.32:
	s_waitcnt lgkmcnt(0)
	v_add_f32_e32 v0, v6, v7
	v_mov_b32_e32 v6, 0
	global_store_dword v6, v0, s[0:1]
.LBB142_33:
	s_or_b32 exec_lo, exec_lo, s2
	ds_bpermute_b32 v0, v1, v13
	s_waitcnt lgkmcnt(0)
	v_add_f32_e32 v0, v13, v0
	ds_bpermute_b32 v6, v2, v0
	s_waitcnt lgkmcnt(0)
	v_add_f32_e32 v0, v0, v6
	;; [unrolled: 3-line block ×4, first 2 shown]
	ds_bpermute_b32 v6, v5, v0
	s_and_saveexec_b32 s2, vcc_lo
	s_cbranch_execz .LBB142_35
; %bb.34:
	s_mov_b32 s15, 0
	s_waitcnt lgkmcnt(0)
	v_add_f32_e32 v0, v0, v6
	s_lshl_b64 s[4:5], s[14:15], 2
	v_mov_b32_e32 v6, 0
	s_add_u32 s4, s0, s4
	s_addc_u32 s5, s1, s5
	global_store_dword v6, v0, s[4:5]
.LBB142_35:
	s_or_b32 exec_lo, exec_lo, s2
	ds_bpermute_b32 v0, v1, v12
	s_waitcnt lgkmcnt(0)
	v_add_f32_e32 v0, v12, v0
	ds_bpermute_b32 v6, v2, v0
	s_waitcnt lgkmcnt(0)
	v_add_f32_e32 v0, v0, v6
	;; [unrolled: 3-line block ×4, first 2 shown]
	ds_bpermute_b32 v6, v5, v0
	s_and_saveexec_b32 s2, vcc_lo
	s_cbranch_execz .LBB142_37
; %bb.36:
	s_lshl_b32 s4, s14, 1
	s_mov_b32 s5, 0
	s_waitcnt lgkmcnt(0)
	v_add_f32_e32 v0, v0, v6
	s_lshl_b64 s[4:5], s[4:5], 2
	v_mov_b32_e32 v6, 0
	s_add_u32 s4, s0, s4
	s_addc_u32 s5, s1, s5
	global_store_dword v6, v0, s[4:5]
.LBB142_37:
	s_or_b32 exec_lo, exec_lo, s2
	ds_bpermute_b32 v0, v1, v11
	s_waitcnt lgkmcnt(0)
	v_add_f32_e32 v0, v11, v0
	ds_bpermute_b32 v6, v2, v0
	s_waitcnt lgkmcnt(0)
	v_add_f32_e32 v0, v0, v6
	;; [unrolled: 3-line block ×4, first 2 shown]
	ds_bpermute_b32 v6, v5, v0
	s_and_saveexec_b32 s2, vcc_lo
	s_cbranch_execz .LBB142_39
; %bb.38:
	s_mul_i32 s4, s14, 3
	s_mov_b32 s5, 0
	s_waitcnt lgkmcnt(0)
	v_add_f32_e32 v0, v0, v6
	s_lshl_b64 s[4:5], s[4:5], 2
	v_mov_b32_e32 v6, 0
	s_add_u32 s4, s0, s4
	s_addc_u32 s5, s1, s5
	global_store_dword v6, v0, s[4:5]
.LBB142_39:
	s_or_b32 exec_lo, exec_lo, s2
	ds_bpermute_b32 v0, v1, v10
	s_waitcnt lgkmcnt(0)
	v_add_f32_e32 v0, v10, v0
	ds_bpermute_b32 v6, v2, v0
	s_waitcnt lgkmcnt(0)
	v_add_f32_e32 v0, v0, v6
	;; [unrolled: 3-line block ×4, first 2 shown]
	ds_bpermute_b32 v6, v5, v0
	s_and_saveexec_b32 s2, vcc_lo
	s_cbranch_execz .LBB142_41
; %bb.40:
	s_lshl_b32 s4, s14, 2
	s_mov_b32 s5, 0
	s_waitcnt lgkmcnt(0)
	v_add_f32_e32 v0, v0, v6
	s_lshl_b64 s[4:5], s[4:5], 2
	v_mov_b32_e32 v6, 0
	s_add_u32 s4, s0, s4
	s_addc_u32 s5, s1, s5
	global_store_dword v6, v0, s[4:5]
.LBB142_41:
	s_or_b32 exec_lo, exec_lo, s2
	ds_bpermute_b32 v0, v1, v9
	s_waitcnt lgkmcnt(0)
	v_add_f32_e32 v0, v9, v0
	ds_bpermute_b32 v6, v2, v0
	s_waitcnt lgkmcnt(0)
	v_add_f32_e32 v0, v0, v6
	;; [unrolled: 3-line block ×4, first 2 shown]
	ds_bpermute_b32 v6, v5, v0
	s_and_saveexec_b32 s2, vcc_lo
	s_cbranch_execz .LBB142_43
; %bb.42:
	s_mul_i32 s4, s14, 5
	s_mov_b32 s5, 0
	s_waitcnt lgkmcnt(0)
	v_add_f32_e32 v0, v0, v6
	s_lshl_b64 s[4:5], s[4:5], 2
	v_mov_b32_e32 v6, 0
	s_add_u32 s4, s0, s4
	s_addc_u32 s5, s1, s5
	global_store_dword v6, v0, s[4:5]
.LBB142_43:
	s_or_b32 exec_lo, exec_lo, s2
	ds_bpermute_b32 v0, v1, v8
	s_waitcnt lgkmcnt(0)
	v_add_f32_e32 v0, v8, v0
	ds_bpermute_b32 v1, v2, v0
	s_waitcnt lgkmcnt(0)
	v_add_f32_e32 v0, v0, v1
	;; [unrolled: 3-line block ×4, first 2 shown]
	ds_bpermute_b32 v1, v5, v0
	s_and_b32 exec_lo, exec_lo, vcc_lo
	s_cbranch_execz .LBB142_45
; %bb.44:
	s_mul_i32 s2, s14, 6
	s_mov_b32 s3, 0
	s_waitcnt lgkmcnt(0)
	v_add_f32_e32 v0, v0, v1
	s_lshl_b64 s[2:3], s[2:3], 2
	v_mov_b32_e32 v1, 0
	s_add_u32 s0, s0, s2
	s_addc_u32 s1, s1, s3
	global_store_dword v1, v0, s[0:1]
.LBB142_45:
	s_endpgm
	.section	.rodata,"a",@progbits
	.p2align	6, 0x0
	.amdhsa_kernel _ZL13mul_mat_vec_qIL9ggml_type13ELi7ELb0ELb0EEvPKvS2_PKi31ggml_cuda_mm_fusion_args_devicePfj15HIP_vector_typeIjLj3EEjjjS8_jjjS8_jjjj
		.amdhsa_group_segment_fixed_size 0
		.amdhsa_private_segment_fixed_size 0
		.amdhsa_kernarg_size 144
		.amdhsa_user_sgpr_count 6
		.amdhsa_user_sgpr_private_segment_buffer 1
		.amdhsa_user_sgpr_dispatch_ptr 0
		.amdhsa_user_sgpr_queue_ptr 0
		.amdhsa_user_sgpr_kernarg_segment_ptr 1
		.amdhsa_user_sgpr_dispatch_id 0
		.amdhsa_user_sgpr_flat_scratch_init 0
		.amdhsa_user_sgpr_private_segment_size 0
		.amdhsa_wavefront_size32 1
		.amdhsa_uses_dynamic_stack 0
		.amdhsa_system_sgpr_private_segment_wavefront_offset 0
		.amdhsa_system_sgpr_workgroup_id_x 1
		.amdhsa_system_sgpr_workgroup_id_y 1
		.amdhsa_system_sgpr_workgroup_id_z 1
		.amdhsa_system_sgpr_workgroup_info 0
		.amdhsa_system_vgpr_workitem_id 1
		.amdhsa_next_free_vgpr 89
		.amdhsa_next_free_sgpr 26
		.amdhsa_reserve_vcc 1
		.amdhsa_reserve_flat_scratch 0
		.amdhsa_float_round_mode_32 0
		.amdhsa_float_round_mode_16_64 0
		.amdhsa_float_denorm_mode_32 3
		.amdhsa_float_denorm_mode_16_64 3
		.amdhsa_dx10_clamp 1
		.amdhsa_ieee_mode 1
		.amdhsa_fp16_overflow 0
		.amdhsa_workgroup_processor_mode 1
		.amdhsa_memory_ordered 1
		.amdhsa_forward_progress 1
		.amdhsa_shared_vgpr_count 0
		.amdhsa_exception_fp_ieee_invalid_op 0
		.amdhsa_exception_fp_denorm_src 0
		.amdhsa_exception_fp_ieee_div_zero 0
		.amdhsa_exception_fp_ieee_overflow 0
		.amdhsa_exception_fp_ieee_underflow 0
		.amdhsa_exception_fp_ieee_inexact 0
		.amdhsa_exception_int_div_zero 0
	.end_amdhsa_kernel
	.section	.text._ZL13mul_mat_vec_qIL9ggml_type13ELi7ELb0ELb0EEvPKvS2_PKi31ggml_cuda_mm_fusion_args_devicePfj15HIP_vector_typeIjLj3EEjjjS8_jjjS8_jjjj,"axG",@progbits,_ZL13mul_mat_vec_qIL9ggml_type13ELi7ELb0ELb0EEvPKvS2_PKi31ggml_cuda_mm_fusion_args_devicePfj15HIP_vector_typeIjLj3EEjjjS8_jjjS8_jjjj,comdat
.Lfunc_end142:
	.size	_ZL13mul_mat_vec_qIL9ggml_type13ELi7ELb0ELb0EEvPKvS2_PKi31ggml_cuda_mm_fusion_args_devicePfj15HIP_vector_typeIjLj3EEjjjS8_jjjS8_jjjj, .Lfunc_end142-_ZL13mul_mat_vec_qIL9ggml_type13ELi7ELb0ELb0EEvPKvS2_PKi31ggml_cuda_mm_fusion_args_devicePfj15HIP_vector_typeIjLj3EEjjjS8_jjjS8_jjjj
                                        ; -- End function
	.set _ZL13mul_mat_vec_qIL9ggml_type13ELi7ELb0ELb0EEvPKvS2_PKi31ggml_cuda_mm_fusion_args_devicePfj15HIP_vector_typeIjLj3EEjjjS8_jjjS8_jjjj.num_vgpr, 89
	.set _ZL13mul_mat_vec_qIL9ggml_type13ELi7ELb0ELb0EEvPKvS2_PKi31ggml_cuda_mm_fusion_args_devicePfj15HIP_vector_typeIjLj3EEjjjS8_jjjS8_jjjj.num_agpr, 0
	.set _ZL13mul_mat_vec_qIL9ggml_type13ELi7ELb0ELb0EEvPKvS2_PKi31ggml_cuda_mm_fusion_args_devicePfj15HIP_vector_typeIjLj3EEjjjS8_jjjS8_jjjj.numbered_sgpr, 26
	.set _ZL13mul_mat_vec_qIL9ggml_type13ELi7ELb0ELb0EEvPKvS2_PKi31ggml_cuda_mm_fusion_args_devicePfj15HIP_vector_typeIjLj3EEjjjS8_jjjS8_jjjj.num_named_barrier, 0
	.set _ZL13mul_mat_vec_qIL9ggml_type13ELi7ELb0ELb0EEvPKvS2_PKi31ggml_cuda_mm_fusion_args_devicePfj15HIP_vector_typeIjLj3EEjjjS8_jjjS8_jjjj.private_seg_size, 0
	.set _ZL13mul_mat_vec_qIL9ggml_type13ELi7ELb0ELb0EEvPKvS2_PKi31ggml_cuda_mm_fusion_args_devicePfj15HIP_vector_typeIjLj3EEjjjS8_jjjS8_jjjj.uses_vcc, 1
	.set _ZL13mul_mat_vec_qIL9ggml_type13ELi7ELb0ELb0EEvPKvS2_PKi31ggml_cuda_mm_fusion_args_devicePfj15HIP_vector_typeIjLj3EEjjjS8_jjjS8_jjjj.uses_flat_scratch, 0
	.set _ZL13mul_mat_vec_qIL9ggml_type13ELi7ELb0ELb0EEvPKvS2_PKi31ggml_cuda_mm_fusion_args_devicePfj15HIP_vector_typeIjLj3EEjjjS8_jjjS8_jjjj.has_dyn_sized_stack, 0
	.set _ZL13mul_mat_vec_qIL9ggml_type13ELi7ELb0ELb0EEvPKvS2_PKi31ggml_cuda_mm_fusion_args_devicePfj15HIP_vector_typeIjLj3EEjjjS8_jjjS8_jjjj.has_recursion, 0
	.set _ZL13mul_mat_vec_qIL9ggml_type13ELi7ELb0ELb0EEvPKvS2_PKi31ggml_cuda_mm_fusion_args_devicePfj15HIP_vector_typeIjLj3EEjjjS8_jjjS8_jjjj.has_indirect_call, 0
	.section	.AMDGPU.csdata,"",@progbits
; Kernel info:
; codeLenInByte = 4348
; TotalNumSgprs: 28
; NumVgprs: 89
; ScratchSize: 0
; MemoryBound: 0
; FloatMode: 240
; IeeeMode: 1
; LDSByteSize: 0 bytes/workgroup (compile time only)
; SGPRBlocks: 0
; VGPRBlocks: 11
; NumSGPRsForWavesPerEU: 28
; NumVGPRsForWavesPerEU: 89
; Occupancy: 10
; WaveLimiterHint : 0
; COMPUTE_PGM_RSRC2:SCRATCH_EN: 0
; COMPUTE_PGM_RSRC2:USER_SGPR: 6
; COMPUTE_PGM_RSRC2:TRAP_HANDLER: 0
; COMPUTE_PGM_RSRC2:TGID_X_EN: 1
; COMPUTE_PGM_RSRC2:TGID_Y_EN: 1
; COMPUTE_PGM_RSRC2:TGID_Z_EN: 1
; COMPUTE_PGM_RSRC2:TIDIG_COMP_CNT: 1
	.section	.text._ZL13mul_mat_vec_qIL9ggml_type13ELi8ELb0ELb0EEvPKvS2_PKi31ggml_cuda_mm_fusion_args_devicePfj15HIP_vector_typeIjLj3EEjjjS8_jjjS8_jjjj,"axG",@progbits,_ZL13mul_mat_vec_qIL9ggml_type13ELi8ELb0ELb0EEvPKvS2_PKi31ggml_cuda_mm_fusion_args_devicePfj15HIP_vector_typeIjLj3EEjjjS8_jjjS8_jjjj,comdat
	.globl	_ZL13mul_mat_vec_qIL9ggml_type13ELi8ELb0ELb0EEvPKvS2_PKi31ggml_cuda_mm_fusion_args_devicePfj15HIP_vector_typeIjLj3EEjjjS8_jjjS8_jjjj ; -- Begin function _ZL13mul_mat_vec_qIL9ggml_type13ELi8ELb0ELb0EEvPKvS2_PKi31ggml_cuda_mm_fusion_args_devicePfj15HIP_vector_typeIjLj3EEjjjS8_jjjS8_jjjj
	.p2align	8
	.type	_ZL13mul_mat_vec_qIL9ggml_type13ELi8ELb0ELb0EEvPKvS2_PKi31ggml_cuda_mm_fusion_args_devicePfj15HIP_vector_typeIjLj3EEjjjS8_jjjS8_jjjj,@function
_ZL13mul_mat_vec_qIL9ggml_type13ELi8ELb0ELb0EEvPKvS2_PKi31ggml_cuda_mm_fusion_args_devicePfj15HIP_vector_typeIjLj3EEjjjS8_jjjS8_jjjj: ; @_ZL13mul_mat_vec_qIL9ggml_type13ELi8ELb0ELb0EEvPKvS2_PKi31ggml_cuda_mm_fusion_args_devicePfj15HIP_vector_typeIjLj3EEjjjS8_jjjS8_jjjj
; %bb.0:
	s_clause 0x5
	s_load_dword s9, s[4:5], 0x40
	s_load_dwordx4 s[0:3], s[4:5], 0x50
	s_load_dword s11, s[4:5], 0x60
	s_load_dwordx4 s[12:15], s[4:5], 0x68
	;; [unrolled: 2-line block ×3, first 2 shown]
	v_lshl_or_b32 v2, v1, 5, v0
	v_mov_b32_e32 v8, 0
	v_mov_b32_e32 v9, 0
	;; [unrolled: 1-line block ×4, first 2 shown]
	v_lshrrev_b32_e32 v15, 4, v2
	v_mov_b32_e32 v12, 0
	v_mov_b32_e32 v13, 0
	;; [unrolled: 1-line block ×4, first 2 shown]
	s_waitcnt lgkmcnt(0)
	s_lshr_b32 s10, s9, 8
	s_mov_b32 s9, exec_lo
	v_cmpx_gt_u32_e64 s10, v15
	s_cbranch_execz .LBB143_34
; %bb.1:
	s_load_dwordx4 s[20:23], s[4:5], 0x0
	v_bfe_u32 v2, v0, 2, 2
	v_lshlrev_b32_e32 v4, 1, v0
	s_mul_hi_u32 s3, s3, s7
	s_mul_hi_u32 s15, s15, s8
	s_mul_i32 s17, s17, s8
	v_mul_hi_u32_u24_e32 v3, 0x48, v2
	v_mul_u32_u24_e32 v2, 0x48, v2
	s_add_i32 s3, s7, s3
	s_add_i32 s15, s8, s15
	s_mul_i32 s13, s13, s7
	s_mul_hi_u32 s19, s17, 36
	v_mad_u64_u32 v[2:3], null, 0x120, v15, v[2:3]
	s_mul_i32 s17, s17, 36
	s_lshr_b32 s3, s3, s11
	v_bfe_u32 v6, v4, 3, 2
	s_lshr_b32 s11, s15, s24
	s_mul_hi_u32 s25, s13, 36
	s_mul_i32 s13, s13, 36
	s_mul_i32 s3, s3, s12
	s_waitcnt lgkmcnt(0)
	s_add_u32 s12, s22, s17
	v_and_b32_e32 v5, 30, v4
	s_addc_u32 s15, s23, s19
	s_mul_i32 s0, s0, s6
	s_add_u32 s12, s12, s13
	v_lshlrev_b32_e32 v20, 1, v6
	s_addc_u32 s13, s15, s25
	s_add_i32 s3, s3, s0
	v_add_co_u32 v4, s0, s12, v2
	v_and_b32_e32 v17, 3, v0
	v_cmp_lt_u32_e32 vcc_lo, 15, v5
	v_add_co_ci_u32_e64 v5, null, s13, v3, s0
	v_mad_u64_u32 v[2:3], null, v20, 36, s[12:13]
	v_add_co_u32 v4, s0, v4, 36
	v_lshlrev_b32_e32 v18, 5, v6
	v_mov_b32_e32 v8, 0
	v_lshlrev_b32_e32 v19, 2, v17
	v_add_co_ci_u32_e64 v5, null, 0, v5, s0
	v_lshlrev_b32_e32 v21, 3, v15
	v_lshlrev_b32_e32 v22, 1, v6
	v_mov_b32_e32 v23, 0xf0f
	v_mov_b32_e32 v24, 0x3f3f
	;; [unrolled: 1-line block ×10, first 2 shown]
	s_mul_i32 s11, s11, s16
	s_mul_i32 s12, s1, 3
	s_add_i32 s3, s11, s3
	s_lshl_b32 s11, s1, 1
	s_lshl_b32 s13, s1, 2
	s_mul_i32 s15, s1, 5
	s_mul_i32 s16, s1, 6
	s_mul_i32 s19, s1, 7
	s_mov_b32 s17, 0
	s_branch .LBB143_3
.LBB143_2:                              ;   in Loop: Header=BB143_3 Depth=1
	s_or_b32 exec_lo, exec_lo, s0
	s_waitcnt vmcnt(49)
	v_ashrrev_i32_e32 v6, v20, v63
	v_ashrrev_i32_e32 v7, v20, v61
	v_and_b32_e32 v61, 0xf0f0f0f, v68
	v_lshrrev_b32_e32 v68, 4, v68
	v_and_b32_e32 v63, 0xf0f0f0f, v62
	v_lshlrev_b32_e32 v94, 4, v6
	v_lshlrev_b32_e32 v74, 4, v7
	;; [unrolled: 1-line block ×3, first 2 shown]
	v_and_b32_e32 v68, 0xf0f0f0f, v68
	v_lshrrev_b32_e32 v62, 4, v62
	v_and_or_b32 v63, 0x10101010, v94, v63
	v_and_or_b32 v61, 0x10101010, v74, v61
	v_mov_b32_e32 v74, 0
	v_and_or_b32 v7, 0x10101010, v7, v68
	v_mov_b32_e32 v68, 0
	v_and_b32_e32 v62, 0xf0f0f0f, v62
	v_lshlrev_b32_e32 v6, 3, v6
	s_waitcnt vmcnt(9)
	v_dot4c_i32_i8 v74, 0x1010101, v93
	v_add_nc_u32_e32 v15, 2, v15
	v_dot4c_i32_i8 v68, v63, v93
	v_mov_b32_e32 v93, 0
	v_and_or_b32 v62, 0x10101010, v6, v62
	v_dot4c_i32_i8 v74, 0x1010101, v92
	v_cvt_f32_f16_sdwa v6, v26 dst_sel:DWORD dst_unused:UNUSED_PAD src0_sel:WORD_1
	v_dot4c_i32_i8 v68, v61, v92
	v_mov_b32_e32 v92, 0
	s_waitcnt vmcnt(7)
	v_dot4c_i32_i8 v93, 0x1010101, v91
	v_add_co_u32 v4, s0, 0x240, v4
	v_add_co_ci_u32_e64 v5, null, 0, v5, s0
	v_dot4c_i32_i8 v92, v62, v91
	v_and_b32_sdwa v91, v25, v75 dst_sel:DWORD dst_unused:UNUSED_PAD src0_sel:DWORD src1_sel:BYTE_1
	v_and_b32_sdwa v75, v25, v75 dst_sel:DWORD dst_unused:UNUSED_PAD src0_sel:DWORD src1_sel:BYTE_0
	v_dot4c_i32_i8 v93, 0x1010101, v90
	v_cmp_le_u32_e64 s0, s10, v15
	v_dot4c_i32_i8 v92, v7, v90
	v_and_b32_sdwa v90, v25, v73 dst_sel:DWORD dst_unused:UNUSED_PAD src0_sel:DWORD src1_sel:BYTE_1
	v_mul_lo_u32 v68, v68, v75
	v_and_b32_sdwa v73, v25, v73 dst_sel:DWORD dst_unused:UNUSED_PAD src0_sel:DWORD src1_sel:BYTE_0
	v_mov_b32_e32 v75, 0
	v_add_nc_u32_e32 v21, 16, v21
	s_or_b32 s17, s0, s17
	v_mul_lo_u32 v73, v74, v73
	v_mul_lo_u32 v74, v92, v91
	v_cvt_f32_i32_e32 v68, v68
	s_waitcnt vmcnt(1)
	v_dot4c_i32_i8 v75, 0x1010101, v87
	v_fma_mix_f32 v68, v86, v68, 0 op_sel_hi:[1,0,0]
	v_cvt_f32_i32_e32 v73, v73
	v_cvt_f32_i32_e32 v74, v74
	v_dot4c_i32_i8 v75, 0x1010101, v84
	v_fma_mix_f32 v73, v86, v73, 0 op_sel_hi:[1,0,0]
	v_fma_mix_f32 v68, v85, v74, v68 op_sel_hi:[1,0,0]
	v_mul_lo_u32 v74, v93, v90
	v_cvt_f32_i32_e32 v74, v74
	v_fma_mix_f32 v73, v85, v74, v73 op_sel_hi:[1,0,0]
	v_mov_b32_e32 v74, 0
	v_mov_b32_e32 v85, 0
	v_mul_f32_e32 v73, v73, v6
	v_dot4c_i32_i8 v74, v62, v87
	v_dot4c_i32_i8 v85, 0x1010101, v83
	v_fma_mix_f32 v68, v68, v26, -v73 op_sel_hi:[0,1,0]
	v_dot4c_i32_i8 v74, v7, v84
	v_mov_b32_e32 v84, 0
	v_dot4c_i32_i8 v85, 0x1010101, v82
	v_mov_b32_e32 v73, 0
	v_add_f32_e32 v9, v9, v68
	v_mov_b32_e32 v68, 0
	v_dot4c_i32_i8 v84, v63, v83
	v_mov_b32_e32 v83, 0
	v_dot4c_i32_i8 v73, 0x1010101, v89
	v_dot4c_i32_i8 v68, v63, v89
	;; [unrolled: 1-line block ×3, first 2 shown]
	v_mov_b32_e32 v82, 0
	v_dot4c_i32_i8 v83, 0x1010101, v80
	v_dot4c_i32_i8 v73, 0x1010101, v88
	;; [unrolled: 1-line block ×5, first 2 shown]
	v_and_b32_sdwa v80, v25, v81 dst_sel:DWORD dst_unused:UNUSED_PAD src0_sel:DWORD src1_sel:BYTE_1
	v_and_b32_sdwa v81, v25, v81 dst_sel:DWORD dst_unused:UNUSED_PAD src0_sel:DWORD src1_sel:BYTE_0
	v_dot4c_i32_i8 v82, v7, v79
	v_and_b32_sdwa v79, v25, v78 dst_sel:DWORD dst_unused:UNUSED_PAD src0_sel:DWORD src1_sel:BYTE_1
	v_and_b32_sdwa v78, v25, v78 dst_sel:DWORD dst_unused:UNUSED_PAD src0_sel:DWORD src1_sel:BYTE_0
	v_mul_lo_u32 v81, v84, v81
	v_mul_lo_u32 v79, v83, v79
	v_mul_lo_u32 v78, v85, v78
	v_cvt_f32_i32_e32 v81, v81
	v_cvt_f32_i32_e32 v79, v79
	v_cvt_f32_i32_e32 v78, v78
	v_fma_mix_f32 v81, v77, v81, 0 op_sel_hi:[1,0,0]
	v_fma_mix_f32 v77, v77, v78, 0 op_sel_hi:[1,0,0]
	v_mul_lo_u32 v78, v82, v80
	v_cvt_f32_i32_e32 v78, v78
	v_fma_mix_f32 v78, v76, v78, v81 op_sel_hi:[1,0,0]
	v_fma_mix_f32 v76, v76, v79, v77 op_sel_hi:[1,0,0]
	v_mov_b32_e32 v77, 0
	v_mul_f32_e32 v76, v76, v6
	v_dot4c_i32_i8 v77, 0x1010101, v72
	v_fma_mix_f32 v76, v78, v26, -v76 op_sel_hi:[0,1,0]
	v_dot4c_i32_i8 v77, 0x1010101, v71
	v_add_f32_e32 v10, v10, v76
	v_mov_b32_e32 v76, 0
	v_dot4c_i32_i8 v76, v63, v72
	v_mov_b32_e32 v72, 0
	v_dot4c_i32_i8 v76, v61, v71
	v_mov_b32_e32 v71, 0
	v_dot4c_i32_i8 v72, 0x1010101, v69
	v_dot4c_i32_i8 v71, v62, v69
	v_dot4c_i32_i8 v72, 0x1010101, v67
	v_and_b32_sdwa v69, v25, v70 dst_sel:DWORD dst_unused:UNUSED_PAD src0_sel:DWORD src1_sel:BYTE_1
	v_and_b32_sdwa v70, v25, v70 dst_sel:DWORD dst_unused:UNUSED_PAD src0_sel:DWORD src1_sel:BYTE_0
	v_dot4c_i32_i8 v71, v7, v67
	v_and_b32_sdwa v67, v25, v66 dst_sel:DWORD dst_unused:UNUSED_PAD src0_sel:DWORD src1_sel:BYTE_1
	v_and_b32_sdwa v66, v25, v66 dst_sel:DWORD dst_unused:UNUSED_PAD src0_sel:DWORD src1_sel:BYTE_0
	v_mul_lo_u32 v70, v76, v70
	v_mul_lo_u32 v67, v72, v67
	v_mul_lo_u32 v66, v77, v66
	v_cvt_f32_i32_e32 v70, v70
	v_cvt_f32_i32_e32 v67, v67
	v_cvt_f32_i32_e32 v66, v66
	v_fma_mix_f32 v70, v65, v70, 0 op_sel_hi:[1,0,0]
	v_fma_mix_f32 v65, v65, v66, 0 op_sel_hi:[1,0,0]
	v_mul_lo_u32 v66, v71, v69
	v_cvt_f32_i32_e32 v66, v66
	v_fma_mix_f32 v66, v64, v66, v70 op_sel_hi:[1,0,0]
	v_fma_mix_f32 v64, v64, v67, v65 op_sel_hi:[1,0,0]
	v_mov_b32_e32 v65, 0
	v_mul_f32_e32 v64, v64, v6
	v_dot4c_i32_i8 v65, 0x1010101, v60
	v_fma_mix_f32 v64, v66, v26, -v64 op_sel_hi:[0,1,0]
	v_dot4c_i32_i8 v65, 0x1010101, v59
	v_add_f32_e32 v11, v11, v64
	v_mov_b32_e32 v64, 0
	v_dot4c_i32_i8 v64, v63, v60
	v_mov_b32_e32 v60, 0
	v_dot4c_i32_i8 v64, v61, v59
	v_mov_b32_e32 v59, 0
	v_dot4c_i32_i8 v60, 0x1010101, v58
	v_dot4c_i32_i8 v59, v62, v58
	v_dot4c_i32_i8 v60, 0x1010101, v56
	;; [unrolled: 31-line block ×3, first 2 shown]
	v_and_b32_sdwa v47, v25, v45 dst_sel:DWORD dst_unused:UNUSED_PAD src0_sel:DWORD src1_sel:BYTE_1
	v_and_b32_sdwa v45, v25, v45 dst_sel:DWORD dst_unused:UNUSED_PAD src0_sel:DWORD src1_sel:BYTE_0
	v_dot4c_i32_i8 v48, v7, v46
	v_and_b32_sdwa v46, v25, v44 dst_sel:DWORD dst_unused:UNUSED_PAD src0_sel:DWORD src1_sel:BYTE_1
	v_and_b32_sdwa v44, v25, v44 dst_sel:DWORD dst_unused:UNUSED_PAD src0_sel:DWORD src1_sel:BYTE_0
	v_mul_lo_u32 v45, v53, v45
	v_mul_lo_u32 v44, v54, v44
	v_cvt_f32_i32_e32 v45, v45
	v_cvt_f32_i32_e32 v44, v44
	v_fma_mix_f32 v45, v42, v45, 0 op_sel_hi:[1,0,0]
	v_fma_mix_f32 v42, v42, v44, 0 op_sel_hi:[1,0,0]
	v_mul_lo_u32 v44, v48, v47
	v_cvt_f32_i32_e32 v44, v44
	v_fma_mix_f32 v44, v43, v44, v45 op_sel_hi:[1,0,0]
	v_mul_lo_u32 v45, v50, v46
	v_cvt_f32_i32_e32 v45, v45
	v_fma_mix_f32 v42, v43, v45, v42 op_sel_hi:[1,0,0]
	v_mov_b32_e32 v43, 0
	v_mul_f32_e32 v42, v42, v6
	v_dot4c_i32_i8 v43, 0x1010101, v41
	v_fma_mix_f32 v42, v44, v26, -v42 op_sel_hi:[0,1,0]
	v_dot4c_i32_i8 v43, 0x1010101, v40
	v_add_f32_e32 v13, v13, v42
	v_mov_b32_e32 v42, 0
	v_dot4c_i32_i8 v42, v63, v41
	v_mov_b32_e32 v41, 0
	v_dot4c_i32_i8 v42, v61, v40
	;; [unrolled: 2-line block ×3, first 2 shown]
	v_dot4c_i32_i8 v40, v62, v39
	v_dot4c_i32_i8 v41, 0x1010101, v37
	v_and_b32_sdwa v39, v25, v38 dst_sel:DWORD dst_unused:UNUSED_PAD src0_sel:DWORD src1_sel:BYTE_1
	v_and_b32_sdwa v38, v25, v38 dst_sel:DWORD dst_unused:UNUSED_PAD src0_sel:DWORD src1_sel:BYTE_0
	v_dot4c_i32_i8 v40, v7, v37
	v_and_b32_sdwa v37, v25, v36 dst_sel:DWORD dst_unused:UNUSED_PAD src0_sel:DWORD src1_sel:BYTE_1
	v_and_b32_sdwa v36, v25, v36 dst_sel:DWORD dst_unused:UNUSED_PAD src0_sel:DWORD src1_sel:BYTE_0
	v_mul_lo_u32 v38, v42, v38
	v_mul_lo_u32 v37, v41, v37
	;; [unrolled: 1-line block ×3, first 2 shown]
	v_cvt_f32_i32_e32 v38, v38
	v_cvt_f32_i32_e32 v37, v37
	;; [unrolled: 1-line block ×3, first 2 shown]
	v_fma_mix_f32 v38, v35, v38, 0 op_sel_hi:[1,0,0]
	v_fma_mix_f32 v35, v35, v36, 0 op_sel_hi:[1,0,0]
	v_mul_lo_u32 v36, v40, v39
	v_cvt_f32_i32_e32 v36, v36
	v_fma_mix_f32 v36, v34, v36, v38 op_sel_hi:[1,0,0]
	v_fma_mix_f32 v34, v34, v37, v35 op_sel_hi:[1,0,0]
	v_mov_b32_e32 v35, 0
	v_mul_f32_e32 v34, v34, v6
	v_dot4c_i32_i8 v35, 0x1010101, v33
	v_fma_mix_f32 v34, v36, v26, -v34 op_sel_hi:[0,1,0]
	v_dot4c_i32_i8 v35, 0x1010101, v32
	v_add_f32_e32 v14, v14, v34
	v_mov_b32_e32 v34, 0
	v_dot4c_i32_i8 v34, v63, v33
	v_bfe_u32 v33, v29, 16, 8
	v_dot4c_i32_i8 v34, v61, v32
	v_mov_b32_e32 v32, 0
	v_mul_lo_u32 v33, v34, v33
	v_dot4c_i32_i8 v32, v62, v31
	v_dot4c_i32_i8 v32, v7, v30
	v_mov_b32_e32 v7, 0
	v_cvt_f32_i32_e32 v33, v33
	v_dot4c_i32_i8 v7, 0x1010101, v31
	v_lshrrev_b32_e32 v31, 24, v29
	v_fma_mix_f32 v33, v28, v33, 0 op_sel_hi:[1,0,0]
	v_dot4c_i32_i8 v7, 0x1010101, v30
	v_and_b32_sdwa v30, v25, v29 dst_sel:DWORD dst_unused:UNUSED_PAD src0_sel:DWORD src1_sel:BYTE_1
	v_and_b32_e32 v29, 0xff, v29
	v_mul_lo_u32 v7, v7, v30
	v_mul_lo_u32 v29, v35, v29
	v_cvt_f32_i32_e32 v7, v7
	v_cvt_f32_i32_e32 v29, v29
	v_fma_mix_f32 v28, v28, v29, 0 op_sel_hi:[1,0,0]
	v_mul_lo_u32 v29, v32, v31
	v_fma_mix_f32 v7, v27, v7, v28 op_sel_hi:[1,0,0]
	v_cvt_f32_i32_e32 v29, v29
	v_mul_f32_e32 v7, v7, v6
	v_fma_mix_f32 v29, v27, v29, v33 op_sel_hi:[1,0,0]
	v_and_b32_e32 v27, 0xff00ff, v52
	v_fma_mix_f32 v7, v29, v26, -v7 op_sel_hi:[0,1,0]
	v_lshrrev_b32_e32 v29, 16, v27
	v_and_b32_e32 v27, 0xff, v27
	v_add_f32_e32 v16, v16, v7
	v_pk_lshrrev_b16 v7, 8, v52 op_sel_hi:[0,1]
	v_mul_lo_u32 v27, v68, v27
	v_mul_lo_u32 v29, v73, v29
	v_lshrrev_b32_e32 v28, 16, v7
	v_and_b32_e32 v7, 0xff, v7
	v_cvt_f32_i32_e32 v27, v27
	v_mul_lo_u32 v28, v75, v28
	v_mul_lo_u32 v7, v74, v7
	v_cvt_f32_i32_e32 v29, v29
	v_fma_mix_f32 v27, v51, v27, 0 op_sel_hi:[1,0,0]
	v_fma_mix_f32 v29, v51, v29, 0 op_sel_hi:[1,0,0]
	v_cvt_f32_i32_e32 v28, v28
	v_cvt_f32_i32_e32 v7, v7
	s_waitcnt vmcnt(0)
	v_fma_mix_f32 v7, v49, v7, v27 op_sel_hi:[1,0,0]
	v_fma_mix_f32 v27, v49, v28, v29 op_sel_hi:[1,0,0]
	v_mul_f32_e32 v6, v27, v6
	v_fma_mix_f32 v6, v7, v26, -v6 op_sel_hi:[0,1,0]
	v_add_f32_e32 v8, v8, v6
	s_andn2_b32 exec_lo, exec_lo, s17
	s_cbranch_execz .LBB143_33
.LBB143_3:                              ; =>This Inner Loop Header: Depth=1
	v_add_nc_u32_e32 v6, s3, v15
                                        ; implicit-def: $vgpr74
	v_mad_i64_i32 v[6:7], null, 0xb0, v6, s[20:21]
	v_add_co_u32 v28, s0, v6, v18
	v_add_co_ci_u32_e64 v29, null, 0, v7, s0
	v_add_co_u32 v26, s0, v6, v19
	v_add_co_ci_u32_e64 v27, null, 0, v7, s0
	;; [unrolled: 2-line block ×4, first 2 shown]
	s_clause 0x4
	global_load_dword v68, v[28:29], off offset:48
	global_load_dword v62, v[28:29], off offset:64
	;; [unrolled: 1-line block ×4, first 2 shown]
	global_load_dword v26, v[6:7], off
	s_clause 0x5
	global_load_dword v28, v[4:5], off offset:-36
	global_load_dword v32, v[34:35], off offset:-32
	;; [unrolled: 1-line block ×3, first 2 shown]
	global_load_dword v27, v[4:5], off
	global_load_dword v30, v[34:35], off offset:4
	global_load_dword v31, v[34:35], off offset:20
	v_add_co_u32 v6, s0, v6, v22
	v_add_co_ci_u32_e64 v7, null, 0, v7, s0
                                        ; implicit-def: $vgpr29
	s_and_saveexec_b32 s0, vcc_lo
	s_xor_b32 s0, exec_lo, s0
	s_cbranch_execz .LBB143_5
; %bb.4:                                ;   in Loop: Header=BB143_3 Depth=1
	s_clause 0x1
	global_load_ushort v29, v[6:7], off offset:8
	global_load_ushort v34, v[6:7], off offset:4
	s_waitcnt vmcnt(1)
	v_mov_b32_e32 v35, v29
	s_waitcnt vmcnt(0)
	v_perm_b32 v74, v29, v34, 0x5040100
	global_load_short_d16_hi v35, v[6:7], off
	v_pk_lshrrev_b16 v29, 2, v74
	v_and_b32_e32 v29, 0xf0f3030, v29
	s_waitcnt vmcnt(0)
	v_pk_lshrrev_b16 v34, 0x20004, v35
	v_and_or_b32 v29, 0x30300f0f, v34, v29
.LBB143_5:                              ;   in Loop: Header=BB143_3 Depth=1
	s_andn2_saveexec_b32 s0, s0
	s_cbranch_execz .LBB143_7
; %bb.6:                                ;   in Loop: Header=BB143_3 Depth=1
	s_clause 0x1
	global_load_ushort v34, v[6:7], off offset:4
	global_load_ushort v35, v[6:7], off offset:8
	s_waitcnt vmcnt(0)
	v_perm_b32 v29, v34, v35, 0x5040100
	v_perm_b32 v74, v35, v34, 0x5040100
	v_and_b32_e32 v29, 0x3f3f3f3f, v29
.LBB143_7:                              ;   in Loop: Header=BB143_3 Depth=1
	s_or_b32 exec_lo, exec_lo, s0
	v_add_nc_u32_e32 v34, s1, v21
	v_lshlrev_b32_e32 v49, 2, v17
	v_lshrrev_b32_e32 v36, 20, v74
	v_and_b32_sdwa v51, v74, v23 dst_sel:DWORD dst_unused:UNUSED_PAD src0_sel:WORD_1 src1_sel:DWORD
	v_lshrrev_b16 v84, 2, v74
	v_mad_u64_u32 v[42:43], null, v34, 36, v[2:3]
	v_and_b32_e32 v52, 0xf0f, v36
                                        ; implicit-def: $vgpr36
	v_add_co_u32 v38, s0, v42, v49
	v_add_co_ci_u32_e64 v39, null, 0, v43, s0
	s_clause 0x5
	global_load_dword v35, v[42:43], off
	global_load_dword v40, v[38:39], off offset:4
	global_load_dword v41, v[38:39], off offset:20
	;; [unrolled: 1-line block ×5, first 2 shown]
                                        ; implicit-def: $vgpr38
	s_and_saveexec_b32 s0, vcc_lo
	s_xor_b32 s0, exec_lo, s0
	s_cbranch_execz .LBB143_9
; %bb.8:                                ;   in Loop: Header=BB143_3 Depth=1
	global_load_ushort v36, v[6:7], off
	v_and_b32_e32 v42, 0x3030, v84
	s_waitcnt vmcnt(0)
	v_lshrrev_b16 v36, 2, v36
	v_and_b32_e32 v36, 0x3030, v36
	v_or_b32_e32 v38, v36, v51
	v_or_b32_e32 v36, v42, v52
.LBB143_9:                              ;   in Loop: Header=BB143_3 Depth=1
	s_or_saveexec_b32 s0, s0
	v_and_b32_e32 v75, 0x3f3f, v74
	v_and_b32_sdwa v73, v74, v24 dst_sel:DWORD dst_unused:UNUSED_PAD src0_sel:WORD_1 src1_sel:DWORD
	s_xor_b32 exec_lo, exec_lo, s0
; %bb.10:                               ;   in Loop: Header=BB143_3 Depth=1
	v_and_b32_e32 v38, 0x3f3f, v74
	v_and_b32_sdwa v36, v74, v24 dst_sel:DWORD dst_unused:UNUSED_PAD src0_sel:WORD_1 src1_sel:DWORD
; %bb.11:                               ;   in Loop: Header=BB143_3 Depth=1
	s_or_b32 exec_lo, exec_lo, s0
	v_add_nc_u32_e32 v42, s11, v21
                                        ; implicit-def: $vgpr45
	v_mad_u64_u32 v[43:44], null, v42, 36, v[2:3]
	v_add_co_u32 v53, s0, v43, v49
	v_add_co_ci_u32_e64 v54, null, 0, v44, s0
	s_clause 0x5
	global_load_dword v42, v[43:44], off
	global_load_dword v48, v[53:54], off offset:4
	global_load_dword v50, v[53:54], off offset:20
	;; [unrolled: 1-line block ×5, first 2 shown]
                                        ; implicit-def: $vgpr44
	s_and_saveexec_b32 s0, vcc_lo
	s_xor_b32 s0, exec_lo, s0
	s_cbranch_execz .LBB143_13
; %bb.12:                               ;   in Loop: Header=BB143_3 Depth=1
	global_load_ushort v44, v[6:7], off
	v_and_b32_e32 v53, 0x3030, v84
	s_waitcnt vmcnt(0)
	v_lshrrev_b16 v44, 2, v44
	v_and_b32_e32 v44, 0x3030, v44
	v_or_b32_e32 v45, v44, v51
	v_or_b32_e32 v44, v53, v52
.LBB143_13:                             ;   in Loop: Header=BB143_3 Depth=1
	s_andn2_saveexec_b32 s0, s0
; %bb.14:                               ;   in Loop: Header=BB143_3 Depth=1
	v_and_b32_e32 v45, 0x3f3f, v74
	v_and_b32_sdwa v44, v74, v24 dst_sel:DWORD dst_unused:UNUSED_PAD src0_sel:WORD_1 src1_sel:DWORD
; %bb.15:                               ;   in Loop: Header=BB143_3 Depth=1
	s_or_b32 exec_lo, exec_lo, s0
	v_add_nc_u32_e32 v53, s12, v21
                                        ; implicit-def: $vgpr55
	v_mad_u64_u32 v[64:65], null, v53, 36, v[2:3]
	v_add_co_u32 v57, s0, v64, v49
	v_add_co_ci_u32_e64 v58, null, 0, v65, s0
	s_clause 0x5
	global_load_dword v54, v[64:65], off
	global_load_dword v59, v[57:58], off offset:4
	global_load_dword v60, v[57:58], off offset:20
	;; [unrolled: 1-line block ×5, first 2 shown]
                                        ; implicit-def: $vgpr57
	s_and_saveexec_b32 s0, vcc_lo
	s_xor_b32 s0, exec_lo, s0
	s_cbranch_execz .LBB143_17
; %bb.16:                               ;   in Loop: Header=BB143_3 Depth=1
	global_load_ushort v55, v[6:7], off
	v_and_b32_e32 v64, 0x3030, v84
	s_waitcnt vmcnt(0)
	v_lshrrev_b16 v55, 2, v55
	v_and_b32_e32 v55, 0x3030, v55
	v_or_b32_e32 v57, v55, v51
	v_or_b32_e32 v55, v64, v52
.LBB143_17:                             ;   in Loop: Header=BB143_3 Depth=1
	s_andn2_saveexec_b32 s0, s0
; %bb.18:                               ;   in Loop: Header=BB143_3 Depth=1
	v_and_b32_e32 v57, 0x3f3f, v74
	v_and_b32_sdwa v55, v74, v24 dst_sel:DWORD dst_unused:UNUSED_PAD src0_sel:WORD_1 src1_sel:DWORD
; %bb.19:                               ;   in Loop: Header=BB143_3 Depth=1
	s_or_b32 exec_lo, exec_lo, s0
	v_add_nc_u32_e32 v64, s13, v21
                                        ; implicit-def: $vgpr66
	v_mad_u64_u32 v[76:77], null, v64, 36, v[2:3]
	v_add_co_u32 v69, s0, v76, v49
	v_add_co_ci_u32_e64 v70, null, 0, v77, s0
	s_clause 0x5
	global_load_dword v65, v[76:77], off
	global_load_dword v71, v[69:70], off offset:4
	global_load_dword v72, v[69:70], off offset:20
	;; [unrolled: 1-line block ×5, first 2 shown]
                                        ; implicit-def: $vgpr70
	s_and_saveexec_b32 s0, vcc_lo
	s_xor_b32 s0, exec_lo, s0
	s_cbranch_execz .LBB143_21
; %bb.20:                               ;   in Loop: Header=BB143_3 Depth=1
	global_load_ushort v66, v[6:7], off
	v_and_b32_e32 v76, 0x3030, v84
	s_waitcnt vmcnt(0)
	v_lshrrev_b16 v66, 2, v66
	v_and_b32_e32 v66, 0x3030, v66
	v_or_b32_e32 v70, v66, v51
	v_or_b32_e32 v66, v76, v52
.LBB143_21:                             ;   in Loop: Header=BB143_3 Depth=1
	s_andn2_saveexec_b32 s0, s0
; %bb.22:                               ;   in Loop: Header=BB143_3 Depth=1
	v_and_b32_e32 v70, 0x3f3f, v74
	v_and_b32_sdwa v66, v74, v24 dst_sel:DWORD dst_unused:UNUSED_PAD src0_sel:WORD_1 src1_sel:DWORD
; %bb.23:                               ;   in Loop: Header=BB143_3 Depth=1
	s_or_b32 exec_lo, exec_lo, s0
	v_add_nc_u32_e32 v76, s15, v21
                                        ; implicit-def: $vgpr78
	v_mad_u64_u32 v[85:86], null, v76, 36, v[2:3]
	v_add_co_u32 v80, s0, v85, v49
	v_add_co_ci_u32_e64 v81, null, 0, v86, s0
	s_clause 0x5
	global_load_dword v77, v[85:86], off
	global_load_dword v82, v[80:81], off offset:4
	global_load_dword v83, v[80:81], off offset:20
	;; [unrolled: 1-line block ×5, first 2 shown]
                                        ; implicit-def: $vgpr81
	s_and_saveexec_b32 s0, vcc_lo
	s_xor_b32 s0, exec_lo, s0
	s_cbranch_execz .LBB143_25
; %bb.24:                               ;   in Loop: Header=BB143_3 Depth=1
	global_load_ushort v78, v[6:7], off
	v_and_b32_e32 v85, 0x3030, v84
	s_waitcnt vmcnt(0)
	v_lshrrev_b16 v78, 2, v78
	v_and_b32_e32 v78, 0x3030, v78
	v_or_b32_e32 v81, v78, v51
	v_or_b32_e32 v78, v85, v52
.LBB143_25:                             ;   in Loop: Header=BB143_3 Depth=1
	s_andn2_saveexec_b32 s0, s0
; %bb.26:                               ;   in Loop: Header=BB143_3 Depth=1
	v_and_b32_e32 v81, 0x3f3f, v74
	v_and_b32_sdwa v78, v74, v24 dst_sel:DWORD dst_unused:UNUSED_PAD src0_sel:WORD_1 src1_sel:DWORD
; %bb.27:                               ;   in Loop: Header=BB143_3 Depth=1
	s_or_b32 exec_lo, exec_lo, s0
	v_add_nc_u32_e32 v85, s16, v21
	v_mad_u64_u32 v[87:88], null, v85, 36, v[2:3]
	v_add_co_u32 v94, s0, v87, v49
	v_add_co_ci_u32_e64 v95, null, 0, v88, s0
	s_clause 0x5
	global_load_dword v86, v[87:88], off
	global_load_dword v92, v[94:95], off offset:4
	global_load_dword v93, v[94:95], off offset:20
	;; [unrolled: 1-line block ×5, first 2 shown]
	s_and_saveexec_b32 s0, vcc_lo
	s_xor_b32 s0, exec_lo, s0
	s_cbranch_execz .LBB143_29
; %bb.28:                               ;   in Loop: Header=BB143_3 Depth=1
	global_load_ushort v73, v[6:7], off
	v_and_b32_e32 v84, 0x3030, v84
	s_waitcnt vmcnt(0)
	v_lshrrev_b16 v73, 2, v73
	v_and_b32_e32 v73, 0x3030, v73
	v_or_b32_e32 v75, v73, v51
	v_or_b32_e32 v73, v84, v52
.LBB143_29:                             ;   in Loop: Header=BB143_3 Depth=1
	s_andn2_saveexec_b32 s0, s0
	s_or_b32 exec_lo, exec_lo, s0
	v_add_nc_u32_e32 v51, s19, v21
                                        ; implicit-def: $vgpr52
	v_mad_u64_u32 v[94:95], null, v51, 36, v[2:3]
	v_add_co_u32 v96, s0, v94, v49
	v_add_co_ci_u32_e64 v97, null, 0, v95, s0
	s_clause 0x5
	global_load_dword v51, v[94:95], off
	global_load_dword v88, v[96:97], off offset:4
	global_load_dword v89, v[96:97], off offset:20
	global_load_dword v84, v[96:97], off offset:40
	global_load_dword v87, v[96:97], off offset:56
	global_load_dword v49, v[94:95], off offset:36
	s_and_saveexec_b32 s0, vcc_lo
	s_xor_b32 s0, exec_lo, s0
	s_cbranch_execz .LBB143_31
; %bb.30:                               ;   in Loop: Header=BB143_3 Depth=1
	global_load_ushort v6, v[6:7], off
	v_pk_lshrrev_b16 v7, 4, v74 op_sel:[1,1] op_sel_hi:[0,1]
	v_and_b32_e32 v7, 0xf0f0f0f, v7
	s_waitcnt vmcnt(0)
	v_perm_b32 v6, v74, v6, 0x5040100
                                        ; implicit-def: $vgpr74
	v_pk_lshrrev_b16 v6, 2, v6 op_sel_hi:[0,1]
	v_and_or_b32 v52, 0x30303030, v6, v7
.LBB143_31:                             ;   in Loop: Header=BB143_3 Depth=1
	s_andn2_saveexec_b32 s0, s0
	s_cbranch_execz .LBB143_2
; %bb.32:                               ;   in Loop: Header=BB143_3 Depth=1
	v_and_b32_e32 v52, 0x3f3f3f3f, v74
	s_branch .LBB143_2
.LBB143_33:
	s_or_b32 exec_lo, exec_lo, s17
.LBB143_34:
	s_or_b32 exec_lo, exec_lo, s9
	s_mov_b32 s1, 0
	; wave barrier
	buffer_gl0_inv
	s_mov_b32 s0, exec_lo
	v_cmpx_eq_u32_e32 0, v1
	s_cbranch_execz .LBB143_51
; %bb.35:
	v_mbcnt_lo_u32_b32 v5, -1, 0
	s_load_dwordx2 s[4:5], s[4:5], 0x38
	s_mul_i32 s0, s14, s7
	s_mul_i32 s3, s18, s8
	s_add_i32 s0, s0, s6
	v_xor_b32_e32 v1, 16, v5
	v_xor_b32_e32 v2, 8, v5
	;; [unrolled: 1-line block ×3, first 2 shown]
	s_add_i32 s0, s0, s3
	s_lshl_b64 s[0:1], s[0:1], 2
	v_cmp_gt_i32_e32 vcc_lo, 32, v1
	v_cndmask_b32_e32 v1, v5, v1, vcc_lo
	v_cmp_gt_i32_e32 vcc_lo, 32, v2
	v_lshlrev_b32_e32 v1, 2, v1
	v_cndmask_b32_e32 v2, v5, v2, vcc_lo
	s_waitcnt lgkmcnt(0)
	s_add_u32 s0, s4, s0
	s_addc_u32 s1, s5, s1
	ds_bpermute_b32 v3, v1, v16
	v_lshlrev_b32_e32 v2, 2, v2
	s_waitcnt lgkmcnt(0)
	v_add_f32_e32 v4, v16, v3
	v_xor_b32_e32 v3, 4, v5
	ds_bpermute_b32 v6, v2, v4
	v_cmp_gt_i32_e32 vcc_lo, 32, v3
	v_cndmask_b32_e32 v3, v5, v3, vcc_lo
	v_lshlrev_b32_e32 v3, 2, v3
	s_waitcnt lgkmcnt(0)
	v_add_f32_e32 v6, v4, v6
	v_xor_b32_e32 v4, 2, v5
	ds_bpermute_b32 v7, v3, v6
	v_cmp_gt_i32_e32 vcc_lo, 32, v4
	v_cndmask_b32_e32 v4, v5, v4, vcc_lo
	v_cmp_gt_i32_e32 vcc_lo, 32, v15
	v_lshlrev_b32_e32 v4, 2, v4
	v_cndmask_b32_e32 v5, v5, v15, vcc_lo
	v_cmp_eq_u32_e32 vcc_lo, 0, v0
	v_lshlrev_b32_e32 v5, 2, v5
	s_waitcnt lgkmcnt(0)
	v_add_f32_e32 v6, v6, v7
	ds_bpermute_b32 v7, v4, v6
	s_waitcnt lgkmcnt(0)
	v_add_f32_e32 v6, v6, v7
	ds_bpermute_b32 v7, v5, v6
	s_and_saveexec_b32 s3, vcc_lo
	s_cbranch_execz .LBB143_37
; %bb.36:
	s_waitcnt lgkmcnt(0)
	v_add_f32_e32 v0, v6, v7
	v_mov_b32_e32 v6, 0
	global_store_dword v6, v0, s[0:1]
.LBB143_37:
	s_or_b32 exec_lo, exec_lo, s3
	ds_bpermute_b32 v0, v1, v14
	s_waitcnt lgkmcnt(0)
	v_add_f32_e32 v0, v14, v0
	ds_bpermute_b32 v6, v2, v0
	s_waitcnt lgkmcnt(0)
	v_add_f32_e32 v0, v0, v6
	;; [unrolled: 3-line block ×4, first 2 shown]
	ds_bpermute_b32 v6, v5, v0
	s_and_saveexec_b32 s4, vcc_lo
	s_cbranch_execz .LBB143_39
; %bb.38:
	s_mov_b32 s3, 0
	s_waitcnt lgkmcnt(0)
	v_add_f32_e32 v0, v0, v6
	s_lshl_b64 s[6:7], s[2:3], 2
	v_mov_b32_e32 v6, 0
	s_add_u32 s6, s0, s6
	s_addc_u32 s7, s1, s7
	global_store_dword v6, v0, s[6:7]
.LBB143_39:
	s_or_b32 exec_lo, exec_lo, s4
	ds_bpermute_b32 v0, v1, v13
	s_waitcnt lgkmcnt(0)
	v_add_f32_e32 v0, v13, v0
	ds_bpermute_b32 v6, v2, v0
	s_waitcnt lgkmcnt(0)
	v_add_f32_e32 v0, v0, v6
	;; [unrolled: 3-line block ×4, first 2 shown]
	ds_bpermute_b32 v6, v5, v0
	s_and_saveexec_b32 s3, vcc_lo
	s_cbranch_execz .LBB143_41
; %bb.40:
	s_lshl_b32 s4, s2, 1
	s_mov_b32 s5, 0
	s_waitcnt lgkmcnt(0)
	v_add_f32_e32 v0, v0, v6
	s_lshl_b64 s[4:5], s[4:5], 2
	v_mov_b32_e32 v6, 0
	s_add_u32 s4, s0, s4
	s_addc_u32 s5, s1, s5
	global_store_dword v6, v0, s[4:5]
.LBB143_41:
	s_or_b32 exec_lo, exec_lo, s3
	ds_bpermute_b32 v0, v1, v12
	s_waitcnt lgkmcnt(0)
	v_add_f32_e32 v0, v12, v0
	ds_bpermute_b32 v6, v2, v0
	s_waitcnt lgkmcnt(0)
	v_add_f32_e32 v0, v0, v6
	;; [unrolled: 3-line block ×4, first 2 shown]
	ds_bpermute_b32 v6, v5, v0
	s_and_saveexec_b32 s3, vcc_lo
	s_cbranch_execz .LBB143_43
; %bb.42:
	s_mul_i32 s4, s2, 3
	s_mov_b32 s5, 0
	s_waitcnt lgkmcnt(0)
	v_add_f32_e32 v0, v0, v6
	s_lshl_b64 s[4:5], s[4:5], 2
	v_mov_b32_e32 v6, 0
	s_add_u32 s4, s0, s4
	s_addc_u32 s5, s1, s5
	global_store_dword v6, v0, s[4:5]
.LBB143_43:
	s_or_b32 exec_lo, exec_lo, s3
	ds_bpermute_b32 v0, v1, v11
	s_waitcnt lgkmcnt(0)
	v_add_f32_e32 v0, v11, v0
	ds_bpermute_b32 v6, v2, v0
	s_waitcnt lgkmcnt(0)
	v_add_f32_e32 v0, v0, v6
	;; [unrolled: 3-line block ×4, first 2 shown]
	ds_bpermute_b32 v6, v5, v0
	s_and_saveexec_b32 s3, vcc_lo
	s_cbranch_execz .LBB143_45
; %bb.44:
	s_lshl_b32 s4, s2, 2
	s_mov_b32 s5, 0
	s_waitcnt lgkmcnt(0)
	v_add_f32_e32 v0, v0, v6
	s_lshl_b64 s[4:5], s[4:5], 2
	v_mov_b32_e32 v6, 0
	s_add_u32 s4, s0, s4
	s_addc_u32 s5, s1, s5
	global_store_dword v6, v0, s[4:5]
.LBB143_45:
	s_or_b32 exec_lo, exec_lo, s3
	ds_bpermute_b32 v0, v1, v10
	s_waitcnt lgkmcnt(0)
	v_add_f32_e32 v0, v10, v0
	ds_bpermute_b32 v6, v2, v0
	s_waitcnt lgkmcnt(0)
	v_add_f32_e32 v0, v0, v6
	;; [unrolled: 3-line block ×4, first 2 shown]
	ds_bpermute_b32 v6, v5, v0
	s_and_saveexec_b32 s3, vcc_lo
	s_cbranch_execz .LBB143_47
; %bb.46:
	s_mul_i32 s4, s2, 5
	s_mov_b32 s5, 0
	s_waitcnt lgkmcnt(0)
	v_add_f32_e32 v0, v0, v6
	s_lshl_b64 s[4:5], s[4:5], 2
	v_mov_b32_e32 v6, 0
	s_add_u32 s4, s0, s4
	s_addc_u32 s5, s1, s5
	global_store_dword v6, v0, s[4:5]
.LBB143_47:
	s_or_b32 exec_lo, exec_lo, s3
	ds_bpermute_b32 v0, v1, v9
	s_waitcnt lgkmcnt(0)
	v_add_f32_e32 v0, v9, v0
	ds_bpermute_b32 v6, v2, v0
	s_waitcnt lgkmcnt(0)
	v_add_f32_e32 v0, v0, v6
	;; [unrolled: 3-line block ×4, first 2 shown]
	ds_bpermute_b32 v6, v5, v0
	s_and_saveexec_b32 s3, vcc_lo
	s_cbranch_execz .LBB143_49
; %bb.48:
	s_mul_i32 s4, s2, 6
	s_mov_b32 s5, 0
	s_waitcnt lgkmcnt(0)
	v_add_f32_e32 v0, v0, v6
	s_lshl_b64 s[4:5], s[4:5], 2
	v_mov_b32_e32 v6, 0
	s_add_u32 s4, s0, s4
	s_addc_u32 s5, s1, s5
	global_store_dword v6, v0, s[4:5]
.LBB143_49:
	s_or_b32 exec_lo, exec_lo, s3
	ds_bpermute_b32 v0, v1, v8
	s_waitcnt lgkmcnt(0)
	v_add_f32_e32 v0, v8, v0
	ds_bpermute_b32 v1, v2, v0
	s_waitcnt lgkmcnt(0)
	v_add_f32_e32 v0, v0, v1
	;; [unrolled: 3-line block ×4, first 2 shown]
	ds_bpermute_b32 v1, v5, v0
	s_and_b32 exec_lo, exec_lo, vcc_lo
	s_cbranch_execz .LBB143_51
; %bb.50:
	s_mul_i32 s2, s2, 7
	s_mov_b32 s3, 0
	s_waitcnt lgkmcnt(0)
	v_add_f32_e32 v0, v0, v1
	s_lshl_b64 s[2:3], s[2:3], 2
	v_mov_b32_e32 v1, 0
	s_add_u32 s0, s0, s2
	s_addc_u32 s1, s1, s3
	global_store_dword v1, v0, s[0:1]
.LBB143_51:
	s_endpgm
	.section	.rodata,"a",@progbits
	.p2align	6, 0x0
	.amdhsa_kernel _ZL13mul_mat_vec_qIL9ggml_type13ELi8ELb0ELb0EEvPKvS2_PKi31ggml_cuda_mm_fusion_args_devicePfj15HIP_vector_typeIjLj3EEjjjS8_jjjS8_jjjj
		.amdhsa_group_segment_fixed_size 0
		.amdhsa_private_segment_fixed_size 0
		.amdhsa_kernarg_size 144
		.amdhsa_user_sgpr_count 6
		.amdhsa_user_sgpr_private_segment_buffer 1
		.amdhsa_user_sgpr_dispatch_ptr 0
		.amdhsa_user_sgpr_queue_ptr 0
		.amdhsa_user_sgpr_kernarg_segment_ptr 1
		.amdhsa_user_sgpr_dispatch_id 0
		.amdhsa_user_sgpr_flat_scratch_init 0
		.amdhsa_user_sgpr_private_segment_size 0
		.amdhsa_wavefront_size32 1
		.amdhsa_uses_dynamic_stack 0
		.amdhsa_system_sgpr_private_segment_wavefront_offset 0
		.amdhsa_system_sgpr_workgroup_id_x 1
		.amdhsa_system_sgpr_workgroup_id_y 1
		.amdhsa_system_sgpr_workgroup_id_z 1
		.amdhsa_system_sgpr_workgroup_info 0
		.amdhsa_system_vgpr_workitem_id 1
		.amdhsa_next_free_vgpr 98
		.amdhsa_next_free_sgpr 26
		.amdhsa_reserve_vcc 1
		.amdhsa_reserve_flat_scratch 0
		.amdhsa_float_round_mode_32 0
		.amdhsa_float_round_mode_16_64 0
		.amdhsa_float_denorm_mode_32 3
		.amdhsa_float_denorm_mode_16_64 3
		.amdhsa_dx10_clamp 1
		.amdhsa_ieee_mode 1
		.amdhsa_fp16_overflow 0
		.amdhsa_workgroup_processor_mode 1
		.amdhsa_memory_ordered 1
		.amdhsa_forward_progress 1
		.amdhsa_shared_vgpr_count 0
		.amdhsa_exception_fp_ieee_invalid_op 0
		.amdhsa_exception_fp_denorm_src 0
		.amdhsa_exception_fp_ieee_div_zero 0
		.amdhsa_exception_fp_ieee_overflow 0
		.amdhsa_exception_fp_ieee_underflow 0
		.amdhsa_exception_fp_ieee_inexact 0
		.amdhsa_exception_int_div_zero 0
	.end_amdhsa_kernel
	.section	.text._ZL13mul_mat_vec_qIL9ggml_type13ELi8ELb0ELb0EEvPKvS2_PKi31ggml_cuda_mm_fusion_args_devicePfj15HIP_vector_typeIjLj3EEjjjS8_jjjS8_jjjj,"axG",@progbits,_ZL13mul_mat_vec_qIL9ggml_type13ELi8ELb0ELb0EEvPKvS2_PKi31ggml_cuda_mm_fusion_args_devicePfj15HIP_vector_typeIjLj3EEjjjS8_jjjS8_jjjj,comdat
.Lfunc_end143:
	.size	_ZL13mul_mat_vec_qIL9ggml_type13ELi8ELb0ELb0EEvPKvS2_PKi31ggml_cuda_mm_fusion_args_devicePfj15HIP_vector_typeIjLj3EEjjjS8_jjjS8_jjjj, .Lfunc_end143-_ZL13mul_mat_vec_qIL9ggml_type13ELi8ELb0ELb0EEvPKvS2_PKi31ggml_cuda_mm_fusion_args_devicePfj15HIP_vector_typeIjLj3EEjjjS8_jjjS8_jjjj
                                        ; -- End function
	.set _ZL13mul_mat_vec_qIL9ggml_type13ELi8ELb0ELb0EEvPKvS2_PKi31ggml_cuda_mm_fusion_args_devicePfj15HIP_vector_typeIjLj3EEjjjS8_jjjS8_jjjj.num_vgpr, 98
	.set _ZL13mul_mat_vec_qIL9ggml_type13ELi8ELb0ELb0EEvPKvS2_PKi31ggml_cuda_mm_fusion_args_devicePfj15HIP_vector_typeIjLj3EEjjjS8_jjjS8_jjjj.num_agpr, 0
	.set _ZL13mul_mat_vec_qIL9ggml_type13ELi8ELb0ELb0EEvPKvS2_PKi31ggml_cuda_mm_fusion_args_devicePfj15HIP_vector_typeIjLj3EEjjjS8_jjjS8_jjjj.numbered_sgpr, 26
	.set _ZL13mul_mat_vec_qIL9ggml_type13ELi8ELb0ELb0EEvPKvS2_PKi31ggml_cuda_mm_fusion_args_devicePfj15HIP_vector_typeIjLj3EEjjjS8_jjjS8_jjjj.num_named_barrier, 0
	.set _ZL13mul_mat_vec_qIL9ggml_type13ELi8ELb0ELb0EEvPKvS2_PKi31ggml_cuda_mm_fusion_args_devicePfj15HIP_vector_typeIjLj3EEjjjS8_jjjS8_jjjj.private_seg_size, 0
	.set _ZL13mul_mat_vec_qIL9ggml_type13ELi8ELb0ELb0EEvPKvS2_PKi31ggml_cuda_mm_fusion_args_devicePfj15HIP_vector_typeIjLj3EEjjjS8_jjjS8_jjjj.uses_vcc, 1
	.set _ZL13mul_mat_vec_qIL9ggml_type13ELi8ELb0ELb0EEvPKvS2_PKi31ggml_cuda_mm_fusion_args_devicePfj15HIP_vector_typeIjLj3EEjjjS8_jjjS8_jjjj.uses_flat_scratch, 0
	.set _ZL13mul_mat_vec_qIL9ggml_type13ELi8ELb0ELb0EEvPKvS2_PKi31ggml_cuda_mm_fusion_args_devicePfj15HIP_vector_typeIjLj3EEjjjS8_jjjS8_jjjj.has_dyn_sized_stack, 0
	.set _ZL13mul_mat_vec_qIL9ggml_type13ELi8ELb0ELb0EEvPKvS2_PKi31ggml_cuda_mm_fusion_args_devicePfj15HIP_vector_typeIjLj3EEjjjS8_jjjS8_jjjj.has_recursion, 0
	.set _ZL13mul_mat_vec_qIL9ggml_type13ELi8ELb0ELb0EEvPKvS2_PKi31ggml_cuda_mm_fusion_args_devicePfj15HIP_vector_typeIjLj3EEjjjS8_jjjS8_jjjj.has_indirect_call, 0
	.section	.AMDGPU.csdata,"",@progbits
; Kernel info:
; codeLenInByte = 4824
; TotalNumSgprs: 28
; NumVgprs: 98
; ScratchSize: 0
; MemoryBound: 0
; FloatMode: 240
; IeeeMode: 1
; LDSByteSize: 0 bytes/workgroup (compile time only)
; SGPRBlocks: 0
; VGPRBlocks: 12
; NumSGPRsForWavesPerEU: 28
; NumVGPRsForWavesPerEU: 98
; Occupancy: 9
; WaveLimiterHint : 0
; COMPUTE_PGM_RSRC2:SCRATCH_EN: 0
; COMPUTE_PGM_RSRC2:USER_SGPR: 6
; COMPUTE_PGM_RSRC2:TRAP_HANDLER: 0
; COMPUTE_PGM_RSRC2:TGID_X_EN: 1
; COMPUTE_PGM_RSRC2:TGID_Y_EN: 1
; COMPUTE_PGM_RSRC2:TGID_Z_EN: 1
; COMPUTE_PGM_RSRC2:TIDIG_COMP_CNT: 1
	.section	.text._ZL17mul_mat_vec_q_moeIL9ggml_type14ELi2EEvPKvS2_PKiPfj15HIP_vector_typeIjLj3EEjjjjjjjjj,"axG",@progbits,_ZL17mul_mat_vec_q_moeIL9ggml_type14ELi2EEvPKvS2_PKiPfj15HIP_vector_typeIjLj3EEjjjjjjjjj,comdat
	.globl	_ZL17mul_mat_vec_q_moeIL9ggml_type14ELi2EEvPKvS2_PKiPfj15HIP_vector_typeIjLj3EEjjjjjjjjj ; -- Begin function _ZL17mul_mat_vec_q_moeIL9ggml_type14ELi2EEvPKvS2_PKiPfj15HIP_vector_typeIjLj3EEjjjjjjjjj
	.p2align	8
	.type	_ZL17mul_mat_vec_q_moeIL9ggml_type14ELi2EEvPKvS2_PKiPfj15HIP_vector_typeIjLj3EEjjjjjjjjj,@function
_ZL17mul_mat_vec_q_moeIL9ggml_type14ELi2EEvPKvS2_PKiPfj15HIP_vector_typeIjLj3EEjjjjjjjjj: ; @_ZL17mul_mat_vec_q_moeIL9ggml_type14ELi2EEvPKvS2_PKiPfj15HIP_vector_typeIjLj3EEjjjjjjjjj
; %bb.0:
	s_load_dwordx8 s[16:23], s[4:5], 0x30
	s_mov_b32 s0, exec_lo
	s_waitcnt lgkmcnt(0)
	v_cmpx_gt_u32_e64 s23, v1
	s_cbranch_execz .LBB144_7
; %bb.1:
	s_clause 0x2
	s_load_dword s1, s[4:5], 0x20
	s_load_dword s0, s[4:5], 0x50
	s_load_dwordx8 s[8:15], s[4:5], 0x0
	v_lshrrev_b32_e32 v8, 5, v0
	v_mov_b32_e32 v2, 0
	v_mov_b32_e32 v3, 0
	s_mov_b32 s2, s7
	s_waitcnt lgkmcnt(0)
	s_lshr_b32 s3, s1, 8
	s_lshl_b32 s1, s6, 1
	s_mov_b32 s6, exec_lo
	v_cmpx_gt_u32_e64 s3, v8
	s_cbranch_execz .LBB144_5
; %bb.2:
	v_mad_u64_u32 v[2:3], null, s0, v1, s[2:3]
	v_mov_b32_e32 v3, 0
	s_load_dwordx4 s[24:27], s[4:5], 0x24
	v_lshrrev_b32_e32 v11, 5, v0
	v_and_b32_e32 v9, 15, v0
	v_and_b32_e32 v6, 31, v0
	v_bfe_u32 v7, v0, 4, 1
	v_lshlrev_b64 v[4:5], 2, v[2:3]
	v_and_b32_e32 v10, 7, v0
	v_lshrrev_b16 v12, 3, v9
	v_lshlrev_b32_e32 v14, 1, v6
	v_lshlrev_b32_e32 v6, 3, v7
	s_add_i32 s0, s1, 1
	v_add_co_u32 v4, vcc_lo, s12, v4
	v_add_co_ci_u32_e64 v5, null, s13, v5, vcc_lo
	v_or_b32_e32 v15, v6, v10
	global_load_dword v2, v[4:5], off
	v_mul_lo_u32 v4, s18, v1
	s_waitcnt lgkmcnt(0)
	s_mul_hi_u32 s4, s24, s2
	v_lshlrev_b32_e32 v15, 1, v15
	s_add_i32 s4, s2, s4
	s_lshr_b32 s4, s4, s25
	s_mul_i32 s4, s4, s26
	v_mad_u64_u32 v[4:5], null, v4, 36, 0
	s_sub_i32 s4, s2, s4
	s_mul_i32 s4, s4, s21
	v_mad_u64_u32 v[4:5], null, 0x120, v11, v[4:5]
	v_and_b32_e32 v11, 0xffff, v12
	v_lshrrev_b16 v12, 2, v9
	v_lshlrev_b32_e32 v9, 2, v10
	v_lshl_or_b32 v7, v7, 2, v11
	v_mad_u64_u32 v[4:5], null, s4, 36, v[4:5]
	v_or_b32_sdwa v10, v6, v12 dst_sel:DWORD dst_unused:UNUSED_PAD src0_sel:DWORD src1_sel:WORD_0
	v_lshlrev_b32_e32 v11, 1, v11
	s_mov_b32 s4, 0
	v_mad_u64_u32 v[12:13], null, v7, 36, v[4:5]
	s_waitcnt vmcnt(0)
	v_mul_lo_u32 v2, v2, s20
	v_mad_u64_u32 v[4:5], null, s1, s17, v[2:3]
	v_mad_u64_u32 v[5:6], null, s17, s0, v[2:3]
	v_add_co_u32 v6, vcc_lo, s10, v12
	v_add_co_ci_u32_e64 v7, null, s11, v13, vcc_lo
	v_lshlrev_b32_e32 v12, 1, v14
	v_lshlrev_b32_e32 v13, 1, v15
	v_mov_b32_e32 v2, v3
.LBB144_3:                              ; =>This Inner Loop Header: Depth=1
	v_add_nc_u32_e32 v14, v4, v8
	v_add_nc_u32_e32 v16, v5, v8
	v_mov_b32_e32 v30, 0
	v_add_nc_u32_e32 v8, 1, v8
	v_mad_i64_i32 v[14:15], null, 0xd2, v14, s[8:9]
	v_mad_i64_i32 v[16:17], null, 0xd2, v16, s[8:9]
	v_cmp_le_u32_e64 s0, s3, v8
	v_add_co_u32 v18, vcc_lo, v14, v12
	v_add_co_ci_u32_e64 v19, null, 0, v15, vcc_lo
	v_add_co_u32 v20, vcc_lo, v14, v13
	v_add_co_ci_u32_e64 v21, null, 0, v15, vcc_lo
	;; [unrolled: 2-line block ×4, first 2 shown]
	s_clause 0x3
	global_load_dword v26, v[20:21], off offset:128
	global_load_dword v27, v[18:19], off
	global_load_dword v28, v[22:23], off offset:128
	global_load_dword v24, v[24:25], off
	v_add_co_u32 v18, vcc_lo, v6, v9
	v_add_co_ci_u32_e64 v19, null, 0, v7, vcc_lo
	v_add_co_u32 v20, vcc_lo, v14, v10
	v_add_co_ci_u32_e64 v21, null, 0, v15, vcc_lo
	global_load_dword v25, v[18:19], off offset:4
	v_add_co_u32 v22, vcc_lo, v16, v10
	v_add_co_ci_u32_e64 v23, null, 0, v17, vcc_lo
	global_load_dword v18, v[18:19], off offset:76
	s_clause 0x3
	global_load_sbyte v19, v[20:21], off offset:192
	global_load_sbyte v29, v[22:23], off offset:192
	global_load_sbyte v20, v[20:21], off offset:196
	global_load_sbyte v21, v[22:23], off offset:196
	s_clause 0x1
	global_load_dword v22, v[6:7], off
	global_load_dword v23, v[6:7], off offset:72
	s_clause 0x1
	global_load_ushort v16, v[16:17], off offset:208
	global_load_ushort v14, v[14:15], off offset:208
	v_mov_b32_e32 v15, 0
	v_mov_b32_e32 v17, 0
	v_add_co_u32 v6, vcc_lo, 0x120, v6
	v_add_co_ci_u32_e64 v7, null, 0, v7, vcc_lo
	s_or_b32 s4, s0, s4
	s_waitcnt vmcnt(13)
	v_ashrrev_i32_e32 v26, v11, v26
	s_waitcnt vmcnt(12)
	v_and_b32_e32 v31, 0xf0f0f0f, v27
	v_lshrrev_b32_e32 v27, 4, v27
	s_waitcnt vmcnt(11)
	v_ashrrev_i32_e32 v28, v11, v28
	s_waitcnt vmcnt(10)
	v_and_b32_e32 v32, 0xf0f0f0f, v24
	v_lshrrev_b32_e32 v24, 4, v24
	v_lshlrev_b32_e32 v33, 4, v26
	v_and_b32_e32 v27, 0xf0f0f0f, v27
	v_lshlrev_b32_e32 v34, 4, v28
	v_and_b32_e32 v24, 0xf0f0f0f, v24
	v_and_or_b32 v31, 0x30303030, v33, v31
	v_and_or_b32 v26, 0x30303030, v26, v27
	;; [unrolled: 1-line block ×4, first 2 shown]
	v_lshrrev_b32_e32 v28, 16, v31
	v_and_b32_e32 v32, 0x3f00, v31
	v_lshlrev_b16 v31, 8, v31
	v_lshrrev_b32_e32 v33, 16, v26
	v_lshrrev_b32_e32 v35, 16, v27
	v_and_b32_e32 v34, 0x3f00, v26
	v_lshlrev_b16 v26, 8, v26
	v_lshrrev_b32_e32 v37, 16, v24
	v_add_nc_u16 v31, 0xe000, v31
	v_and_b32_e32 v39, 0x3f00, v28
	v_lshlrev_b16 v28, 8, v28
	v_and_b32_e32 v40, 0x3f00, v33
	v_lshlrev_b16 v33, 8, v33
	v_and_b32_e32 v41, 0x3f00, v35
	v_lshlrev_b16 v35, 8, v35
	v_and_b32_e32 v36, 0x3f00, v27
	v_lshlrev_b16 v27, 8, v27
	v_add_nc_u16 v26, 0xe000, v26
	v_and_b32_e32 v42, 0x3f00, v37
	v_lshlrev_b16 v37, 8, v37
	v_or_b32_sdwa v31, v32, v31 dst_sel:DWORD dst_unused:UNUSED_PAD src0_sel:DWORD src1_sel:BYTE_1
	v_add_nc_u16 v28, 0xe000, v28
	v_add_nc_u16 v32, 0xe000, v33
	;; [unrolled: 1-line block ×3, first 2 shown]
	v_and_b32_e32 v38, 0x3f00, v24
	v_lshlrev_b16 v24, 8, v24
	v_add_nc_u16 v27, 0xe000, v27
	v_or_b32_sdwa v26, v34, v26 dst_sel:DWORD dst_unused:UNUSED_PAD src0_sel:DWORD src1_sel:BYTE_1
	v_add_nc_u16 v34, 0xe000, v37
	v_or_b32_sdwa v28, v39, v28 dst_sel:DWORD dst_unused:UNUSED_PAD src0_sel:DWORD src1_sel:BYTE_1
	v_or_b32_sdwa v33, v41, v33 dst_sel:DWORD dst_unused:UNUSED_PAD src0_sel:DWORD src1_sel:BYTE_1
	v_add_nc_u16 v24, 0xe000, v24
	v_or_b32_sdwa v27, v36, v27 dst_sel:DWORD dst_unused:UNUSED_PAD src0_sel:DWORD src1_sel:BYTE_1
	v_or_b32_sdwa v32, v40, v32 dst_sel:DWORD dst_unused:UNUSED_PAD src0_sel:DWORD src1_sel:BYTE_1
	;; [unrolled: 1-line block ×3, first 2 shown]
	v_add_nc_u16 v28, 0xe000, v28
	v_add_nc_u16 v33, 0xe000, v33
	v_or_b32_sdwa v24, v38, v24 dst_sel:DWORD dst_unused:UNUSED_PAD src0_sel:DWORD src1_sel:BYTE_1
	v_add_nc_u16 v31, 0xe000, v31
	v_add_nc_u16 v27, 0xe000, v27
	;; [unrolled: 1-line block ×4, first 2 shown]
	v_lshlrev_b32_e32 v28, 16, v28
	v_lshlrev_b32_e32 v33, 16, v33
	v_add_nc_u16 v26, 0xe000, v26
	v_add_nc_u16 v24, 0xe000, v24
	v_lshlrev_b32_e32 v32, 16, v32
	v_lshlrev_b32_e32 v34, 16, v34
	v_or_b32_sdwa v28, v31, v28 dst_sel:DWORD dst_unused:UNUSED_PAD src0_sel:WORD_0 src1_sel:DWORD
	v_or_b32_sdwa v27, v27, v33 dst_sel:DWORD dst_unused:UNUSED_PAD src0_sel:WORD_0 src1_sel:DWORD
	v_mov_b32_e32 v31, 0
	v_or_b32_sdwa v26, v26, v32 dst_sel:DWORD dst_unused:UNUSED_PAD src0_sel:WORD_0 src1_sel:DWORD
	v_or_b32_sdwa v24, v24, v34 dst_sel:DWORD dst_unused:UNUSED_PAD src0_sel:WORD_0 src1_sel:DWORD
	s_waitcnt vmcnt(9)
	v_dot4c_i32_i8 v15, v28, v25
	v_dot4c_i32_i8 v30, v27, v25
	s_waitcnt vmcnt(8)
	v_dot4c_i32_i8 v17, v26, v18
	v_dot4c_i32_i8 v31, v24, v18
	s_waitcnt vmcnt(7)
	v_mul_lo_u32 v15, v15, v19
	s_waitcnt vmcnt(6)
	v_mul_lo_u32 v18, v30, v29
	;; [unrolled: 2-line block ×4, first 2 shown]
	v_cvt_f32_i32_e32 v15, v15
	v_cvt_f32_i32_e32 v18, v18
	;; [unrolled: 1-line block ×4, first 2 shown]
	s_waitcnt vmcnt(3)
	v_fma_mix_f32 v15, v22, v15, 0 op_sel_hi:[1,0,0]
	v_fma_mix_f32 v18, v22, v18, 0 op_sel_hi:[1,0,0]
	s_waitcnt vmcnt(2)
	v_fma_mix_f32 v15, v23, v17, v15 op_sel_hi:[1,0,0]
	v_fma_mix_f32 v17, v23, v19, v18 op_sel_hi:[1,0,0]
	;; [unrolled: 3-line block ×3, first 2 shown]
	s_andn2_b32 exec_lo, exec_lo, s4
	s_cbranch_execnz .LBB144_3
; %bb.4:
	s_or_b32 exec_lo, exec_lo, s4
.LBB144_5:
	s_or_b32 exec_lo, exec_lo, s6
	v_mbcnt_lo_u32_b32 v4, -1, 0
	v_xor_b32_e32 v5, 16, v4
	v_xor_b32_e32 v7, 8, v4
	v_cmp_gt_i32_e32 vcc_lo, 32, v5
	v_cndmask_b32_e32 v5, v4, v5, vcc_lo
	v_cmp_gt_i32_e32 vcc_lo, 32, v7
	v_lshlrev_b32_e32 v5, 2, v5
	v_cndmask_b32_e32 v7, v4, v7, vcc_lo
	ds_bpermute_b32 v6, v5, v3
	ds_bpermute_b32 v5, v5, v2
	v_lshlrev_b32_e32 v7, 2, v7
	s_waitcnt lgkmcnt(1)
	v_add_f32_e32 v3, v3, v6
	s_waitcnt lgkmcnt(0)
	v_add_f32_e32 v2, v2, v5
	ds_bpermute_b32 v5, v7, v3
	ds_bpermute_b32 v6, v7, v2
	v_xor_b32_e32 v7, 4, v4
	v_cmp_gt_i32_e32 vcc_lo, 32, v7
	v_cndmask_b32_e32 v7, v4, v7, vcc_lo
	v_lshlrev_b32_e32 v7, 2, v7
	s_waitcnt lgkmcnt(1)
	v_add_f32_e32 v3, v3, v5
	s_waitcnt lgkmcnt(0)
	v_add_f32_e32 v2, v2, v6
	ds_bpermute_b32 v5, v7, v3
	ds_bpermute_b32 v6, v7, v2
	v_xor_b32_e32 v7, 2, v4
	v_cmp_gt_i32_e32 vcc_lo, 32, v7
	v_cndmask_b32_e32 v7, v4, v7, vcc_lo
	;; [unrolled: 10-line block ×3, first 2 shown]
	v_cmp_gt_u32_e32 vcc_lo, 2, v0
	v_lshlrev_b32_e32 v7, 2, v4
	s_waitcnt lgkmcnt(1)
	v_add_f32_e32 v2, v3, v2
	s_waitcnt lgkmcnt(0)
	v_add_f32_e32 v3, v5, v6
	v_add_nc_u32_e32 v6, s1, v0
	ds_bpermute_b32 v4, v7, v2
	ds_bpermute_b32 v5, v7, v3
	v_cmp_gt_u32_e64 s0, s16, v6
	s_and_b32 s0, vcc_lo, s0
	s_and_b32 exec_lo, exec_lo, s0
	s_cbranch_execz .LBB144_7
; %bb.6:
	v_mul_lo_u32 v1, s19, v1
	v_or_b32_e32 v6, s1, v0
	s_mul_i32 s0, s22, s2
	v_mov_b32_e32 v7, 0
	s_waitcnt lgkmcnt(1)
	v_add_f32_e32 v4, v2, v4
	s_waitcnt lgkmcnt(0)
	v_add_f32_e32 v3, v3, v5
	v_cmp_eq_u32_e32 vcc_lo, 1, v0
	v_add3_u32 v6, v6, v1, s0
	v_cndmask_b32_e32 v3, v4, v3, vcc_lo
	v_lshlrev_b64 v[1:2], 2, v[6:7]
	v_add_co_u32 v0, vcc_lo, s14, v1
	v_add_co_ci_u32_e64 v1, null, s15, v2, vcc_lo
	global_store_dword v[0:1], v3, off
.LBB144_7:
	s_endpgm
	.section	.rodata,"a",@progbits
	.p2align	6, 0x0
	.amdhsa_kernel _ZL17mul_mat_vec_q_moeIL9ggml_type14ELi2EEvPKvS2_PKiPfj15HIP_vector_typeIjLj3EEjjjjjjjjj
		.amdhsa_group_segment_fixed_size 0
		.amdhsa_private_segment_fixed_size 0
		.amdhsa_kernarg_size 84
		.amdhsa_user_sgpr_count 6
		.amdhsa_user_sgpr_private_segment_buffer 1
		.amdhsa_user_sgpr_dispatch_ptr 0
		.amdhsa_user_sgpr_queue_ptr 0
		.amdhsa_user_sgpr_kernarg_segment_ptr 1
		.amdhsa_user_sgpr_dispatch_id 0
		.amdhsa_user_sgpr_flat_scratch_init 0
		.amdhsa_user_sgpr_private_segment_size 0
		.amdhsa_wavefront_size32 1
		.amdhsa_uses_dynamic_stack 0
		.amdhsa_system_sgpr_private_segment_wavefront_offset 0
		.amdhsa_system_sgpr_workgroup_id_x 1
		.amdhsa_system_sgpr_workgroup_id_y 1
		.amdhsa_system_sgpr_workgroup_id_z 0
		.amdhsa_system_sgpr_workgroup_info 0
		.amdhsa_system_vgpr_workitem_id 1
		.amdhsa_next_free_vgpr 43
		.amdhsa_next_free_sgpr 28
		.amdhsa_reserve_vcc 1
		.amdhsa_reserve_flat_scratch 0
		.amdhsa_float_round_mode_32 0
		.amdhsa_float_round_mode_16_64 0
		.amdhsa_float_denorm_mode_32 3
		.amdhsa_float_denorm_mode_16_64 3
		.amdhsa_dx10_clamp 1
		.amdhsa_ieee_mode 1
		.amdhsa_fp16_overflow 0
		.amdhsa_workgroup_processor_mode 1
		.amdhsa_memory_ordered 1
		.amdhsa_forward_progress 1
		.amdhsa_shared_vgpr_count 0
		.amdhsa_exception_fp_ieee_invalid_op 0
		.amdhsa_exception_fp_denorm_src 0
		.amdhsa_exception_fp_ieee_div_zero 0
		.amdhsa_exception_fp_ieee_overflow 0
		.amdhsa_exception_fp_ieee_underflow 0
		.amdhsa_exception_fp_ieee_inexact 0
		.amdhsa_exception_int_div_zero 0
	.end_amdhsa_kernel
	.section	.text._ZL17mul_mat_vec_q_moeIL9ggml_type14ELi2EEvPKvS2_PKiPfj15HIP_vector_typeIjLj3EEjjjjjjjjj,"axG",@progbits,_ZL17mul_mat_vec_q_moeIL9ggml_type14ELi2EEvPKvS2_PKiPfj15HIP_vector_typeIjLj3EEjjjjjjjjj,comdat
.Lfunc_end144:
	.size	_ZL17mul_mat_vec_q_moeIL9ggml_type14ELi2EEvPKvS2_PKiPfj15HIP_vector_typeIjLj3EEjjjjjjjjj, .Lfunc_end144-_ZL17mul_mat_vec_q_moeIL9ggml_type14ELi2EEvPKvS2_PKiPfj15HIP_vector_typeIjLj3EEjjjjjjjjj
                                        ; -- End function
	.set _ZL17mul_mat_vec_q_moeIL9ggml_type14ELi2EEvPKvS2_PKiPfj15HIP_vector_typeIjLj3EEjjjjjjjjj.num_vgpr, 43
	.set _ZL17mul_mat_vec_q_moeIL9ggml_type14ELi2EEvPKvS2_PKiPfj15HIP_vector_typeIjLj3EEjjjjjjjjj.num_agpr, 0
	.set _ZL17mul_mat_vec_q_moeIL9ggml_type14ELi2EEvPKvS2_PKiPfj15HIP_vector_typeIjLj3EEjjjjjjjjj.numbered_sgpr, 28
	.set _ZL17mul_mat_vec_q_moeIL9ggml_type14ELi2EEvPKvS2_PKiPfj15HIP_vector_typeIjLj3EEjjjjjjjjj.num_named_barrier, 0
	.set _ZL17mul_mat_vec_q_moeIL9ggml_type14ELi2EEvPKvS2_PKiPfj15HIP_vector_typeIjLj3EEjjjjjjjjj.private_seg_size, 0
	.set _ZL17mul_mat_vec_q_moeIL9ggml_type14ELi2EEvPKvS2_PKiPfj15HIP_vector_typeIjLj3EEjjjjjjjjj.uses_vcc, 1
	.set _ZL17mul_mat_vec_q_moeIL9ggml_type14ELi2EEvPKvS2_PKiPfj15HIP_vector_typeIjLj3EEjjjjjjjjj.uses_flat_scratch, 0
	.set _ZL17mul_mat_vec_q_moeIL9ggml_type14ELi2EEvPKvS2_PKiPfj15HIP_vector_typeIjLj3EEjjjjjjjjj.has_dyn_sized_stack, 0
	.set _ZL17mul_mat_vec_q_moeIL9ggml_type14ELi2EEvPKvS2_PKiPfj15HIP_vector_typeIjLj3EEjjjjjjjjj.has_recursion, 0
	.set _ZL17mul_mat_vec_q_moeIL9ggml_type14ELi2EEvPKvS2_PKiPfj15HIP_vector_typeIjLj3EEjjjjjjjjj.has_indirect_call, 0
	.section	.AMDGPU.csdata,"",@progbits
; Kernel info:
; codeLenInByte = 1780
; TotalNumSgprs: 30
; NumVgprs: 43
; ScratchSize: 0
; MemoryBound: 0
; FloatMode: 240
; IeeeMode: 1
; LDSByteSize: 0 bytes/workgroup (compile time only)
; SGPRBlocks: 0
; VGPRBlocks: 5
; NumSGPRsForWavesPerEU: 30
; NumVGPRsForWavesPerEU: 43
; Occupancy: 16
; WaveLimiterHint : 1
; COMPUTE_PGM_RSRC2:SCRATCH_EN: 0
; COMPUTE_PGM_RSRC2:USER_SGPR: 6
; COMPUTE_PGM_RSRC2:TRAP_HANDLER: 0
; COMPUTE_PGM_RSRC2:TGID_X_EN: 1
; COMPUTE_PGM_RSRC2:TGID_Y_EN: 1
; COMPUTE_PGM_RSRC2:TGID_Z_EN: 0
; COMPUTE_PGM_RSRC2:TIDIG_COMP_CNT: 1
	.section	.text._ZL13mul_mat_vec_qIL9ggml_type14ELi1ELb1ELb1EEvPKvS2_PKi31ggml_cuda_mm_fusion_args_devicePfj15HIP_vector_typeIjLj3EEjjjS8_jjjS8_jjjj,"axG",@progbits,_ZL13mul_mat_vec_qIL9ggml_type14ELi1ELb1ELb1EEvPKvS2_PKi31ggml_cuda_mm_fusion_args_devicePfj15HIP_vector_typeIjLj3EEjjjS8_jjjS8_jjjj,comdat
	.globl	_ZL13mul_mat_vec_qIL9ggml_type14ELi1ELb1ELb1EEvPKvS2_PKi31ggml_cuda_mm_fusion_args_devicePfj15HIP_vector_typeIjLj3EEjjjS8_jjjS8_jjjj ; -- Begin function _ZL13mul_mat_vec_qIL9ggml_type14ELi1ELb1ELb1EEvPKvS2_PKi31ggml_cuda_mm_fusion_args_devicePfj15HIP_vector_typeIjLj3EEjjjS8_jjjS8_jjjj
	.p2align	8
	.type	_ZL13mul_mat_vec_qIL9ggml_type14ELi1ELb1ELb1EEvPKvS2_PKi31ggml_cuda_mm_fusion_args_devicePfj15HIP_vector_typeIjLj3EEjjjS8_jjjS8_jjjj,@function
_ZL13mul_mat_vec_qIL9ggml_type14ELi1ELb1ELb1EEvPKvS2_PKi31ggml_cuda_mm_fusion_args_devicePfj15HIP_vector_typeIjLj3EEjjjS8_jjjS8_jjjj: ; @_ZL13mul_mat_vec_qIL9ggml_type14ELi1ELb1ELb1EEvPKvS2_PKi31ggml_cuda_mm_fusion_args_devicePfj15HIP_vector_typeIjLj3EEjjjS8_jjjS8_jjjj
; %bb.0:
	s_clause 0x3
	s_load_dwordx8 s[12:19], s[4:5], 0x0
	s_load_dwordx4 s[28:31], s[4:5], 0x20
	s_load_dwordx4 s[36:39], s[4:5], 0x40
	s_load_dwordx4 s[20:23], s[4:5], 0x68
	s_mov_b32 s10, s7
	s_waitcnt lgkmcnt(0)
	s_cmp_lg_u64 s[16:17], 0
	s_cselect_b32 s0, -1, 0
	s_cmp_eq_u64 s[16:17], 0
	s_cbranch_scc1 .LBB145_5
; %bb.1:
	s_mov_b32 s11, 0
	s_lshl_b64 s[2:3], s[10:11], 2
	s_add_u32 s2, s16, s2
	s_addc_u32 s3, s17, s3
	s_load_dword s33, s[2:3], 0x0
	s_clause 0x1
	s_load_dword s34, s[4:5], 0x50
	s_load_dword s35, s[4:5], 0x78
	s_cbranch_execnz .LBB145_3
.LBB145_2:
	s_load_dwordx2 s[2:3], s[4:5], 0x5c
	s_waitcnt lgkmcnt(0)
	s_mul_hi_u32 s1, s2, s10
	s_add_i32 s1, s10, s1
	s_lshr_b32 s33, s1, s3
.LBB145_3:
	s_andn2_b32 vcc_lo, exec_lo, s0
	s_cbranch_vccnz .LBB145_6
; %bb.4:
	s_mul_hi_u32 s0, s37, s10
	s_waitcnt lgkmcnt(0)
	s_mov_b32 s1, s33
	s_add_i32 s0, s10, s0
	s_lshr_b32 s0, s0, s38
	s_mul_i32 s0, s0, s39
	s_sub_i32 s11, s10, s0
	s_branch .LBB145_7
.LBB145_5:
                                        ; implicit-def: $sgpr33
	s_clause 0x1
	s_load_dword s34, s[4:5], 0x50
	s_load_dword s35, s[4:5], 0x78
	s_branch .LBB145_2
.LBB145_6:
	s_mov_b32 s1, s10
	s_mov_b32 s11, s10
.LBB145_7:
	s_load_dwordx4 s[24:27], s[4:5], 0x80
	v_or_b32_e32 v2, v0, v1
	s_cmp_lg_u64 s[18:19], 0
	v_mov_b32_e32 v4, 0
	v_mov_b32_e32 v5, 0
	s_cselect_b32 s0, -1, 0
	v_cmp_eq_u32_e32 vcc_lo, 0, v2
	s_mov_b32 s17, 0
	s_mul_i32 s2, s1, s22
	s_and_b32 s3, s0, vcc_lo
	s_and_saveexec_b32 s1, s3
	s_cbranch_execz .LBB145_9
; %bb.8:
	s_waitcnt lgkmcnt(0)
	s_mul_i32 s16, s26, s8
	s_mov_b32 s3, s17
	s_lshl_b64 s[38:39], s[16:17], 2
	v_lshlrev_b32_e32 v2, 2, v0
	s_add_u32 s7, s18, s38
	s_addc_u32 s9, s19, s39
	s_lshl_b64 s[16:17], s[2:3], 2
	s_add_u32 s3, s7, s16
	s_addc_u32 s9, s9, s17
	s_ashr_i32 s7, s6, 31
	s_lshl_b64 s[16:17], s[6:7], 2
	s_add_u32 s16, s3, s16
	s_addc_u32 s17, s9, s17
	global_load_dword v5, v2, s[16:17]
.LBB145_9:
	s_or_b32 exec_lo, exec_lo, s1
	s_cmp_lg_u64 s[28:29], 0
	s_cselect_b32 s9, -1, 0
	s_cmp_lg_u64 s[30:31], 0
	s_cselect_b32 s1, -1, 0
	s_and_b32 s3, s1, s9
	s_and_b32 s3, s3, vcc_lo
	s_and_saveexec_b32 s16, s3
	s_cbranch_execz .LBB145_11
; %bb.10:
	s_waitcnt lgkmcnt(0)
	s_mul_i32 s18, s26, s8
	s_mov_b32 s19, 0
	v_lshlrev_b32_e32 v2, 2, v0
	s_lshl_b64 s[38:39], s[18:19], 2
	s_mov_b32 s3, s19
	s_add_u32 s7, s30, s38
	s_addc_u32 s17, s31, s39
	s_lshl_b64 s[2:3], s[2:3], 2
	s_add_u32 s18, s7, s2
	s_addc_u32 s17, s17, s3
	s_ashr_i32 s7, s6, 31
	s_lshl_b64 s[2:3], s[6:7], 2
	s_add_u32 s2, s18, s2
	s_addc_u32 s3, s17, s3
	global_load_dword v4, v2, s[2:3]
.LBB145_11:
	s_or_b32 exec_lo, exec_lo, s16
	v_mov_b32_e32 v8, 0
	v_cndmask_b32_e64 v6, 0, 1, s9
	v_mov_b32_e32 v7, 0
	s_lshr_b32 s3, s36, 8
	s_mov_b32 s7, exec_lo
	v_cmpx_gt_u32_e64 s3, v1
	s_cbranch_execz .LBB145_17
; %bb.12:
	v_and_b32_e32 v7, 15, v0
	s_mul_i32 s11, s11, s21
	v_lshrrev_b32_e32 v8, 4, v0
	s_mul_hi_u32 s17, s11, 36
	s_mul_i32 s16, s11, 36
	v_lshrrev_b16 v9, 3, v7
	v_mad_u64_u32 v[2:3], null, 0x120, v1, s[16:17]
	s_waitcnt lgkmcnt(0)
	s_mul_i32 s11, s25, s8
	v_lshlrev_b32_e32 v10, 3, v8
	v_and_b32_e32 v9, 0xffff, v9
	v_and_b32_e32 v11, 7, v0
	s_mul_hi_u32 s2, s23, s8
	v_lshrrev_b16 v7, 2, v7
	v_mad_u64_u32 v[2:3], null, s11, 36, v[2:3]
	v_lshl_or_b32 v8, v8, 2, v9
	v_or_b32_e32 v12, v10, v11
	s_add_i32 s2, s8, s2
	v_lshlrev_b32_e32 v13, 1, v0
	s_lshr_b32 s2, s2, s35
	s_mul_i32 s34, s34, s6
	v_mad_u64_u32 v[2:3], null, v8, 36, v[2:3]
	v_lshlrev_b32_e32 v14, 1, v12
	s_mul_i32 s2, s2, s24
	v_mov_b32_e32 v8, 0
	v_lshlrev_b32_e32 v9, 1, v9
	v_or_b32_sdwa v10, v10, v7 dst_sel:DWORD dst_unused:UNUSED_PAD src0_sel:DWORD src1_sel:WORD_0
	v_lshlrev_b32_e32 v11, 2, v11
	v_add_co_u32 v2, vcc_lo, s14, v2
	v_add_co_ci_u32_e64 v3, null, s15, v3, vcc_lo
	v_lshlrev_b32_e32 v12, 1, v13
	v_lshlrev_b32_e32 v13, 1, v14
	v_mov_b32_e32 v14, v1
	v_mov_b32_e32 v7, 0
	s_mul_i32 s11, s33, s20
	s_add_i32 s2, s2, s34
	s_add_i32 s14, s11, s2
	s_mov_b32 s11, 0
	s_branch .LBB145_14
.LBB145_13:                             ;   in Loop: Header=BB145_14 Depth=1
	s_waitcnt vmcnt(3)
	v_ashrrev_i32_e32 v23, v9, v23
	v_and_b32_e32 v24, 0xf0f0f0f, v22
	v_lshrrev_b32_e32 v22, 4, v22
	s_waitcnt vmcnt(1)
	v_bfe_i32 v21, v21, 0, 8
	v_add_nc_u32_e32 v14, 1, v14
	v_lshlrev_b32_e32 v25, 4, v23
	v_add_co_u32 v2, s2, 0x120, v2
	v_and_b32_e32 v22, 0xf0f0f0f, v22
	v_cmp_le_u32_e32 vcc_lo, s3, v14
	v_and_or_b32 v24, 0x30303030, v25, v24
	v_add_co_ci_u32_e64 v3, null, 0, v3, s2
	v_and_or_b32 v22, 0x30303030, v23, v22
	s_or_b32 s11, vcc_lo, s11
	v_lshrrev_b32_e32 v23, 16, v24
	v_and_b32_e32 v27, 0x3f00, v24
	v_lshlrev_b16 v24, 8, v24
	v_lshrrev_b32_e32 v25, 16, v22
	v_lshlrev_b16 v29, 8, v22
	v_lshlrev_b16 v26, 8, v23
	v_and_b32_e32 v23, 0x3f00, v23
	v_add_nc_u16 v24, 0xe000, v24
	v_lshlrev_b16 v28, 8, v25
	v_and_b32_e32 v25, 0x3f00, v25
	v_add_nc_u16 v26, 0xe000, v26
	v_and_b32_e32 v22, 0x3f00, v22
	v_or_b32_sdwa v24, v27, v24 dst_sel:DWORD dst_unused:UNUSED_PAD src0_sel:DWORD src1_sel:BYTE_1
	v_add_nc_u16 v28, 0xe000, v28
	v_or_b32_sdwa v23, v23, v26 dst_sel:DWORD dst_unused:UNUSED_PAD src0_sel:DWORD src1_sel:BYTE_1
	v_add_nc_u16 v26, 0xe000, v29
	v_add_nc_u16 v24, 0xe000, v24
	v_or_b32_sdwa v25, v25, v28 dst_sel:DWORD dst_unused:UNUSED_PAD src0_sel:DWORD src1_sel:BYTE_1
	v_add_nc_u16 v23, 0xe000, v23
	v_or_b32_sdwa v22, v22, v26 dst_sel:DWORD dst_unused:UNUSED_PAD src0_sel:DWORD src1_sel:BYTE_1
	v_mov_b32_e32 v26, 0
	v_add_nc_u16 v25, 0xe000, v25
	v_lshlrev_b32_e32 v23, 16, v23
	v_add_nc_u16 v22, 0xe000, v22
	v_lshlrev_b32_e32 v25, 16, v25
	v_or_b32_sdwa v23, v24, v23 dst_sel:DWORD dst_unused:UNUSED_PAD src0_sel:WORD_0 src1_sel:DWORD
	v_mov_b32_e32 v24, 0
	v_or_b32_sdwa v22, v22, v25 dst_sel:DWORD dst_unused:UNUSED_PAD src0_sel:WORD_0 src1_sel:DWORD
	v_dot4c_i32_i8 v26, v23, v16
	s_waitcnt vmcnt(0)
	v_bfe_i32 v16, v20, 0, 8
	v_dot4c_i32_i8 v24, v22, v17
	v_mul_lo_u32 v17, v26, v21
	v_mul_lo_u32 v16, v24, v16
	v_cvt_f32_i32_e32 v17, v17
	v_cvt_f32_i32_e32 v16, v16
	v_fma_f32 v17, v19, v17, 0
	v_fmac_f32_e32 v17, v18, v16
	v_fma_mix_f32 v8, v17, v15, v8 op_sel_hi:[0,1,0]
	s_andn2_b32 exec_lo, exec_lo, s11
	s_cbranch_execz .LBB145_16
.LBB145_14:                             ; =>This Inner Loop Header: Depth=1
	v_add_nc_u32_e32 v24, s14, v14
	v_add_co_u32 v20, vcc_lo, v2, v11
	v_add_co_ci_u32_e64 v21, null, 0, v3, vcc_lo
	v_mad_i64_i32 v[18:19], null, 0xd2, v24, s[12:13]
	s_clause 0x1
	global_load_dword v16, v[20:21], off offset:4
	global_load_dword v17, v[20:21], off offset:76
	v_add_co_u32 v22, vcc_lo, v18, v12
	v_add_co_ci_u32_e64 v23, null, 0, v19, vcc_lo
	v_add_co_u32 v25, vcc_lo, v18, v13
	v_add_co_ci_u32_e64 v26, null, 0, v19, vcc_lo
	v_add_co_u32 v27, vcc_lo, v18, v10
	v_add_co_ci_u32_e64 v28, null, 0, v19, vcc_lo
	s_clause 0x1
	global_load_dword v29, v[2:3], off
	global_load_dword v30, v[2:3], off offset:72
	s_clause 0x4
	global_load_dword v22, v[22:23], off
	global_load_dword v23, v[25:26], off offset:128
	global_load_ushort v15, v[18:19], off offset:208
	global_load_ubyte v21, v[27:28], off offset:192
	global_load_ubyte v20, v[27:28], off offset:196
	s_andn2_b32 vcc_lo, exec_lo, s9
	s_waitcnt vmcnt(6)
	v_cvt_f32_f16_e32 v19, v29
	s_waitcnt vmcnt(5)
	v_cvt_f32_f16_e32 v18, v30
	s_cbranch_vccnz .LBB145_13
; %bb.15:                               ;   in Loop: Header=BB145_14 Depth=1
	v_mad_i64_i32 v[24:25], null, 0xd2, v24, s[28:29]
	v_add_co_u32 v26, vcc_lo, v24, v13
	v_add_co_ci_u32_e64 v27, null, 0, v25, vcc_lo
	v_add_co_u32 v28, vcc_lo, v24, v12
	v_add_co_ci_u32_e64 v29, null, 0, v25, vcc_lo
	s_clause 0x1
	global_load_dword v30, v[26:27], off offset:128
	global_load_dword v28, v[28:29], off
	v_add_co_u32 v26, vcc_lo, v24, v10
	v_add_co_ci_u32_e64 v27, null, 0, v25, vcc_lo
	s_clause 0x2
	global_load_sbyte v29, v[26:27], off offset:192
	global_load_sbyte v26, v[26:27], off offset:196
	global_load_ushort v24, v[24:25], off offset:208
	s_waitcnt vmcnt(4)
	v_ashrrev_i32_e32 v25, v9, v30
	s_waitcnt vmcnt(3)
	v_and_b32_e32 v27, 0xf0f0f0f, v28
	v_lshrrev_b32_e32 v28, 4, v28
	v_lshlrev_b32_e32 v30, 4, v25
	v_and_b32_e32 v28, 0xf0f0f0f, v28
	v_and_or_b32 v27, 0x30303030, v30, v27
	v_and_or_b32 v25, 0x30303030, v25, v28
	v_lshrrev_b32_e32 v30, 16, v27
	v_and_b32_e32 v32, 0x3f00, v27
	v_lshrrev_b32_e32 v31, 16, v25
	v_lshlrev_b16 v27, 8, v27
	v_lshlrev_b16 v34, 8, v25
	;; [unrolled: 1-line block ×3, first 2 shown]
	v_and_b32_e32 v30, 0x3f00, v30
	v_lshlrev_b16 v33, 8, v31
	v_add_nc_u16 v27, 0xe000, v27
	v_and_b32_e32 v31, 0x3f00, v31
	v_add_nc_u16 v28, 0xe000, v28
	v_and_b32_e32 v25, 0x3f00, v25
	v_or_b32_sdwa v27, v32, v27 dst_sel:DWORD dst_unused:UNUSED_PAD src0_sel:DWORD src1_sel:BYTE_1
	v_or_b32_sdwa v28, v30, v28 dst_sel:DWORD dst_unused:UNUSED_PAD src0_sel:DWORD src1_sel:BYTE_1
	v_add_nc_u16 v30, 0xe000, v33
	v_add_nc_u16 v33, 0xe000, v34
	;; [unrolled: 1-line block ×4, first 2 shown]
	v_or_b32_sdwa v30, v31, v30 dst_sel:DWORD dst_unused:UNUSED_PAD src0_sel:DWORD src1_sel:BYTE_1
	v_or_b32_sdwa v25, v25, v33 dst_sel:DWORD dst_unused:UNUSED_PAD src0_sel:DWORD src1_sel:BYTE_1
	v_mov_b32_e32 v31, 0
	v_lshlrev_b32_e32 v28, 16, v28
	v_add_nc_u16 v30, 0xe000, v30
	v_add_nc_u16 v25, 0xe000, v25
	v_or_b32_sdwa v27, v27, v28 dst_sel:DWORD dst_unused:UNUSED_PAD src0_sel:WORD_0 src1_sel:DWORD
	v_lshlrev_b32_e32 v28, 16, v30
	v_mov_b32_e32 v30, 0
	v_dot4c_i32_i8 v31, v27, v16
	v_or_b32_sdwa v25, v25, v28 dst_sel:DWORD dst_unused:UNUSED_PAD src0_sel:WORD_0 src1_sel:DWORD
	s_waitcnt vmcnt(2)
	v_mul_lo_u32 v27, v31, v29
	v_dot4c_i32_i8 v30, v25, v17
	s_waitcnt vmcnt(1)
	v_mul_lo_u32 v25, v30, v26
	v_cvt_f32_i32_e32 v26, v27
	v_fma_f32 v26, v19, v26, 0
	v_cvt_f32_i32_e32 v25, v25
	v_fmac_f32_e32 v26, v18, v25
	s_waitcnt vmcnt(0)
	v_fma_mix_f32 v7, v26, v24, v7 op_sel_hi:[0,1,0]
	s_branch .LBB145_13
.LBB145_16:
	s_or_b32 exec_lo, exec_lo, s11
.LBB145_17:
	s_or_b32 exec_lo, exec_lo, s7
	s_load_dword s2, s[4:5], 0x30
	s_waitcnt vmcnt(0) lgkmcnt(0)
	; wave barrier
	buffer_gl0_inv
	s_mov_b32 s3, exec_lo
	v_cmpx_eq_u32_e32 0, v1
	s_cbranch_execz .LBB145_44
; %bb.18:
	v_mbcnt_lo_u32_b32 v2, -1, 0
	v_xor_b32_e32 v1, 16, v2
	v_xor_b32_e32 v9, 8, v2
	v_cmp_gt_i32_e32 vcc_lo, 32, v1
	v_cndmask_b32_e32 v1, v2, v1, vcc_lo
	v_cmp_gt_i32_e32 vcc_lo, 32, v9
	v_lshlrev_b32_e32 v1, 2, v1
	v_cndmask_b32_e32 v9, v2, v9, vcc_lo
	ds_bpermute_b32 v3, v1, v8
	v_lshlrev_b32_e32 v9, 2, v9
	s_waitcnt lgkmcnt(0)
	v_add_f32_e32 v3, v8, v3
	v_xor_b32_e32 v8, 4, v2
	ds_bpermute_b32 v10, v9, v3
	v_cmp_gt_i32_e32 vcc_lo, 32, v8
	v_cndmask_b32_e32 v8, v2, v8, vcc_lo
	v_lshlrev_b32_e32 v8, 2, v8
	s_waitcnt lgkmcnt(0)
	v_add_f32_e32 v3, v3, v10
	v_xor_b32_e32 v10, 2, v2
	ds_bpermute_b32 v11, v8, v3
	v_cmp_gt_i32_e32 vcc_lo, 32, v10
	v_cndmask_b32_e32 v10, v2, v10, vcc_lo
	;; [unrolled: 7-line block ×3, first 2 shown]
	v_cmp_ne_u32_e32 vcc_lo, 1, v6
	v_lshlrev_b32_e32 v11, 2, v2
	s_waitcnt lgkmcnt(0)
	v_add_f32_e32 v2, v3, v12
	ds_bpermute_b32 v3, v11, v2
	s_cbranch_vccnz .LBB145_20
; %bb.19:
	ds_bpermute_b32 v1, v1, v7
	s_waitcnt lgkmcnt(0)
	v_add_f32_e32 v1, v7, v1
	ds_bpermute_b32 v7, v9, v1
	s_waitcnt lgkmcnt(0)
	v_add_f32_e32 v1, v1, v7
	;; [unrolled: 3-line block ×5, first 2 shown]
.LBB145_20:
	v_cmp_eq_u32_e32 vcc_lo, 0, v0
	s_and_b32 exec_lo, exec_lo, vcc_lo
	s_cbranch_execz .LBB145_44
; %bb.21:
	s_waitcnt lgkmcnt(0)
	v_add_f32_e32 v1, v2, v3
	v_cmp_ne_u32_e32 vcc_lo, 1, v6
	v_add_f32_e32 v2, v5, v1
	v_cndmask_b32_e64 v1, v1, v2, s0
	s_cbranch_vccnz .LBB145_43
; %bb.22:
	v_add_f32_e32 v2, v4, v7
	s_cmp_lt_i32 s2, 2
	s_mov_b32 s0, 0
	v_cndmask_b32_e64 v2, v7, v2, s1
	s_cbranch_scc1 .LBB145_26
; %bb.23:
	s_cmp_gt_i32 s2, 2
	s_cbranch_scc0 .LBB145_27
; %bb.24:
	s_cmp_eq_u32 s2, 3
	s_cbranch_scc0 .LBB145_28
; %bb.25:
	v_max_f32_e32 v3, v2, v2
	s_mov_b32 s1, 0
	v_min_f32_e32 v3, 0x40e00000, v3
	v_mul_f32_e32 v4, 0xbfd9db23, v3
	v_mul_f32_e32 v5, 0x3fb8aa3b, v4
	v_cmp_ngt_f32_e32 vcc_lo, 0xc2ce8ed0, v4
	v_fma_f32 v6, 0x3fb8aa3b, v4, -v5
	v_rndne_f32_e32 v7, v5
	v_fmamk_f32 v6, v4, 0x32a5705f, v6
	v_sub_f32_e32 v5, v5, v7
	v_add_f32_e32 v5, v5, v6
	v_cvt_i32_f32_e32 v6, v7
	v_exp_f32_e32 v5, v5
	v_ldexp_f32 v5, v5, v6
	v_cndmask_b32_e32 v5, 0, v5, vcc_lo
	v_cmp_nlt_f32_e32 vcc_lo, 0x42b17218, v4
	v_cndmask_b32_e32 v4, 0x7f800000, v5, vcc_lo
	v_add_f32_e32 v4, 1.0, v4
	v_div_scale_f32 v5, null, v4, v4, v3
	v_div_scale_f32 v8, vcc_lo, v3, v4, v3
	v_rcp_f32_e32 v6, v5
	v_fma_f32 v7, -v5, v6, 1.0
	v_fmac_f32_e32 v6, v7, v6
	v_mul_f32_e32 v7, v8, v6
	v_fma_f32 v9, -v5, v7, v8
	v_fmac_f32_e32 v7, v9, v6
	v_max_f32_e32 v9, v1, v1
	v_fma_f32 v5, -v5, v7, v8
	v_min_f32_e32 v8, 0x40e00000, v9
	v_div_fmas_f32 v5, v5, v6, v7
	v_max_f32_e32 v6, 0xc0e00000, v8
	v_div_fixup_f32 v3, v5, v4, v3
	v_add_f32_e32 v4, 1.0, v6
	v_mul_f32_e32 v3, v4, v3
	s_branch .LBB145_29
.LBB145_26:
	s_mov_b32 s1, 0
                                        ; implicit-def: $vgpr3
	s_cbranch_execnz .LBB145_33
	s_branch .LBB145_34
.LBB145_27:
	s_mov_b32 s3, -1
	s_mov_b32 s1, 0
                                        ; implicit-def: $vgpr3
	s_branch .LBB145_30
.LBB145_28:
	s_mov_b32 s1, -1
                                        ; implicit-def: $vgpr3
.LBB145_29:
	s_mov_b32 s3, 0
.LBB145_30:
	s_and_b32 vcc_lo, exec_lo, s3
	s_cbranch_vccz .LBB145_32
; %bb.31:
	v_mul_f32_e32 v3, 0xbfb8aa3b, v2
	v_cmp_nlt_f32_e32 vcc_lo, 0x42ce8ed0, v2
	v_rndne_f32_e32 v4, v3
	v_fma_f32 v5, 0xbfb8aa3b, v2, -v3
	v_sub_f32_e32 v3, v3, v4
	v_fmamk_f32 v5, v2, 0xb2a5705f, v5
	v_cvt_i32_f32_e32 v4, v4
	v_add_f32_e32 v3, v3, v5
	v_exp_f32_e32 v3, v3
	v_ldexp_f32 v3, v3, v4
	v_cndmask_b32_e32 v3, 0, v3, vcc_lo
	v_cmp_ngt_f32_e32 vcc_lo, 0xc2b17218, v2
	v_cndmask_b32_e32 v3, 0x7f800000, v3, vcc_lo
	v_add_f32_e32 v3, 1.0, v3
	v_div_scale_f32 v4, null, v3, v3, v2
	v_rcp_f32_e32 v5, v4
	v_fma_f32 v6, -v4, v5, 1.0
	v_fmac_f32_e32 v5, v6, v5
	v_div_scale_f32 v6, vcc_lo, v2, v3, v2
	v_mul_f32_e32 v7, v6, v5
	v_fma_f32 v8, -v4, v7, v6
	v_fmac_f32_e32 v7, v8, v5
	v_fma_f32 v4, -v4, v7, v6
	v_div_fmas_f32 v4, v4, v5, v7
	v_div_fixup_f32 v3, v4, v3, v2
	v_mul_f32_e32 v3, v1, v3
.LBB145_32:
	s_branch .LBB145_34
.LBB145_33:
	s_cmp_lg_u32 s2, 1
	s_mov_b32 s0, -1
	s_cselect_b32 s1, -1, 0
.LBB145_34:
	s_andn2_b32 vcc_lo, exec_lo, s1
	s_cbranch_vccz .LBB145_36
; %bb.35:
	s_andn2_b32 vcc_lo, exec_lo, s0
	s_cbranch_vccz .LBB145_37
	s_branch .LBB145_42
.LBB145_36:
	v_mul_f32_e32 v3, v2, v1
	s_cbranch_execnz .LBB145_42
.LBB145_37:
	v_mul_f32_e32 v3, 0x3d372713, v2
	v_mul_f32_e32 v4, 0x3f4c422a, v2
	v_fma_f32 v3, v2, v3, 1.0
	v_mul_f32_e32 v3, v4, v3
                                        ; implicit-def: $vgpr4
	v_cmp_ngt_f32_e64 s0, 0x3f200000, |v3|
	s_and_saveexec_b32 s1, s0
	s_xor_b32 s0, exec_lo, s1
	s_cbranch_execz .LBB145_39
; %bb.38:
	v_add_f32_e64 v4, |v3|, |v3|
	v_mul_f32_e32 v5, 0x3fb8aa3b, v4
	v_cmp_ngt_f32_e32 vcc_lo, 0xc2ce8ed0, v4
	v_rndne_f32_e32 v6, v5
	v_fma_f32 v7, 0x3fb8aa3b, v4, -v5
	v_sub_f32_e32 v5, v5, v6
	v_fmamk_f32 v7, v4, 0x32a5705f, v7
	v_cvt_i32_f32_e32 v6, v6
	v_add_f32_e32 v5, v5, v7
	v_exp_f32_e32 v5, v5
	v_ldexp_f32 v5, v5, v6
	v_cndmask_b32_e32 v5, 0, v5, vcc_lo
	v_cmp_nlt_f32_e32 vcc_lo, 0x42b17218, v4
	v_cndmask_b32_e32 v4, 0x7f800000, v5, vcc_lo
	v_add_f32_e32 v4, 1.0, v4
	v_rcp_f32_e32 v4, v4
	v_fma_f32 v4, v4, -2.0, 1.0
.LBB145_39:
	s_andn2_saveexec_b32 s0, s0
	s_cbranch_execz .LBB145_41
; %bb.40:
	v_mul_f32_e32 v4, v3, v3
	s_mov_b32 s1, 0xbbbac73d
	v_fmaak_f32 v5, s1, v4, 0x3ca908c9
	v_fmaak_f32 v5, v4, v5, 0xbd5c1c4e
	;; [unrolled: 1-line block ×4, first 2 shown]
	v_mul_f32_e64 v5, |v3|, v5
	v_fma_f32 v4, v4, v5, |v3|
.LBB145_41:
	s_or_b32 exec_lo, exec_lo, s0
	v_bfi_b32 v3, 0x7fffffff, v4, v3
	v_mul_f32_e32 v2, 0.5, v2
	v_add_f32_e32 v3, 1.0, v3
	v_mul_f32_e32 v2, v2, v3
	v_mul_f32_e32 v3, v1, v2
.LBB145_42:
	v_mov_b32_e32 v1, v3
.LBB145_43:
	s_load_dwordx2 s[0:1], s[4:5], 0x38
	s_mul_i32 s2, s22, s10
	s_mul_i32 s3, s26, s8
	s_add_i32 s2, s2, s6
	v_lshlrev_b32_e32 v0, 2, v0
	s_add_i32 s2, s2, s3
	s_mov_b32 s3, 0
	s_lshl_b64 s[2:3], s[2:3], 2
	s_waitcnt lgkmcnt(0)
	s_add_u32 s0, s0, s2
	s_addc_u32 s1, s1, s3
	global_store_dword v0, v1, s[0:1]
.LBB145_44:
	s_endpgm
	.section	.rodata,"a",@progbits
	.p2align	6, 0x0
	.amdhsa_kernel _ZL13mul_mat_vec_qIL9ggml_type14ELi1ELb1ELb1EEvPKvS2_PKi31ggml_cuda_mm_fusion_args_devicePfj15HIP_vector_typeIjLj3EEjjjS8_jjjS8_jjjj
		.amdhsa_group_segment_fixed_size 0
		.amdhsa_private_segment_fixed_size 0
		.amdhsa_kernarg_size 144
		.amdhsa_user_sgpr_count 6
		.amdhsa_user_sgpr_private_segment_buffer 1
		.amdhsa_user_sgpr_dispatch_ptr 0
		.amdhsa_user_sgpr_queue_ptr 0
		.amdhsa_user_sgpr_kernarg_segment_ptr 1
		.amdhsa_user_sgpr_dispatch_id 0
		.amdhsa_user_sgpr_flat_scratch_init 0
		.amdhsa_user_sgpr_private_segment_size 0
		.amdhsa_wavefront_size32 1
		.amdhsa_uses_dynamic_stack 0
		.amdhsa_system_sgpr_private_segment_wavefront_offset 0
		.amdhsa_system_sgpr_workgroup_id_x 1
		.amdhsa_system_sgpr_workgroup_id_y 1
		.amdhsa_system_sgpr_workgroup_id_z 1
		.amdhsa_system_sgpr_workgroup_info 0
		.amdhsa_system_vgpr_workitem_id 1
		.amdhsa_next_free_vgpr 35
		.amdhsa_next_free_sgpr 40
		.amdhsa_reserve_vcc 1
		.amdhsa_reserve_flat_scratch 0
		.amdhsa_float_round_mode_32 0
		.amdhsa_float_round_mode_16_64 0
		.amdhsa_float_denorm_mode_32 3
		.amdhsa_float_denorm_mode_16_64 3
		.amdhsa_dx10_clamp 1
		.amdhsa_ieee_mode 1
		.amdhsa_fp16_overflow 0
		.amdhsa_workgroup_processor_mode 1
		.amdhsa_memory_ordered 1
		.amdhsa_forward_progress 1
		.amdhsa_shared_vgpr_count 0
		.amdhsa_exception_fp_ieee_invalid_op 0
		.amdhsa_exception_fp_denorm_src 0
		.amdhsa_exception_fp_ieee_div_zero 0
		.amdhsa_exception_fp_ieee_overflow 0
		.amdhsa_exception_fp_ieee_underflow 0
		.amdhsa_exception_fp_ieee_inexact 0
		.amdhsa_exception_int_div_zero 0
	.end_amdhsa_kernel
	.section	.text._ZL13mul_mat_vec_qIL9ggml_type14ELi1ELb1ELb1EEvPKvS2_PKi31ggml_cuda_mm_fusion_args_devicePfj15HIP_vector_typeIjLj3EEjjjS8_jjjS8_jjjj,"axG",@progbits,_ZL13mul_mat_vec_qIL9ggml_type14ELi1ELb1ELb1EEvPKvS2_PKi31ggml_cuda_mm_fusion_args_devicePfj15HIP_vector_typeIjLj3EEjjjS8_jjjS8_jjjj,comdat
.Lfunc_end145:
	.size	_ZL13mul_mat_vec_qIL9ggml_type14ELi1ELb1ELb1EEvPKvS2_PKi31ggml_cuda_mm_fusion_args_devicePfj15HIP_vector_typeIjLj3EEjjjS8_jjjS8_jjjj, .Lfunc_end145-_ZL13mul_mat_vec_qIL9ggml_type14ELi1ELb1ELb1EEvPKvS2_PKi31ggml_cuda_mm_fusion_args_devicePfj15HIP_vector_typeIjLj3EEjjjS8_jjjS8_jjjj
                                        ; -- End function
	.set _ZL13mul_mat_vec_qIL9ggml_type14ELi1ELb1ELb1EEvPKvS2_PKi31ggml_cuda_mm_fusion_args_devicePfj15HIP_vector_typeIjLj3EEjjjS8_jjjS8_jjjj.num_vgpr, 35
	.set _ZL13mul_mat_vec_qIL9ggml_type14ELi1ELb1ELb1EEvPKvS2_PKi31ggml_cuda_mm_fusion_args_devicePfj15HIP_vector_typeIjLj3EEjjjS8_jjjS8_jjjj.num_agpr, 0
	.set _ZL13mul_mat_vec_qIL9ggml_type14ELi1ELb1ELb1EEvPKvS2_PKi31ggml_cuda_mm_fusion_args_devicePfj15HIP_vector_typeIjLj3EEjjjS8_jjjS8_jjjj.numbered_sgpr, 40
	.set _ZL13mul_mat_vec_qIL9ggml_type14ELi1ELb1ELb1EEvPKvS2_PKi31ggml_cuda_mm_fusion_args_devicePfj15HIP_vector_typeIjLj3EEjjjS8_jjjS8_jjjj.num_named_barrier, 0
	.set _ZL13mul_mat_vec_qIL9ggml_type14ELi1ELb1ELb1EEvPKvS2_PKi31ggml_cuda_mm_fusion_args_devicePfj15HIP_vector_typeIjLj3EEjjjS8_jjjS8_jjjj.private_seg_size, 0
	.set _ZL13mul_mat_vec_qIL9ggml_type14ELi1ELb1ELb1EEvPKvS2_PKi31ggml_cuda_mm_fusion_args_devicePfj15HIP_vector_typeIjLj3EEjjjS8_jjjS8_jjjj.uses_vcc, 1
	.set _ZL13mul_mat_vec_qIL9ggml_type14ELi1ELb1ELb1EEvPKvS2_PKi31ggml_cuda_mm_fusion_args_devicePfj15HIP_vector_typeIjLj3EEjjjS8_jjjS8_jjjj.uses_flat_scratch, 0
	.set _ZL13mul_mat_vec_qIL9ggml_type14ELi1ELb1ELb1EEvPKvS2_PKi31ggml_cuda_mm_fusion_args_devicePfj15HIP_vector_typeIjLj3EEjjjS8_jjjS8_jjjj.has_dyn_sized_stack, 0
	.set _ZL13mul_mat_vec_qIL9ggml_type14ELi1ELb1ELb1EEvPKvS2_PKi31ggml_cuda_mm_fusion_args_devicePfj15HIP_vector_typeIjLj3EEjjjS8_jjjS8_jjjj.has_recursion, 0
	.set _ZL13mul_mat_vec_qIL9ggml_type14ELi1ELb1ELb1EEvPKvS2_PKi31ggml_cuda_mm_fusion_args_devicePfj15HIP_vector_typeIjLj3EEjjjS8_jjjS8_jjjj.has_indirect_call, 0
	.section	.AMDGPU.csdata,"",@progbits
; Kernel info:
; codeLenInByte = 2880
; TotalNumSgprs: 42
; NumVgprs: 35
; ScratchSize: 0
; MemoryBound: 0
; FloatMode: 240
; IeeeMode: 1
; LDSByteSize: 0 bytes/workgroup (compile time only)
; SGPRBlocks: 0
; VGPRBlocks: 4
; NumSGPRsForWavesPerEU: 42
; NumVGPRsForWavesPerEU: 35
; Occupancy: 16
; WaveLimiterHint : 0
; COMPUTE_PGM_RSRC2:SCRATCH_EN: 0
; COMPUTE_PGM_RSRC2:USER_SGPR: 6
; COMPUTE_PGM_RSRC2:TRAP_HANDLER: 0
; COMPUTE_PGM_RSRC2:TGID_X_EN: 1
; COMPUTE_PGM_RSRC2:TGID_Y_EN: 1
; COMPUTE_PGM_RSRC2:TGID_Z_EN: 1
; COMPUTE_PGM_RSRC2:TIDIG_COMP_CNT: 1
	.section	.text._ZL13mul_mat_vec_qIL9ggml_type14ELi1ELb0ELb1EEvPKvS2_PKi31ggml_cuda_mm_fusion_args_devicePfj15HIP_vector_typeIjLj3EEjjjS8_jjjS8_jjjj,"axG",@progbits,_ZL13mul_mat_vec_qIL9ggml_type14ELi1ELb0ELb1EEvPKvS2_PKi31ggml_cuda_mm_fusion_args_devicePfj15HIP_vector_typeIjLj3EEjjjS8_jjjS8_jjjj,comdat
	.globl	_ZL13mul_mat_vec_qIL9ggml_type14ELi1ELb0ELb1EEvPKvS2_PKi31ggml_cuda_mm_fusion_args_devicePfj15HIP_vector_typeIjLj3EEjjjS8_jjjS8_jjjj ; -- Begin function _ZL13mul_mat_vec_qIL9ggml_type14ELi1ELb0ELb1EEvPKvS2_PKi31ggml_cuda_mm_fusion_args_devicePfj15HIP_vector_typeIjLj3EEjjjS8_jjjS8_jjjj
	.p2align	8
	.type	_ZL13mul_mat_vec_qIL9ggml_type14ELi1ELb0ELb1EEvPKvS2_PKi31ggml_cuda_mm_fusion_args_devicePfj15HIP_vector_typeIjLj3EEjjjS8_jjjS8_jjjj,@function
_ZL13mul_mat_vec_qIL9ggml_type14ELi1ELb0ELb1EEvPKvS2_PKi31ggml_cuda_mm_fusion_args_devicePfj15HIP_vector_typeIjLj3EEjjjS8_jjjS8_jjjj: ; @_ZL13mul_mat_vec_qIL9ggml_type14ELi1ELb0ELb1EEvPKvS2_PKi31ggml_cuda_mm_fusion_args_devicePfj15HIP_vector_typeIjLj3EEjjjS8_jjjS8_jjjj
; %bb.0:
	s_clause 0x1
	s_load_dwordx2 s[0:1], s[4:5], 0x10
	s_load_dwordx4 s[16:19], s[4:5], 0x40
	s_mov_b32 s10, s7
	s_waitcnt lgkmcnt(0)
	s_cmp_lg_u64 s[0:1], 0
	s_cselect_b32 s7, -1, 0
	s_cmp_eq_u64 s[0:1], 0
	s_cbranch_scc1 .LBB146_5
; %bb.1:
	s_mov_b32 s11, 0
	s_lshl_b64 s[2:3], s[10:11], 2
	s_add_u32 s0, s0, s2
	s_addc_u32 s1, s1, s3
	s_load_dword s20, s[0:1], 0x0
	s_clause 0x1
	s_load_dwordx4 s[0:3], s[4:5], 0x68
	s_load_dword s21, s[4:5], 0x50
	s_cbranch_execnz .LBB146_3
.LBB146_2:
	s_load_dwordx2 s[12:13], s[4:5], 0x5c
	s_waitcnt lgkmcnt(0)
	s_mul_hi_u32 s9, s12, s10
	s_add_i32 s9, s10, s9
	s_lshr_b32 s20, s9, s13
.LBB146_3:
	s_load_dword s11, s[4:5], 0x78
	s_andn2_b32 vcc_lo, exec_lo, s7
	s_cbranch_vccnz .LBB146_6
; %bb.4:
	s_mul_hi_u32 s7, s17, s10
	s_add_i32 s7, s10, s7
	s_lshr_b32 s7, s7, s18
	s_mul_i32 s7, s7, s19
	s_sub_i32 s22, s10, s7
	s_branch .LBB146_7
.LBB146_5:
                                        ; implicit-def: $sgpr20
	s_clause 0x1
	s_load_dwordx4 s[0:3], s[4:5], 0x68
	s_load_dword s21, s[4:5], 0x50
	s_branch .LBB146_2
.LBB146_6:
	s_mov_b32 s22, s10
.LBB146_7:
	s_load_dwordx4 s[12:15], s[4:5], 0x80
	v_mov_b32_e32 v4, 0
	s_lshr_b32 s9, s16, 8
	s_mov_b32 s7, exec_lo
	v_cmpx_gt_u32_e64 s9, v1
	s_cbranch_execz .LBB146_11
; %bb.8:
	v_and_b32_e32 v4, 15, v0
	s_waitcnt lgkmcnt(0)
	s_mul_i32 s1, s22, s1
	s_mul_hi_u32 s3, s3, s8
	s_mul_hi_u32 s23, s1, 36
	s_mul_i32 s22, s1, 36
	v_lshrrev_b16 v6, 3, v4
	v_mad_u64_u32 v[2:3], null, 0x120, v1, s[22:23]
	s_load_dwordx4 s[16:19], s[4:5], 0x0
	s_add_i32 s3, s8, s3
	v_lshrrev_b32_e32 v5, 4, v0
	s_lshr_b32 s1, s3, s11
	s_mul_i32 s3, s13, s8
	v_and_b32_e32 v6, 0xffff, v6
	v_mad_u64_u32 v[2:3], null, s3, 36, v[2:3]
	v_lshlrev_b32_e32 v7, 3, v5
	v_and_b32_e32 v8, 7, v0
	v_lshl_or_b32 v5, v5, 2, v6
	v_lshrrev_b16 v10, 2, v4
	v_lshlrev_b32_e32 v11, 1, v0
	s_mul_i32 s21, s21, s6
	v_or_b32_e32 v9, v7, v8
	v_mad_u64_u32 v[2:3], null, v5, 36, v[2:3]
	s_mul_i32 s3, s20, s0
	s_mul_i32 s0, s1, s12
	v_lshlrev_b32_e32 v9, 1, v9
	v_mov_b32_e32 v4, 0
	v_lshlrev_b32_e32 v5, 1, v6
	v_or_b32_sdwa v6, v7, v10 dst_sel:DWORD dst_unused:UNUSED_PAD src0_sel:DWORD src1_sel:WORD_0
	s_waitcnt lgkmcnt(0)
	v_add_co_u32 v2, vcc_lo, s18, v2
	v_lshlrev_b32_e32 v7, 2, v8
	v_add_co_ci_u32_e64 v3, null, s19, v3, vcc_lo
	v_lshlrev_b32_e32 v8, 1, v11
	v_lshlrev_b32_e32 v9, 1, v9
	v_mov_b32_e32 v10, v1
	s_add_i32 s0, s0, s21
	s_mov_b32 s1, 0
	s_add_i32 s3, s3, s0
.LBB146_9:                              ; =>This Inner Loop Header: Depth=1
	v_add_nc_u32_e32 v11, s3, v10
	v_add_nc_u32_e32 v10, 1, v10
	v_mad_i64_i32 v[11:12], null, 0xd2, v11, s[16:17]
	v_cmp_le_u32_e64 s0, s9, v10
	s_or_b32 s1, s0, s1
	v_add_co_u32 v13, vcc_lo, v11, v9
	v_add_co_ci_u32_e64 v14, null, 0, v12, vcc_lo
	v_add_co_u32 v15, vcc_lo, v11, v8
	v_add_co_ci_u32_e64 v16, null, 0, v12, vcc_lo
	s_clause 0x1
	global_load_dword v17, v[13:14], off offset:128
	global_load_dword v18, v[15:16], off
	v_add_co_u32 v13, vcc_lo, v2, v7
	v_add_co_ci_u32_e64 v14, null, 0, v3, vcc_lo
	v_add_co_u32 v15, vcc_lo, v11, v6
	v_add_co_ci_u32_e64 v16, null, 0, v12, vcc_lo
	s_clause 0x1
	global_load_dword v19, v[13:14], off offset:4
	global_load_dword v13, v[13:14], off offset:76
	s_clause 0x1
	global_load_sbyte v14, v[15:16], off offset:192
	global_load_sbyte v15, v[15:16], off offset:196
	s_clause 0x1
	global_load_dword v16, v[2:3], off
	global_load_dword v20, v[2:3], off offset:72
	global_load_ushort v11, v[11:12], off offset:208
	v_add_co_u32 v2, vcc_lo, 0x120, v2
	v_add_co_ci_u32_e64 v3, null, 0, v3, vcc_lo
	s_waitcnt vmcnt(8)
	v_ashrrev_i32_e32 v12, v5, v17
	s_waitcnt vmcnt(7)
	v_lshrrev_b32_e32 v17, 4, v18
	v_and_b32_e32 v18, 0xf0f0f0f, v18
	v_lshlrev_b32_e32 v21, 4, v12
	v_and_b32_e32 v17, 0xf0f0f0f, v17
	v_and_or_b32 v18, 0x30303030, v21, v18
	v_and_or_b32 v12, 0x30303030, v12, v17
	v_lshrrev_b32_e32 v17, 16, v18
	v_lshrrev_b32_e32 v22, 16, v12
	v_and_b32_e32 v21, 0x3f00, v18
	v_lshlrev_b16 v18, 8, v18
	v_and_b32_e32 v23, 0x3f00, v12
	v_lshlrev_b16 v24, 8, v17
	;; [unrolled: 2-line block ×3, first 2 shown]
	v_lshlrev_b16 v12, 8, v12
	v_add_nc_u16 v18, 0xe000, v18
	v_add_nc_u16 v24, 0xe000, v24
	v_and_b32_e32 v22, 0x3f00, v22
	v_add_nc_u16 v25, 0xe000, v25
	v_add_nc_u16 v12, 0xe000, v12
	v_or_b32_sdwa v18, v21, v18 dst_sel:DWORD dst_unused:UNUSED_PAD src0_sel:DWORD src1_sel:BYTE_1
	v_or_b32_sdwa v17, v17, v24 dst_sel:DWORD dst_unused:UNUSED_PAD src0_sel:DWORD src1_sel:BYTE_1
	;; [unrolled: 1-line block ×4, first 2 shown]
	v_add_nc_u16 v18, 0xe000, v18
	v_add_nc_u16 v17, 0xe000, v17
	v_mov_b32_e32 v22, 0
	v_add_nc_u16 v21, 0xe000, v21
	v_add_nc_u16 v12, 0xe000, v12
	v_lshlrev_b32_e32 v17, 16, v17
	v_lshlrev_b32_e32 v21, 16, v21
	v_or_b32_sdwa v17, v18, v17 dst_sel:DWORD dst_unused:UNUSED_PAD src0_sel:WORD_0 src1_sel:DWORD
	v_mov_b32_e32 v18, 0
	v_or_b32_sdwa v12, v12, v21 dst_sel:DWORD dst_unused:UNUSED_PAD src0_sel:WORD_0 src1_sel:DWORD
	s_waitcnt vmcnt(6)
	v_dot4c_i32_i8 v22, v17, v19
	s_waitcnt vmcnt(5)
	v_dot4c_i32_i8 v18, v12, v13
	s_waitcnt vmcnt(4)
	v_mul_lo_u32 v12, v22, v14
	s_waitcnt vmcnt(3)
	v_mul_lo_u32 v13, v18, v15
	v_cvt_f32_i32_e32 v12, v12
	v_cvt_f32_i32_e32 v13, v13
	s_waitcnt vmcnt(2)
	v_fma_mix_f32 v12, v16, v12, 0 op_sel_hi:[1,0,0]
	s_waitcnt vmcnt(1)
	v_fma_mix_f32 v12, v20, v13, v12 op_sel_hi:[1,0,0]
	s_waitcnt vmcnt(0)
	v_fma_mix_f32 v4, v12, v11, v4 op_sel_hi:[0,1,0]
	s_andn2_b32 exec_lo, exec_lo, s1
	s_cbranch_execnz .LBB146_9
; %bb.10:
	s_or_b32 exec_lo, exec_lo, s1
.LBB146_11:
	s_or_b32 exec_lo, exec_lo, s7
	s_waitcnt lgkmcnt(0)
	; wave barrier
	buffer_gl0_inv
	s_mov_b32 s0, exec_lo
	v_cmpx_eq_u32_e32 0, v1
	s_cbranch_execz .LBB146_14
; %bb.12:
	v_mbcnt_lo_u32_b32 v1, -1, 0
	v_xor_b32_e32 v2, 16, v1
	v_xor_b32_e32 v3, 8, v1
	v_cmp_gt_i32_e32 vcc_lo, 32, v2
	v_cndmask_b32_e32 v2, v1, v2, vcc_lo
	v_cmp_gt_i32_e32 vcc_lo, 32, v3
	v_lshlrev_b32_e32 v2, 2, v2
	v_cndmask_b32_e32 v3, v1, v3, vcc_lo
	ds_bpermute_b32 v2, v2, v4
	v_lshlrev_b32_e32 v3, 2, v3
	s_waitcnt lgkmcnt(0)
	v_add_f32_e32 v2, v4, v2
	v_xor_b32_e32 v4, 4, v1
	ds_bpermute_b32 v3, v3, v2
	v_cmp_gt_i32_e32 vcc_lo, 32, v4
	v_cndmask_b32_e32 v4, v1, v4, vcc_lo
	v_lshlrev_b32_e32 v4, 2, v4
	s_waitcnt lgkmcnt(0)
	v_add_f32_e32 v2, v2, v3
	ds_bpermute_b32 v3, v4, v2
	v_xor_b32_e32 v4, 2, v1
	v_cmp_gt_i32_e32 vcc_lo, 32, v4
	v_cndmask_b32_e32 v4, v1, v4, vcc_lo
	v_lshlrev_b32_e32 v4, 2, v4
	s_waitcnt lgkmcnt(0)
	v_add_f32_e32 v2, v2, v3
	ds_bpermute_b32 v3, v4, v2
	v_xor_b32_e32 v4, 1, v1
	v_cmp_gt_i32_e32 vcc_lo, 32, v4
	v_cndmask_b32_e32 v1, v1, v4, vcc_lo
	v_cmp_eq_u32_e32 vcc_lo, 0, v0
	v_lshlrev_b32_e32 v4, 2, v1
	s_waitcnt lgkmcnt(0)
	v_add_f32_e32 v1, v2, v3
	ds_bpermute_b32 v2, v4, v1
	s_and_b32 exec_lo, exec_lo, vcc_lo
	s_cbranch_execz .LBB146_14
; %bb.13:
	s_load_dwordx2 s[0:1], s[4:5], 0x38
	s_mul_i32 s2, s2, s10
	s_mul_i32 s3, s14, s8
	s_add_i32 s2, s2, s6
	s_waitcnt lgkmcnt(0)
	v_add_f32_e32 v0, v1, v2
	s_add_i32 s2, s2, s3
	s_mov_b32 s3, 0
	v_mov_b32_e32 v1, 0
	s_lshl_b64 s[2:3], s[2:3], 2
	s_add_u32 s0, s0, s2
	s_addc_u32 s1, s1, s3
	global_store_dword v1, v0, s[0:1]
.LBB146_14:
	s_endpgm
	.section	.rodata,"a",@progbits
	.p2align	6, 0x0
	.amdhsa_kernel _ZL13mul_mat_vec_qIL9ggml_type14ELi1ELb0ELb1EEvPKvS2_PKi31ggml_cuda_mm_fusion_args_devicePfj15HIP_vector_typeIjLj3EEjjjS8_jjjS8_jjjj
		.amdhsa_group_segment_fixed_size 0
		.amdhsa_private_segment_fixed_size 0
		.amdhsa_kernarg_size 144
		.amdhsa_user_sgpr_count 6
		.amdhsa_user_sgpr_private_segment_buffer 1
		.amdhsa_user_sgpr_dispatch_ptr 0
		.amdhsa_user_sgpr_queue_ptr 0
		.amdhsa_user_sgpr_kernarg_segment_ptr 1
		.amdhsa_user_sgpr_dispatch_id 0
		.amdhsa_user_sgpr_flat_scratch_init 0
		.amdhsa_user_sgpr_private_segment_size 0
		.amdhsa_wavefront_size32 1
		.amdhsa_uses_dynamic_stack 0
		.amdhsa_system_sgpr_private_segment_wavefront_offset 0
		.amdhsa_system_sgpr_workgroup_id_x 1
		.amdhsa_system_sgpr_workgroup_id_y 1
		.amdhsa_system_sgpr_workgroup_id_z 1
		.amdhsa_system_sgpr_workgroup_info 0
		.amdhsa_system_vgpr_workitem_id 1
		.amdhsa_next_free_vgpr 26
		.amdhsa_next_free_sgpr 24
		.amdhsa_reserve_vcc 1
		.amdhsa_reserve_flat_scratch 0
		.amdhsa_float_round_mode_32 0
		.amdhsa_float_round_mode_16_64 0
		.amdhsa_float_denorm_mode_32 3
		.amdhsa_float_denorm_mode_16_64 3
		.amdhsa_dx10_clamp 1
		.amdhsa_ieee_mode 1
		.amdhsa_fp16_overflow 0
		.amdhsa_workgroup_processor_mode 1
		.amdhsa_memory_ordered 1
		.amdhsa_forward_progress 1
		.amdhsa_shared_vgpr_count 0
		.amdhsa_exception_fp_ieee_invalid_op 0
		.amdhsa_exception_fp_denorm_src 0
		.amdhsa_exception_fp_ieee_div_zero 0
		.amdhsa_exception_fp_ieee_overflow 0
		.amdhsa_exception_fp_ieee_underflow 0
		.amdhsa_exception_fp_ieee_inexact 0
		.amdhsa_exception_int_div_zero 0
	.end_amdhsa_kernel
	.section	.text._ZL13mul_mat_vec_qIL9ggml_type14ELi1ELb0ELb1EEvPKvS2_PKi31ggml_cuda_mm_fusion_args_devicePfj15HIP_vector_typeIjLj3EEjjjS8_jjjS8_jjjj,"axG",@progbits,_ZL13mul_mat_vec_qIL9ggml_type14ELi1ELb0ELb1EEvPKvS2_PKi31ggml_cuda_mm_fusion_args_devicePfj15HIP_vector_typeIjLj3EEjjjS8_jjjS8_jjjj,comdat
.Lfunc_end146:
	.size	_ZL13mul_mat_vec_qIL9ggml_type14ELi1ELb0ELb1EEvPKvS2_PKi31ggml_cuda_mm_fusion_args_devicePfj15HIP_vector_typeIjLj3EEjjjS8_jjjS8_jjjj, .Lfunc_end146-_ZL13mul_mat_vec_qIL9ggml_type14ELi1ELb0ELb1EEvPKvS2_PKi31ggml_cuda_mm_fusion_args_devicePfj15HIP_vector_typeIjLj3EEjjjS8_jjjS8_jjjj
                                        ; -- End function
	.set _ZL13mul_mat_vec_qIL9ggml_type14ELi1ELb0ELb1EEvPKvS2_PKi31ggml_cuda_mm_fusion_args_devicePfj15HIP_vector_typeIjLj3EEjjjS8_jjjS8_jjjj.num_vgpr, 26
	.set _ZL13mul_mat_vec_qIL9ggml_type14ELi1ELb0ELb1EEvPKvS2_PKi31ggml_cuda_mm_fusion_args_devicePfj15HIP_vector_typeIjLj3EEjjjS8_jjjS8_jjjj.num_agpr, 0
	.set _ZL13mul_mat_vec_qIL9ggml_type14ELi1ELb0ELb1EEvPKvS2_PKi31ggml_cuda_mm_fusion_args_devicePfj15HIP_vector_typeIjLj3EEjjjS8_jjjS8_jjjj.numbered_sgpr, 24
	.set _ZL13mul_mat_vec_qIL9ggml_type14ELi1ELb0ELb1EEvPKvS2_PKi31ggml_cuda_mm_fusion_args_devicePfj15HIP_vector_typeIjLj3EEjjjS8_jjjS8_jjjj.num_named_barrier, 0
	.set _ZL13mul_mat_vec_qIL9ggml_type14ELi1ELb0ELb1EEvPKvS2_PKi31ggml_cuda_mm_fusion_args_devicePfj15HIP_vector_typeIjLj3EEjjjS8_jjjS8_jjjj.private_seg_size, 0
	.set _ZL13mul_mat_vec_qIL9ggml_type14ELi1ELb0ELb1EEvPKvS2_PKi31ggml_cuda_mm_fusion_args_devicePfj15HIP_vector_typeIjLj3EEjjjS8_jjjS8_jjjj.uses_vcc, 1
	.set _ZL13mul_mat_vec_qIL9ggml_type14ELi1ELb0ELb1EEvPKvS2_PKi31ggml_cuda_mm_fusion_args_devicePfj15HIP_vector_typeIjLj3EEjjjS8_jjjS8_jjjj.uses_flat_scratch, 0
	.set _ZL13mul_mat_vec_qIL9ggml_type14ELi1ELb0ELb1EEvPKvS2_PKi31ggml_cuda_mm_fusion_args_devicePfj15HIP_vector_typeIjLj3EEjjjS8_jjjS8_jjjj.has_dyn_sized_stack, 0
	.set _ZL13mul_mat_vec_qIL9ggml_type14ELi1ELb0ELb1EEvPKvS2_PKi31ggml_cuda_mm_fusion_args_devicePfj15HIP_vector_typeIjLj3EEjjjS8_jjjS8_jjjj.has_recursion, 0
	.set _ZL13mul_mat_vec_qIL9ggml_type14ELi1ELb0ELb1EEvPKvS2_PKi31ggml_cuda_mm_fusion_args_devicePfj15HIP_vector_typeIjLj3EEjjjS8_jjjS8_jjjj.has_indirect_call, 0
	.section	.AMDGPU.csdata,"",@progbits
; Kernel info:
; codeLenInByte = 1276
; TotalNumSgprs: 26
; NumVgprs: 26
; ScratchSize: 0
; MemoryBound: 0
; FloatMode: 240
; IeeeMode: 1
; LDSByteSize: 0 bytes/workgroup (compile time only)
; SGPRBlocks: 0
; VGPRBlocks: 3
; NumSGPRsForWavesPerEU: 26
; NumVGPRsForWavesPerEU: 26
; Occupancy: 16
; WaveLimiterHint : 0
; COMPUTE_PGM_RSRC2:SCRATCH_EN: 0
; COMPUTE_PGM_RSRC2:USER_SGPR: 6
; COMPUTE_PGM_RSRC2:TRAP_HANDLER: 0
; COMPUTE_PGM_RSRC2:TGID_X_EN: 1
; COMPUTE_PGM_RSRC2:TGID_Y_EN: 1
; COMPUTE_PGM_RSRC2:TGID_Z_EN: 1
; COMPUTE_PGM_RSRC2:TIDIG_COMP_CNT: 1
	.section	.text._ZL13mul_mat_vec_qIL9ggml_type14ELi1ELb1ELb0EEvPKvS2_PKi31ggml_cuda_mm_fusion_args_devicePfj15HIP_vector_typeIjLj3EEjjjS8_jjjS8_jjjj,"axG",@progbits,_ZL13mul_mat_vec_qIL9ggml_type14ELi1ELb1ELb0EEvPKvS2_PKi31ggml_cuda_mm_fusion_args_devicePfj15HIP_vector_typeIjLj3EEjjjS8_jjjS8_jjjj,comdat
	.globl	_ZL13mul_mat_vec_qIL9ggml_type14ELi1ELb1ELb0EEvPKvS2_PKi31ggml_cuda_mm_fusion_args_devicePfj15HIP_vector_typeIjLj3EEjjjS8_jjjS8_jjjj ; -- Begin function _ZL13mul_mat_vec_qIL9ggml_type14ELi1ELb1ELb0EEvPKvS2_PKi31ggml_cuda_mm_fusion_args_devicePfj15HIP_vector_typeIjLj3EEjjjS8_jjjS8_jjjj
	.p2align	8
	.type	_ZL13mul_mat_vec_qIL9ggml_type14ELi1ELb1ELb0EEvPKvS2_PKi31ggml_cuda_mm_fusion_args_devicePfj15HIP_vector_typeIjLj3EEjjjS8_jjjS8_jjjj,@function
_ZL13mul_mat_vec_qIL9ggml_type14ELi1ELb1ELb0EEvPKvS2_PKi31ggml_cuda_mm_fusion_args_devicePfj15HIP_vector_typeIjLj3EEjjjS8_jjjS8_jjjj: ; @_ZL13mul_mat_vec_qIL9ggml_type14ELi1ELb1ELb0EEvPKvS2_PKi31ggml_cuda_mm_fusion_args_devicePfj15HIP_vector_typeIjLj3EEjjjS8_jjjS8_jjjj
; %bb.0:
	s_clause 0x3
	s_load_dwordx8 s[12:19], s[4:5], 0x0
	s_load_dwordx4 s[28:31], s[4:5], 0x20
	s_load_dwordx4 s[36:39], s[4:5], 0x40
	s_load_dwordx4 s[20:23], s[4:5], 0x68
	s_mov_b32 s10, s7
	s_waitcnt lgkmcnt(0)
	s_cmp_lg_u64 s[16:17], 0
	s_cselect_b32 s0, -1, 0
	s_cmp_eq_u64 s[16:17], 0
	s_cbranch_scc1 .LBB147_5
; %bb.1:
	s_mov_b32 s11, 0
	s_lshl_b64 s[2:3], s[10:11], 2
	s_add_u32 s2, s16, s2
	s_addc_u32 s3, s17, s3
	s_load_dword s33, s[2:3], 0x0
	s_clause 0x1
	s_load_dword s34, s[4:5], 0x50
	s_load_dword s35, s[4:5], 0x78
	s_cbranch_execnz .LBB147_3
.LBB147_2:
	s_load_dwordx2 s[2:3], s[4:5], 0x5c
	s_waitcnt lgkmcnt(0)
	s_mul_hi_u32 s1, s2, s10
	s_add_i32 s1, s10, s1
	s_lshr_b32 s33, s1, s3
.LBB147_3:
	s_andn2_b32 vcc_lo, exec_lo, s0
	s_cbranch_vccnz .LBB147_6
; %bb.4:
	s_mul_hi_u32 s0, s37, s10
	s_waitcnt lgkmcnt(0)
	s_mov_b32 s1, s33
	s_add_i32 s0, s10, s0
	s_lshr_b32 s0, s0, s38
	s_mul_i32 s0, s0, s39
	s_sub_i32 s11, s10, s0
	s_branch .LBB147_7
.LBB147_5:
                                        ; implicit-def: $sgpr33
	s_clause 0x1
	s_load_dword s34, s[4:5], 0x50
	s_load_dword s35, s[4:5], 0x78
	s_branch .LBB147_2
.LBB147_6:
	s_mov_b32 s1, s10
	s_mov_b32 s11, s10
.LBB147_7:
	s_load_dwordx4 s[24:27], s[4:5], 0x80
	v_or_b32_e32 v2, v0, v1
	s_cmp_lg_u64 s[18:19], 0
	v_mov_b32_e32 v4, 0
	v_mov_b32_e32 v5, 0
	s_cselect_b32 s0, -1, 0
	v_cmp_eq_u32_e32 vcc_lo, 0, v2
	s_mov_b32 s17, 0
	s_mul_i32 s2, s1, s22
	s_and_b32 s3, s0, vcc_lo
	s_and_saveexec_b32 s1, s3
	s_cbranch_execz .LBB147_9
; %bb.8:
	s_waitcnt lgkmcnt(0)
	s_mul_i32 s16, s26, s8
	s_mov_b32 s3, s17
	s_lshl_b64 s[38:39], s[16:17], 2
	v_lshlrev_b32_e32 v2, 2, v0
	s_add_u32 s7, s18, s38
	s_addc_u32 s9, s19, s39
	s_lshl_b64 s[16:17], s[2:3], 2
	s_add_u32 s3, s7, s16
	s_addc_u32 s9, s9, s17
	s_ashr_i32 s7, s6, 31
	s_lshl_b64 s[16:17], s[6:7], 2
	s_add_u32 s16, s3, s16
	s_addc_u32 s17, s9, s17
	global_load_dword v5, v2, s[16:17]
.LBB147_9:
	s_or_b32 exec_lo, exec_lo, s1
	s_cmp_lg_u64 s[28:29], 0
	s_cselect_b32 s9, -1, 0
	s_cmp_lg_u64 s[30:31], 0
	s_cselect_b32 s1, -1, 0
	s_and_b32 s3, s1, s9
	s_and_b32 s3, s3, vcc_lo
	s_and_saveexec_b32 s16, s3
	s_cbranch_execz .LBB147_11
; %bb.10:
	s_waitcnt lgkmcnt(0)
	s_mul_i32 s18, s26, s8
	s_mov_b32 s19, 0
	v_lshlrev_b32_e32 v2, 2, v0
	s_lshl_b64 s[38:39], s[18:19], 2
	s_mov_b32 s3, s19
	s_add_u32 s7, s30, s38
	s_addc_u32 s17, s31, s39
	s_lshl_b64 s[2:3], s[2:3], 2
	s_add_u32 s18, s7, s2
	s_addc_u32 s17, s17, s3
	s_ashr_i32 s7, s6, 31
	s_lshl_b64 s[2:3], s[6:7], 2
	s_add_u32 s2, s18, s2
	s_addc_u32 s3, s17, s3
	global_load_dword v4, v2, s[2:3]
.LBB147_11:
	s_or_b32 exec_lo, exec_lo, s16
	v_mov_b32_e32 v8, 0
	v_cndmask_b32_e64 v6, 0, 1, s9
	v_mov_b32_e32 v7, 0
	s_lshr_b32 s3, s36, 8
	s_mov_b32 s7, exec_lo
	v_cmpx_gt_u32_e64 s3, v1
	s_cbranch_execz .LBB147_17
; %bb.12:
	v_and_b32_e32 v7, 15, v0
	s_mul_i32 s11, s11, s21
	v_lshrrev_b32_e32 v8, 4, v0
	s_mul_hi_u32 s17, s11, 36
	s_mul_i32 s16, s11, 36
	v_lshrrev_b16 v9, 3, v7
	v_mad_u64_u32 v[2:3], null, 0x120, v1, s[16:17]
	s_waitcnt lgkmcnt(0)
	s_mul_i32 s11, s25, s8
	v_lshlrev_b32_e32 v10, 3, v8
	v_and_b32_e32 v9, 0xffff, v9
	v_and_b32_e32 v11, 7, v0
	s_mul_hi_u32 s2, s23, s8
	v_lshrrev_b16 v7, 2, v7
	v_mad_u64_u32 v[2:3], null, s11, 36, v[2:3]
	v_lshl_or_b32 v8, v8, 2, v9
	v_or_b32_e32 v12, v10, v11
	s_add_i32 s2, s8, s2
	v_lshlrev_b32_e32 v13, 1, v0
	s_lshr_b32 s2, s2, s35
	s_mul_i32 s34, s34, s6
	v_mad_u64_u32 v[2:3], null, v8, 36, v[2:3]
	v_lshlrev_b32_e32 v14, 1, v12
	s_mul_i32 s2, s2, s24
	v_mov_b32_e32 v8, 0
	v_lshlrev_b32_e32 v9, 1, v9
	v_or_b32_sdwa v10, v10, v7 dst_sel:DWORD dst_unused:UNUSED_PAD src0_sel:DWORD src1_sel:WORD_0
	v_lshlrev_b32_e32 v11, 2, v11
	v_add_co_u32 v2, vcc_lo, s14, v2
	v_add_co_ci_u32_e64 v3, null, s15, v3, vcc_lo
	v_lshlrev_b32_e32 v12, 1, v13
	v_lshlrev_b32_e32 v13, 1, v14
	v_mov_b32_e32 v14, v1
	v_mov_b32_e32 v7, 0
	s_mul_i32 s11, s33, s20
	s_add_i32 s2, s2, s34
	s_add_i32 s14, s11, s2
	s_mov_b32 s11, 0
	s_branch .LBB147_14
.LBB147_13:                             ;   in Loop: Header=BB147_14 Depth=1
	s_waitcnt vmcnt(3)
	v_ashrrev_i32_e32 v23, v9, v23
	v_and_b32_e32 v24, 0xf0f0f0f, v22
	v_lshrrev_b32_e32 v22, 4, v22
	s_waitcnt vmcnt(1)
	v_bfe_i32 v21, v21, 0, 8
	v_add_nc_u32_e32 v14, 1, v14
	v_lshlrev_b32_e32 v25, 4, v23
	v_add_co_u32 v2, s2, 0x120, v2
	v_and_b32_e32 v22, 0xf0f0f0f, v22
	v_cmp_le_u32_e32 vcc_lo, s3, v14
	v_and_or_b32 v24, 0x30303030, v25, v24
	v_add_co_ci_u32_e64 v3, null, 0, v3, s2
	v_and_or_b32 v22, 0x30303030, v23, v22
	s_or_b32 s11, vcc_lo, s11
	v_lshrrev_b32_e32 v23, 16, v24
	v_and_b32_e32 v27, 0x3f00, v24
	v_lshlrev_b16 v24, 8, v24
	v_lshrrev_b32_e32 v25, 16, v22
	v_lshlrev_b16 v29, 8, v22
	v_lshlrev_b16 v26, 8, v23
	v_and_b32_e32 v23, 0x3f00, v23
	v_add_nc_u16 v24, 0xe000, v24
	v_lshlrev_b16 v28, 8, v25
	v_and_b32_e32 v25, 0x3f00, v25
	v_add_nc_u16 v26, 0xe000, v26
	v_and_b32_e32 v22, 0x3f00, v22
	v_or_b32_sdwa v24, v27, v24 dst_sel:DWORD dst_unused:UNUSED_PAD src0_sel:DWORD src1_sel:BYTE_1
	v_add_nc_u16 v28, 0xe000, v28
	v_or_b32_sdwa v23, v23, v26 dst_sel:DWORD dst_unused:UNUSED_PAD src0_sel:DWORD src1_sel:BYTE_1
	v_add_nc_u16 v26, 0xe000, v29
	v_add_nc_u16 v24, 0xe000, v24
	v_or_b32_sdwa v25, v25, v28 dst_sel:DWORD dst_unused:UNUSED_PAD src0_sel:DWORD src1_sel:BYTE_1
	v_add_nc_u16 v23, 0xe000, v23
	v_or_b32_sdwa v22, v22, v26 dst_sel:DWORD dst_unused:UNUSED_PAD src0_sel:DWORD src1_sel:BYTE_1
	v_mov_b32_e32 v26, 0
	v_add_nc_u16 v25, 0xe000, v25
	v_lshlrev_b32_e32 v23, 16, v23
	v_add_nc_u16 v22, 0xe000, v22
	v_lshlrev_b32_e32 v25, 16, v25
	v_or_b32_sdwa v23, v24, v23 dst_sel:DWORD dst_unused:UNUSED_PAD src0_sel:WORD_0 src1_sel:DWORD
	v_mov_b32_e32 v24, 0
	v_or_b32_sdwa v22, v22, v25 dst_sel:DWORD dst_unused:UNUSED_PAD src0_sel:WORD_0 src1_sel:DWORD
	v_dot4c_i32_i8 v26, v23, v16
	s_waitcnt vmcnt(0)
	v_bfe_i32 v16, v20, 0, 8
	v_dot4c_i32_i8 v24, v22, v17
	v_mul_lo_u32 v17, v26, v21
	v_mul_lo_u32 v16, v24, v16
	v_cvt_f32_i32_e32 v17, v17
	v_cvt_f32_i32_e32 v16, v16
	v_fma_f32 v17, v19, v17, 0
	v_fmac_f32_e32 v17, v18, v16
	v_fma_mix_f32 v8, v17, v15, v8 op_sel_hi:[0,1,0]
	s_andn2_b32 exec_lo, exec_lo, s11
	s_cbranch_execz .LBB147_16
.LBB147_14:                             ; =>This Inner Loop Header: Depth=1
	v_add_nc_u32_e32 v24, s14, v14
	v_add_co_u32 v20, vcc_lo, v2, v11
	v_add_co_ci_u32_e64 v21, null, 0, v3, vcc_lo
	v_mad_i64_i32 v[18:19], null, 0xd2, v24, s[12:13]
	s_clause 0x1
	global_load_dword v16, v[20:21], off offset:4
	global_load_dword v17, v[20:21], off offset:76
	v_add_co_u32 v22, vcc_lo, v18, v12
	v_add_co_ci_u32_e64 v23, null, 0, v19, vcc_lo
	v_add_co_u32 v25, vcc_lo, v18, v13
	v_add_co_ci_u32_e64 v26, null, 0, v19, vcc_lo
	;; [unrolled: 2-line block ×3, first 2 shown]
	s_clause 0x1
	global_load_dword v29, v[2:3], off
	global_load_dword v30, v[2:3], off offset:72
	s_clause 0x4
	global_load_dword v22, v[22:23], off
	global_load_dword v23, v[25:26], off offset:128
	global_load_ushort v15, v[18:19], off offset:208
	global_load_ubyte v21, v[27:28], off offset:192
	global_load_ubyte v20, v[27:28], off offset:196
	s_andn2_b32 vcc_lo, exec_lo, s9
	s_waitcnt vmcnt(6)
	v_cvt_f32_f16_e32 v19, v29
	s_waitcnt vmcnt(5)
	v_cvt_f32_f16_e32 v18, v30
	s_cbranch_vccnz .LBB147_13
; %bb.15:                               ;   in Loop: Header=BB147_14 Depth=1
	v_mad_i64_i32 v[24:25], null, 0xd2, v24, s[28:29]
	v_add_co_u32 v26, vcc_lo, v24, v13
	v_add_co_ci_u32_e64 v27, null, 0, v25, vcc_lo
	v_add_co_u32 v28, vcc_lo, v24, v12
	v_add_co_ci_u32_e64 v29, null, 0, v25, vcc_lo
	s_clause 0x1
	global_load_dword v30, v[26:27], off offset:128
	global_load_dword v28, v[28:29], off
	v_add_co_u32 v26, vcc_lo, v24, v10
	v_add_co_ci_u32_e64 v27, null, 0, v25, vcc_lo
	s_clause 0x2
	global_load_sbyte v29, v[26:27], off offset:192
	global_load_sbyte v26, v[26:27], off offset:196
	global_load_ushort v24, v[24:25], off offset:208
	s_waitcnt vmcnt(4)
	v_ashrrev_i32_e32 v25, v9, v30
	s_waitcnt vmcnt(3)
	v_and_b32_e32 v27, 0xf0f0f0f, v28
	v_lshrrev_b32_e32 v28, 4, v28
	v_lshlrev_b32_e32 v30, 4, v25
	v_and_b32_e32 v28, 0xf0f0f0f, v28
	v_and_or_b32 v27, 0x30303030, v30, v27
	v_and_or_b32 v25, 0x30303030, v25, v28
	v_lshrrev_b32_e32 v30, 16, v27
	v_and_b32_e32 v32, 0x3f00, v27
	v_lshrrev_b32_e32 v31, 16, v25
	v_lshlrev_b16 v27, 8, v27
	v_lshlrev_b16 v34, 8, v25
	;; [unrolled: 1-line block ×3, first 2 shown]
	v_and_b32_e32 v30, 0x3f00, v30
	v_lshlrev_b16 v33, 8, v31
	v_add_nc_u16 v27, 0xe000, v27
	v_and_b32_e32 v31, 0x3f00, v31
	v_add_nc_u16 v28, 0xe000, v28
	v_and_b32_e32 v25, 0x3f00, v25
	v_or_b32_sdwa v27, v32, v27 dst_sel:DWORD dst_unused:UNUSED_PAD src0_sel:DWORD src1_sel:BYTE_1
	v_or_b32_sdwa v28, v30, v28 dst_sel:DWORD dst_unused:UNUSED_PAD src0_sel:DWORD src1_sel:BYTE_1
	v_add_nc_u16 v30, 0xe000, v33
	v_add_nc_u16 v33, 0xe000, v34
	;; [unrolled: 1-line block ×4, first 2 shown]
	v_or_b32_sdwa v30, v31, v30 dst_sel:DWORD dst_unused:UNUSED_PAD src0_sel:DWORD src1_sel:BYTE_1
	v_or_b32_sdwa v25, v25, v33 dst_sel:DWORD dst_unused:UNUSED_PAD src0_sel:DWORD src1_sel:BYTE_1
	v_mov_b32_e32 v31, 0
	v_lshlrev_b32_e32 v28, 16, v28
	v_add_nc_u16 v30, 0xe000, v30
	v_add_nc_u16 v25, 0xe000, v25
	v_or_b32_sdwa v27, v27, v28 dst_sel:DWORD dst_unused:UNUSED_PAD src0_sel:WORD_0 src1_sel:DWORD
	v_lshlrev_b32_e32 v28, 16, v30
	v_mov_b32_e32 v30, 0
	v_dot4c_i32_i8 v31, v27, v16
	v_or_b32_sdwa v25, v25, v28 dst_sel:DWORD dst_unused:UNUSED_PAD src0_sel:WORD_0 src1_sel:DWORD
	s_waitcnt vmcnt(2)
	v_mul_lo_u32 v27, v31, v29
	v_dot4c_i32_i8 v30, v25, v17
	s_waitcnt vmcnt(1)
	v_mul_lo_u32 v25, v30, v26
	v_cvt_f32_i32_e32 v26, v27
	v_fma_f32 v26, v19, v26, 0
	v_cvt_f32_i32_e32 v25, v25
	v_fmac_f32_e32 v26, v18, v25
	s_waitcnt vmcnt(0)
	v_fma_mix_f32 v7, v26, v24, v7 op_sel_hi:[0,1,0]
	s_branch .LBB147_13
.LBB147_16:
	s_or_b32 exec_lo, exec_lo, s11
.LBB147_17:
	s_or_b32 exec_lo, exec_lo, s7
	s_load_dword s2, s[4:5], 0x30
	s_waitcnt vmcnt(0) lgkmcnt(0)
	; wave barrier
	buffer_gl0_inv
	s_mov_b32 s3, exec_lo
	v_cmpx_eq_u32_e32 0, v1
	s_cbranch_execz .LBB147_44
; %bb.18:
	v_mbcnt_lo_u32_b32 v2, -1, 0
	v_xor_b32_e32 v1, 16, v2
	v_xor_b32_e32 v9, 8, v2
	v_cmp_gt_i32_e32 vcc_lo, 32, v1
	v_cndmask_b32_e32 v1, v2, v1, vcc_lo
	v_cmp_gt_i32_e32 vcc_lo, 32, v9
	v_lshlrev_b32_e32 v1, 2, v1
	v_cndmask_b32_e32 v9, v2, v9, vcc_lo
	ds_bpermute_b32 v3, v1, v8
	v_lshlrev_b32_e32 v9, 2, v9
	s_waitcnt lgkmcnt(0)
	v_add_f32_e32 v3, v8, v3
	v_xor_b32_e32 v8, 4, v2
	ds_bpermute_b32 v10, v9, v3
	v_cmp_gt_i32_e32 vcc_lo, 32, v8
	v_cndmask_b32_e32 v8, v2, v8, vcc_lo
	v_lshlrev_b32_e32 v8, 2, v8
	s_waitcnt lgkmcnt(0)
	v_add_f32_e32 v3, v3, v10
	v_xor_b32_e32 v10, 2, v2
	ds_bpermute_b32 v11, v8, v3
	v_cmp_gt_i32_e32 vcc_lo, 32, v10
	v_cndmask_b32_e32 v10, v2, v10, vcc_lo
	;; [unrolled: 7-line block ×3, first 2 shown]
	v_cmp_ne_u32_e32 vcc_lo, 1, v6
	v_lshlrev_b32_e32 v11, 2, v2
	s_waitcnt lgkmcnt(0)
	v_add_f32_e32 v2, v3, v12
	ds_bpermute_b32 v3, v11, v2
	s_cbranch_vccnz .LBB147_20
; %bb.19:
	ds_bpermute_b32 v1, v1, v7
	s_waitcnt lgkmcnt(0)
	v_add_f32_e32 v1, v7, v1
	ds_bpermute_b32 v7, v9, v1
	s_waitcnt lgkmcnt(0)
	v_add_f32_e32 v1, v1, v7
	;; [unrolled: 3-line block ×5, first 2 shown]
.LBB147_20:
	v_cmp_eq_u32_e32 vcc_lo, 0, v0
	s_and_b32 exec_lo, exec_lo, vcc_lo
	s_cbranch_execz .LBB147_44
; %bb.21:
	s_waitcnt lgkmcnt(0)
	v_add_f32_e32 v1, v2, v3
	v_cmp_ne_u32_e32 vcc_lo, 1, v6
	v_add_f32_e32 v2, v5, v1
	v_cndmask_b32_e64 v1, v1, v2, s0
	s_cbranch_vccnz .LBB147_43
; %bb.22:
	v_add_f32_e32 v2, v4, v7
	s_cmp_lt_i32 s2, 2
	s_mov_b32 s0, 0
	v_cndmask_b32_e64 v2, v7, v2, s1
	s_cbranch_scc1 .LBB147_26
; %bb.23:
	s_cmp_gt_i32 s2, 2
	s_cbranch_scc0 .LBB147_27
; %bb.24:
	s_cmp_eq_u32 s2, 3
	s_cbranch_scc0 .LBB147_28
; %bb.25:
	v_max_f32_e32 v3, v2, v2
	s_mov_b32 s1, 0
	v_min_f32_e32 v3, 0x40e00000, v3
	v_mul_f32_e32 v4, 0xbfd9db23, v3
	v_mul_f32_e32 v5, 0x3fb8aa3b, v4
	v_cmp_ngt_f32_e32 vcc_lo, 0xc2ce8ed0, v4
	v_fma_f32 v6, 0x3fb8aa3b, v4, -v5
	v_rndne_f32_e32 v7, v5
	v_fmamk_f32 v6, v4, 0x32a5705f, v6
	v_sub_f32_e32 v5, v5, v7
	v_add_f32_e32 v5, v5, v6
	v_cvt_i32_f32_e32 v6, v7
	v_exp_f32_e32 v5, v5
	v_ldexp_f32 v5, v5, v6
	v_cndmask_b32_e32 v5, 0, v5, vcc_lo
	v_cmp_nlt_f32_e32 vcc_lo, 0x42b17218, v4
	v_cndmask_b32_e32 v4, 0x7f800000, v5, vcc_lo
	v_add_f32_e32 v4, 1.0, v4
	v_div_scale_f32 v5, null, v4, v4, v3
	v_div_scale_f32 v8, vcc_lo, v3, v4, v3
	v_rcp_f32_e32 v6, v5
	v_fma_f32 v7, -v5, v6, 1.0
	v_fmac_f32_e32 v6, v7, v6
	v_mul_f32_e32 v7, v8, v6
	v_fma_f32 v9, -v5, v7, v8
	v_fmac_f32_e32 v7, v9, v6
	v_max_f32_e32 v9, v1, v1
	v_fma_f32 v5, -v5, v7, v8
	v_min_f32_e32 v8, 0x40e00000, v9
	v_div_fmas_f32 v5, v5, v6, v7
	v_max_f32_e32 v6, 0xc0e00000, v8
	v_div_fixup_f32 v3, v5, v4, v3
	v_add_f32_e32 v4, 1.0, v6
	v_mul_f32_e32 v3, v4, v3
	s_branch .LBB147_29
.LBB147_26:
	s_mov_b32 s1, 0
                                        ; implicit-def: $vgpr3
	s_cbranch_execnz .LBB147_33
	s_branch .LBB147_34
.LBB147_27:
	s_mov_b32 s3, -1
	s_mov_b32 s1, 0
                                        ; implicit-def: $vgpr3
	s_branch .LBB147_30
.LBB147_28:
	s_mov_b32 s1, -1
                                        ; implicit-def: $vgpr3
.LBB147_29:
	s_mov_b32 s3, 0
.LBB147_30:
	s_and_b32 vcc_lo, exec_lo, s3
	s_cbranch_vccz .LBB147_32
; %bb.31:
	v_mul_f32_e32 v3, 0xbfb8aa3b, v2
	v_cmp_nlt_f32_e32 vcc_lo, 0x42ce8ed0, v2
	v_rndne_f32_e32 v4, v3
	v_fma_f32 v5, 0xbfb8aa3b, v2, -v3
	v_sub_f32_e32 v3, v3, v4
	v_fmamk_f32 v5, v2, 0xb2a5705f, v5
	v_cvt_i32_f32_e32 v4, v4
	v_add_f32_e32 v3, v3, v5
	v_exp_f32_e32 v3, v3
	v_ldexp_f32 v3, v3, v4
	v_cndmask_b32_e32 v3, 0, v3, vcc_lo
	v_cmp_ngt_f32_e32 vcc_lo, 0xc2b17218, v2
	v_cndmask_b32_e32 v3, 0x7f800000, v3, vcc_lo
	v_add_f32_e32 v3, 1.0, v3
	v_div_scale_f32 v4, null, v3, v3, v2
	v_rcp_f32_e32 v5, v4
	v_fma_f32 v6, -v4, v5, 1.0
	v_fmac_f32_e32 v5, v6, v5
	v_div_scale_f32 v6, vcc_lo, v2, v3, v2
	v_mul_f32_e32 v7, v6, v5
	v_fma_f32 v8, -v4, v7, v6
	v_fmac_f32_e32 v7, v8, v5
	v_fma_f32 v4, -v4, v7, v6
	v_div_fmas_f32 v4, v4, v5, v7
	v_div_fixup_f32 v3, v4, v3, v2
	v_mul_f32_e32 v3, v1, v3
.LBB147_32:
	s_branch .LBB147_34
.LBB147_33:
	s_cmp_lg_u32 s2, 1
	s_mov_b32 s0, -1
	s_cselect_b32 s1, -1, 0
.LBB147_34:
	s_andn2_b32 vcc_lo, exec_lo, s1
	s_cbranch_vccz .LBB147_36
; %bb.35:
	s_andn2_b32 vcc_lo, exec_lo, s0
	s_cbranch_vccz .LBB147_37
	s_branch .LBB147_42
.LBB147_36:
	v_mul_f32_e32 v3, v2, v1
	s_cbranch_execnz .LBB147_42
.LBB147_37:
	v_mul_f32_e32 v3, 0x3d372713, v2
	v_mul_f32_e32 v4, 0x3f4c422a, v2
	v_fma_f32 v3, v2, v3, 1.0
	v_mul_f32_e32 v3, v4, v3
                                        ; implicit-def: $vgpr4
	v_cmp_ngt_f32_e64 s0, 0x3f200000, |v3|
	s_and_saveexec_b32 s1, s0
	s_xor_b32 s0, exec_lo, s1
	s_cbranch_execz .LBB147_39
; %bb.38:
	v_add_f32_e64 v4, |v3|, |v3|
	v_mul_f32_e32 v5, 0x3fb8aa3b, v4
	v_cmp_ngt_f32_e32 vcc_lo, 0xc2ce8ed0, v4
	v_rndne_f32_e32 v6, v5
	v_fma_f32 v7, 0x3fb8aa3b, v4, -v5
	v_sub_f32_e32 v5, v5, v6
	v_fmamk_f32 v7, v4, 0x32a5705f, v7
	v_cvt_i32_f32_e32 v6, v6
	v_add_f32_e32 v5, v5, v7
	v_exp_f32_e32 v5, v5
	v_ldexp_f32 v5, v5, v6
	v_cndmask_b32_e32 v5, 0, v5, vcc_lo
	v_cmp_nlt_f32_e32 vcc_lo, 0x42b17218, v4
	v_cndmask_b32_e32 v4, 0x7f800000, v5, vcc_lo
	v_add_f32_e32 v4, 1.0, v4
	v_rcp_f32_e32 v4, v4
	v_fma_f32 v4, v4, -2.0, 1.0
.LBB147_39:
	s_andn2_saveexec_b32 s0, s0
	s_cbranch_execz .LBB147_41
; %bb.40:
	v_mul_f32_e32 v4, v3, v3
	s_mov_b32 s1, 0xbbbac73d
	v_fmaak_f32 v5, s1, v4, 0x3ca908c9
	v_fmaak_f32 v5, v4, v5, 0xbd5c1c4e
	;; [unrolled: 1-line block ×4, first 2 shown]
	v_mul_f32_e64 v5, |v3|, v5
	v_fma_f32 v4, v4, v5, |v3|
.LBB147_41:
	s_or_b32 exec_lo, exec_lo, s0
	v_bfi_b32 v3, 0x7fffffff, v4, v3
	v_mul_f32_e32 v2, 0.5, v2
	v_add_f32_e32 v3, 1.0, v3
	v_mul_f32_e32 v2, v2, v3
	v_mul_f32_e32 v3, v1, v2
.LBB147_42:
	v_mov_b32_e32 v1, v3
.LBB147_43:
	s_load_dwordx2 s[0:1], s[4:5], 0x38
	s_mul_i32 s2, s22, s10
	s_mul_i32 s3, s26, s8
	s_add_i32 s2, s2, s6
	v_lshlrev_b32_e32 v0, 2, v0
	s_add_i32 s2, s2, s3
	s_mov_b32 s3, 0
	s_lshl_b64 s[2:3], s[2:3], 2
	s_waitcnt lgkmcnt(0)
	s_add_u32 s0, s0, s2
	s_addc_u32 s1, s1, s3
	global_store_dword v0, v1, s[0:1]
.LBB147_44:
	s_endpgm
	.section	.rodata,"a",@progbits
	.p2align	6, 0x0
	.amdhsa_kernel _ZL13mul_mat_vec_qIL9ggml_type14ELi1ELb1ELb0EEvPKvS2_PKi31ggml_cuda_mm_fusion_args_devicePfj15HIP_vector_typeIjLj3EEjjjS8_jjjS8_jjjj
		.amdhsa_group_segment_fixed_size 0
		.amdhsa_private_segment_fixed_size 0
		.amdhsa_kernarg_size 144
		.amdhsa_user_sgpr_count 6
		.amdhsa_user_sgpr_private_segment_buffer 1
		.amdhsa_user_sgpr_dispatch_ptr 0
		.amdhsa_user_sgpr_queue_ptr 0
		.amdhsa_user_sgpr_kernarg_segment_ptr 1
		.amdhsa_user_sgpr_dispatch_id 0
		.amdhsa_user_sgpr_flat_scratch_init 0
		.amdhsa_user_sgpr_private_segment_size 0
		.amdhsa_wavefront_size32 1
		.amdhsa_uses_dynamic_stack 0
		.amdhsa_system_sgpr_private_segment_wavefront_offset 0
		.amdhsa_system_sgpr_workgroup_id_x 1
		.amdhsa_system_sgpr_workgroup_id_y 1
		.amdhsa_system_sgpr_workgroup_id_z 1
		.amdhsa_system_sgpr_workgroup_info 0
		.amdhsa_system_vgpr_workitem_id 1
		.amdhsa_next_free_vgpr 35
		.amdhsa_next_free_sgpr 40
		.amdhsa_reserve_vcc 1
		.amdhsa_reserve_flat_scratch 0
		.amdhsa_float_round_mode_32 0
		.amdhsa_float_round_mode_16_64 0
		.amdhsa_float_denorm_mode_32 3
		.amdhsa_float_denorm_mode_16_64 3
		.amdhsa_dx10_clamp 1
		.amdhsa_ieee_mode 1
		.amdhsa_fp16_overflow 0
		.amdhsa_workgroup_processor_mode 1
		.amdhsa_memory_ordered 1
		.amdhsa_forward_progress 1
		.amdhsa_shared_vgpr_count 0
		.amdhsa_exception_fp_ieee_invalid_op 0
		.amdhsa_exception_fp_denorm_src 0
		.amdhsa_exception_fp_ieee_div_zero 0
		.amdhsa_exception_fp_ieee_overflow 0
		.amdhsa_exception_fp_ieee_underflow 0
		.amdhsa_exception_fp_ieee_inexact 0
		.amdhsa_exception_int_div_zero 0
	.end_amdhsa_kernel
	.section	.text._ZL13mul_mat_vec_qIL9ggml_type14ELi1ELb1ELb0EEvPKvS2_PKi31ggml_cuda_mm_fusion_args_devicePfj15HIP_vector_typeIjLj3EEjjjS8_jjjS8_jjjj,"axG",@progbits,_ZL13mul_mat_vec_qIL9ggml_type14ELi1ELb1ELb0EEvPKvS2_PKi31ggml_cuda_mm_fusion_args_devicePfj15HIP_vector_typeIjLj3EEjjjS8_jjjS8_jjjj,comdat
.Lfunc_end147:
	.size	_ZL13mul_mat_vec_qIL9ggml_type14ELi1ELb1ELb0EEvPKvS2_PKi31ggml_cuda_mm_fusion_args_devicePfj15HIP_vector_typeIjLj3EEjjjS8_jjjS8_jjjj, .Lfunc_end147-_ZL13mul_mat_vec_qIL9ggml_type14ELi1ELb1ELb0EEvPKvS2_PKi31ggml_cuda_mm_fusion_args_devicePfj15HIP_vector_typeIjLj3EEjjjS8_jjjS8_jjjj
                                        ; -- End function
	.set _ZL13mul_mat_vec_qIL9ggml_type14ELi1ELb1ELb0EEvPKvS2_PKi31ggml_cuda_mm_fusion_args_devicePfj15HIP_vector_typeIjLj3EEjjjS8_jjjS8_jjjj.num_vgpr, 35
	.set _ZL13mul_mat_vec_qIL9ggml_type14ELi1ELb1ELb0EEvPKvS2_PKi31ggml_cuda_mm_fusion_args_devicePfj15HIP_vector_typeIjLj3EEjjjS8_jjjS8_jjjj.num_agpr, 0
	.set _ZL13mul_mat_vec_qIL9ggml_type14ELi1ELb1ELb0EEvPKvS2_PKi31ggml_cuda_mm_fusion_args_devicePfj15HIP_vector_typeIjLj3EEjjjS8_jjjS8_jjjj.numbered_sgpr, 40
	.set _ZL13mul_mat_vec_qIL9ggml_type14ELi1ELb1ELb0EEvPKvS2_PKi31ggml_cuda_mm_fusion_args_devicePfj15HIP_vector_typeIjLj3EEjjjS8_jjjS8_jjjj.num_named_barrier, 0
	.set _ZL13mul_mat_vec_qIL9ggml_type14ELi1ELb1ELb0EEvPKvS2_PKi31ggml_cuda_mm_fusion_args_devicePfj15HIP_vector_typeIjLj3EEjjjS8_jjjS8_jjjj.private_seg_size, 0
	.set _ZL13mul_mat_vec_qIL9ggml_type14ELi1ELb1ELb0EEvPKvS2_PKi31ggml_cuda_mm_fusion_args_devicePfj15HIP_vector_typeIjLj3EEjjjS8_jjjS8_jjjj.uses_vcc, 1
	.set _ZL13mul_mat_vec_qIL9ggml_type14ELi1ELb1ELb0EEvPKvS2_PKi31ggml_cuda_mm_fusion_args_devicePfj15HIP_vector_typeIjLj3EEjjjS8_jjjS8_jjjj.uses_flat_scratch, 0
	.set _ZL13mul_mat_vec_qIL9ggml_type14ELi1ELb1ELb0EEvPKvS2_PKi31ggml_cuda_mm_fusion_args_devicePfj15HIP_vector_typeIjLj3EEjjjS8_jjjS8_jjjj.has_dyn_sized_stack, 0
	.set _ZL13mul_mat_vec_qIL9ggml_type14ELi1ELb1ELb0EEvPKvS2_PKi31ggml_cuda_mm_fusion_args_devicePfj15HIP_vector_typeIjLj3EEjjjS8_jjjS8_jjjj.has_recursion, 0
	.set _ZL13mul_mat_vec_qIL9ggml_type14ELi1ELb1ELb0EEvPKvS2_PKi31ggml_cuda_mm_fusion_args_devicePfj15HIP_vector_typeIjLj3EEjjjS8_jjjS8_jjjj.has_indirect_call, 0
	.section	.AMDGPU.csdata,"",@progbits
; Kernel info:
; codeLenInByte = 2880
; TotalNumSgprs: 42
; NumVgprs: 35
; ScratchSize: 0
; MemoryBound: 0
; FloatMode: 240
; IeeeMode: 1
; LDSByteSize: 0 bytes/workgroup (compile time only)
; SGPRBlocks: 0
; VGPRBlocks: 4
; NumSGPRsForWavesPerEU: 42
; NumVGPRsForWavesPerEU: 35
; Occupancy: 16
; WaveLimiterHint : 0
; COMPUTE_PGM_RSRC2:SCRATCH_EN: 0
; COMPUTE_PGM_RSRC2:USER_SGPR: 6
; COMPUTE_PGM_RSRC2:TRAP_HANDLER: 0
; COMPUTE_PGM_RSRC2:TGID_X_EN: 1
; COMPUTE_PGM_RSRC2:TGID_Y_EN: 1
; COMPUTE_PGM_RSRC2:TGID_Z_EN: 1
; COMPUTE_PGM_RSRC2:TIDIG_COMP_CNT: 1
	.section	.text._ZL13mul_mat_vec_qIL9ggml_type14ELi1ELb0ELb0EEvPKvS2_PKi31ggml_cuda_mm_fusion_args_devicePfj15HIP_vector_typeIjLj3EEjjjS8_jjjS8_jjjj,"axG",@progbits,_ZL13mul_mat_vec_qIL9ggml_type14ELi1ELb0ELb0EEvPKvS2_PKi31ggml_cuda_mm_fusion_args_devicePfj15HIP_vector_typeIjLj3EEjjjS8_jjjS8_jjjj,comdat
	.globl	_ZL13mul_mat_vec_qIL9ggml_type14ELi1ELb0ELb0EEvPKvS2_PKi31ggml_cuda_mm_fusion_args_devicePfj15HIP_vector_typeIjLj3EEjjjS8_jjjS8_jjjj ; -- Begin function _ZL13mul_mat_vec_qIL9ggml_type14ELi1ELb0ELb0EEvPKvS2_PKi31ggml_cuda_mm_fusion_args_devicePfj15HIP_vector_typeIjLj3EEjjjS8_jjjS8_jjjj
	.p2align	8
	.type	_ZL13mul_mat_vec_qIL9ggml_type14ELi1ELb0ELb0EEvPKvS2_PKi31ggml_cuda_mm_fusion_args_devicePfj15HIP_vector_typeIjLj3EEjjjS8_jjjS8_jjjj,@function
_ZL13mul_mat_vec_qIL9ggml_type14ELi1ELb0ELb0EEvPKvS2_PKi31ggml_cuda_mm_fusion_args_devicePfj15HIP_vector_typeIjLj3EEjjjS8_jjjS8_jjjj: ; @_ZL13mul_mat_vec_qIL9ggml_type14ELi1ELb0ELb0EEvPKvS2_PKi31ggml_cuda_mm_fusion_args_devicePfj15HIP_vector_typeIjLj3EEjjjS8_jjjS8_jjjj
; %bb.0:
	s_clause 0x1
	s_load_dwordx2 s[0:1], s[4:5], 0x10
	s_load_dwordx4 s[16:19], s[4:5], 0x40
	s_mov_b32 s10, s7
	s_waitcnt lgkmcnt(0)
	s_cmp_lg_u64 s[0:1], 0
	s_cselect_b32 s7, -1, 0
	s_cmp_eq_u64 s[0:1], 0
	s_cbranch_scc1 .LBB148_5
; %bb.1:
	s_mov_b32 s11, 0
	s_lshl_b64 s[2:3], s[10:11], 2
	s_add_u32 s0, s0, s2
	s_addc_u32 s1, s1, s3
	s_load_dword s20, s[0:1], 0x0
	s_clause 0x1
	s_load_dwordx4 s[0:3], s[4:5], 0x68
	s_load_dword s21, s[4:5], 0x50
	s_cbranch_execnz .LBB148_3
.LBB148_2:
	s_load_dwordx2 s[12:13], s[4:5], 0x5c
	s_waitcnt lgkmcnt(0)
	s_mul_hi_u32 s9, s12, s10
	s_add_i32 s9, s10, s9
	s_lshr_b32 s20, s9, s13
.LBB148_3:
	s_load_dword s11, s[4:5], 0x78
	s_andn2_b32 vcc_lo, exec_lo, s7
	s_cbranch_vccnz .LBB148_6
; %bb.4:
	s_mul_hi_u32 s7, s17, s10
	s_add_i32 s7, s10, s7
	s_lshr_b32 s7, s7, s18
	s_mul_i32 s7, s7, s19
	s_sub_i32 s22, s10, s7
	s_branch .LBB148_7
.LBB148_5:
                                        ; implicit-def: $sgpr20
	s_clause 0x1
	s_load_dwordx4 s[0:3], s[4:5], 0x68
	s_load_dword s21, s[4:5], 0x50
	s_branch .LBB148_2
.LBB148_6:
	s_mov_b32 s22, s10
.LBB148_7:
	s_load_dwordx4 s[12:15], s[4:5], 0x80
	v_mov_b32_e32 v4, 0
	s_lshr_b32 s9, s16, 8
	s_mov_b32 s7, exec_lo
	v_cmpx_gt_u32_e64 s9, v1
	s_cbranch_execz .LBB148_11
; %bb.8:
	v_and_b32_e32 v4, 15, v0
	s_waitcnt lgkmcnt(0)
	s_mul_i32 s1, s22, s1
	s_mul_hi_u32 s3, s3, s8
	s_mul_hi_u32 s23, s1, 36
	s_mul_i32 s22, s1, 36
	v_lshrrev_b16 v6, 3, v4
	v_mad_u64_u32 v[2:3], null, 0x120, v1, s[22:23]
	s_load_dwordx4 s[16:19], s[4:5], 0x0
	s_add_i32 s3, s8, s3
	v_lshrrev_b32_e32 v5, 4, v0
	s_lshr_b32 s1, s3, s11
	s_mul_i32 s3, s13, s8
	v_and_b32_e32 v6, 0xffff, v6
	v_mad_u64_u32 v[2:3], null, s3, 36, v[2:3]
	v_lshlrev_b32_e32 v7, 3, v5
	v_and_b32_e32 v8, 7, v0
	v_lshl_or_b32 v5, v5, 2, v6
	v_lshrrev_b16 v10, 2, v4
	v_lshlrev_b32_e32 v11, 1, v0
	s_mul_i32 s21, s21, s6
	v_or_b32_e32 v9, v7, v8
	v_mad_u64_u32 v[2:3], null, v5, 36, v[2:3]
	s_mul_i32 s3, s20, s0
	s_mul_i32 s0, s1, s12
	v_lshlrev_b32_e32 v9, 1, v9
	v_mov_b32_e32 v4, 0
	v_lshlrev_b32_e32 v5, 1, v6
	v_or_b32_sdwa v6, v7, v10 dst_sel:DWORD dst_unused:UNUSED_PAD src0_sel:DWORD src1_sel:WORD_0
	s_waitcnt lgkmcnt(0)
	v_add_co_u32 v2, vcc_lo, s18, v2
	v_lshlrev_b32_e32 v7, 2, v8
	v_add_co_ci_u32_e64 v3, null, s19, v3, vcc_lo
	v_lshlrev_b32_e32 v8, 1, v11
	v_lshlrev_b32_e32 v9, 1, v9
	v_mov_b32_e32 v10, v1
	s_add_i32 s0, s0, s21
	s_mov_b32 s1, 0
	s_add_i32 s3, s3, s0
.LBB148_9:                              ; =>This Inner Loop Header: Depth=1
	v_add_nc_u32_e32 v11, s3, v10
	v_add_nc_u32_e32 v10, 1, v10
	v_mad_i64_i32 v[11:12], null, 0xd2, v11, s[16:17]
	v_cmp_le_u32_e64 s0, s9, v10
	s_or_b32 s1, s0, s1
	v_add_co_u32 v13, vcc_lo, v11, v9
	v_add_co_ci_u32_e64 v14, null, 0, v12, vcc_lo
	v_add_co_u32 v15, vcc_lo, v11, v8
	v_add_co_ci_u32_e64 v16, null, 0, v12, vcc_lo
	s_clause 0x1
	global_load_dword v17, v[13:14], off offset:128
	global_load_dword v18, v[15:16], off
	v_add_co_u32 v13, vcc_lo, v2, v7
	v_add_co_ci_u32_e64 v14, null, 0, v3, vcc_lo
	v_add_co_u32 v15, vcc_lo, v11, v6
	v_add_co_ci_u32_e64 v16, null, 0, v12, vcc_lo
	s_clause 0x1
	global_load_dword v19, v[13:14], off offset:4
	global_load_dword v13, v[13:14], off offset:76
	s_clause 0x1
	global_load_sbyte v14, v[15:16], off offset:192
	global_load_sbyte v15, v[15:16], off offset:196
	s_clause 0x1
	global_load_dword v16, v[2:3], off
	global_load_dword v20, v[2:3], off offset:72
	global_load_ushort v11, v[11:12], off offset:208
	v_add_co_u32 v2, vcc_lo, 0x120, v2
	v_add_co_ci_u32_e64 v3, null, 0, v3, vcc_lo
	s_waitcnt vmcnt(8)
	v_ashrrev_i32_e32 v12, v5, v17
	s_waitcnt vmcnt(7)
	v_lshrrev_b32_e32 v17, 4, v18
	v_and_b32_e32 v18, 0xf0f0f0f, v18
	v_lshlrev_b32_e32 v21, 4, v12
	v_and_b32_e32 v17, 0xf0f0f0f, v17
	v_and_or_b32 v18, 0x30303030, v21, v18
	v_and_or_b32 v12, 0x30303030, v12, v17
	v_lshrrev_b32_e32 v17, 16, v18
	v_lshrrev_b32_e32 v22, 16, v12
	v_and_b32_e32 v21, 0x3f00, v18
	v_lshlrev_b16 v18, 8, v18
	v_and_b32_e32 v23, 0x3f00, v12
	v_lshlrev_b16 v24, 8, v17
	;; [unrolled: 2-line block ×3, first 2 shown]
	v_lshlrev_b16 v12, 8, v12
	v_add_nc_u16 v18, 0xe000, v18
	v_add_nc_u16 v24, 0xe000, v24
	v_and_b32_e32 v22, 0x3f00, v22
	v_add_nc_u16 v25, 0xe000, v25
	v_add_nc_u16 v12, 0xe000, v12
	v_or_b32_sdwa v18, v21, v18 dst_sel:DWORD dst_unused:UNUSED_PAD src0_sel:DWORD src1_sel:BYTE_1
	v_or_b32_sdwa v17, v17, v24 dst_sel:DWORD dst_unused:UNUSED_PAD src0_sel:DWORD src1_sel:BYTE_1
	;; [unrolled: 1-line block ×4, first 2 shown]
	v_add_nc_u16 v18, 0xe000, v18
	v_add_nc_u16 v17, 0xe000, v17
	v_mov_b32_e32 v22, 0
	v_add_nc_u16 v21, 0xe000, v21
	v_add_nc_u16 v12, 0xe000, v12
	v_lshlrev_b32_e32 v17, 16, v17
	v_lshlrev_b32_e32 v21, 16, v21
	v_or_b32_sdwa v17, v18, v17 dst_sel:DWORD dst_unused:UNUSED_PAD src0_sel:WORD_0 src1_sel:DWORD
	v_mov_b32_e32 v18, 0
	v_or_b32_sdwa v12, v12, v21 dst_sel:DWORD dst_unused:UNUSED_PAD src0_sel:WORD_0 src1_sel:DWORD
	s_waitcnt vmcnt(6)
	v_dot4c_i32_i8 v22, v17, v19
	s_waitcnt vmcnt(5)
	v_dot4c_i32_i8 v18, v12, v13
	s_waitcnt vmcnt(4)
	v_mul_lo_u32 v12, v22, v14
	s_waitcnt vmcnt(3)
	v_mul_lo_u32 v13, v18, v15
	v_cvt_f32_i32_e32 v12, v12
	v_cvt_f32_i32_e32 v13, v13
	s_waitcnt vmcnt(2)
	v_fma_mix_f32 v12, v16, v12, 0 op_sel_hi:[1,0,0]
	s_waitcnt vmcnt(1)
	v_fma_mix_f32 v12, v20, v13, v12 op_sel_hi:[1,0,0]
	;; [unrolled: 2-line block ×3, first 2 shown]
	s_andn2_b32 exec_lo, exec_lo, s1
	s_cbranch_execnz .LBB148_9
; %bb.10:
	s_or_b32 exec_lo, exec_lo, s1
.LBB148_11:
	s_or_b32 exec_lo, exec_lo, s7
	s_waitcnt lgkmcnt(0)
	; wave barrier
	buffer_gl0_inv
	s_mov_b32 s0, exec_lo
	v_cmpx_eq_u32_e32 0, v1
	s_cbranch_execz .LBB148_14
; %bb.12:
	v_mbcnt_lo_u32_b32 v1, -1, 0
	v_xor_b32_e32 v2, 16, v1
	v_xor_b32_e32 v3, 8, v1
	v_cmp_gt_i32_e32 vcc_lo, 32, v2
	v_cndmask_b32_e32 v2, v1, v2, vcc_lo
	v_cmp_gt_i32_e32 vcc_lo, 32, v3
	v_lshlrev_b32_e32 v2, 2, v2
	v_cndmask_b32_e32 v3, v1, v3, vcc_lo
	ds_bpermute_b32 v2, v2, v4
	v_lshlrev_b32_e32 v3, 2, v3
	s_waitcnt lgkmcnt(0)
	v_add_f32_e32 v2, v4, v2
	v_xor_b32_e32 v4, 4, v1
	ds_bpermute_b32 v3, v3, v2
	v_cmp_gt_i32_e32 vcc_lo, 32, v4
	v_cndmask_b32_e32 v4, v1, v4, vcc_lo
	v_lshlrev_b32_e32 v4, 2, v4
	s_waitcnt lgkmcnt(0)
	v_add_f32_e32 v2, v2, v3
	ds_bpermute_b32 v3, v4, v2
	v_xor_b32_e32 v4, 2, v1
	v_cmp_gt_i32_e32 vcc_lo, 32, v4
	v_cndmask_b32_e32 v4, v1, v4, vcc_lo
	v_lshlrev_b32_e32 v4, 2, v4
	s_waitcnt lgkmcnt(0)
	v_add_f32_e32 v2, v2, v3
	ds_bpermute_b32 v3, v4, v2
	v_xor_b32_e32 v4, 1, v1
	v_cmp_gt_i32_e32 vcc_lo, 32, v4
	v_cndmask_b32_e32 v1, v1, v4, vcc_lo
	v_cmp_eq_u32_e32 vcc_lo, 0, v0
	v_lshlrev_b32_e32 v4, 2, v1
	s_waitcnt lgkmcnt(0)
	v_add_f32_e32 v1, v2, v3
	ds_bpermute_b32 v2, v4, v1
	s_and_b32 exec_lo, exec_lo, vcc_lo
	s_cbranch_execz .LBB148_14
; %bb.13:
	s_load_dwordx2 s[0:1], s[4:5], 0x38
	s_mul_i32 s2, s2, s10
	s_mul_i32 s3, s14, s8
	s_add_i32 s2, s2, s6
	s_waitcnt lgkmcnt(0)
	v_add_f32_e32 v0, v1, v2
	s_add_i32 s2, s2, s3
	s_mov_b32 s3, 0
	v_mov_b32_e32 v1, 0
	s_lshl_b64 s[2:3], s[2:3], 2
	s_add_u32 s0, s0, s2
	s_addc_u32 s1, s1, s3
	global_store_dword v1, v0, s[0:1]
.LBB148_14:
	s_endpgm
	.section	.rodata,"a",@progbits
	.p2align	6, 0x0
	.amdhsa_kernel _ZL13mul_mat_vec_qIL9ggml_type14ELi1ELb0ELb0EEvPKvS2_PKi31ggml_cuda_mm_fusion_args_devicePfj15HIP_vector_typeIjLj3EEjjjS8_jjjS8_jjjj
		.amdhsa_group_segment_fixed_size 0
		.amdhsa_private_segment_fixed_size 0
		.amdhsa_kernarg_size 144
		.amdhsa_user_sgpr_count 6
		.amdhsa_user_sgpr_private_segment_buffer 1
		.amdhsa_user_sgpr_dispatch_ptr 0
		.amdhsa_user_sgpr_queue_ptr 0
		.amdhsa_user_sgpr_kernarg_segment_ptr 1
		.amdhsa_user_sgpr_dispatch_id 0
		.amdhsa_user_sgpr_flat_scratch_init 0
		.amdhsa_user_sgpr_private_segment_size 0
		.amdhsa_wavefront_size32 1
		.amdhsa_uses_dynamic_stack 0
		.amdhsa_system_sgpr_private_segment_wavefront_offset 0
		.amdhsa_system_sgpr_workgroup_id_x 1
		.amdhsa_system_sgpr_workgroup_id_y 1
		.amdhsa_system_sgpr_workgroup_id_z 1
		.amdhsa_system_sgpr_workgroup_info 0
		.amdhsa_system_vgpr_workitem_id 1
		.amdhsa_next_free_vgpr 26
		.amdhsa_next_free_sgpr 24
		.amdhsa_reserve_vcc 1
		.amdhsa_reserve_flat_scratch 0
		.amdhsa_float_round_mode_32 0
		.amdhsa_float_round_mode_16_64 0
		.amdhsa_float_denorm_mode_32 3
		.amdhsa_float_denorm_mode_16_64 3
		.amdhsa_dx10_clamp 1
		.amdhsa_ieee_mode 1
		.amdhsa_fp16_overflow 0
		.amdhsa_workgroup_processor_mode 1
		.amdhsa_memory_ordered 1
		.amdhsa_forward_progress 1
		.amdhsa_shared_vgpr_count 0
		.amdhsa_exception_fp_ieee_invalid_op 0
		.amdhsa_exception_fp_denorm_src 0
		.amdhsa_exception_fp_ieee_div_zero 0
		.amdhsa_exception_fp_ieee_overflow 0
		.amdhsa_exception_fp_ieee_underflow 0
		.amdhsa_exception_fp_ieee_inexact 0
		.amdhsa_exception_int_div_zero 0
	.end_amdhsa_kernel
	.section	.text._ZL13mul_mat_vec_qIL9ggml_type14ELi1ELb0ELb0EEvPKvS2_PKi31ggml_cuda_mm_fusion_args_devicePfj15HIP_vector_typeIjLj3EEjjjS8_jjjS8_jjjj,"axG",@progbits,_ZL13mul_mat_vec_qIL9ggml_type14ELi1ELb0ELb0EEvPKvS2_PKi31ggml_cuda_mm_fusion_args_devicePfj15HIP_vector_typeIjLj3EEjjjS8_jjjS8_jjjj,comdat
.Lfunc_end148:
	.size	_ZL13mul_mat_vec_qIL9ggml_type14ELi1ELb0ELb0EEvPKvS2_PKi31ggml_cuda_mm_fusion_args_devicePfj15HIP_vector_typeIjLj3EEjjjS8_jjjS8_jjjj, .Lfunc_end148-_ZL13mul_mat_vec_qIL9ggml_type14ELi1ELb0ELb0EEvPKvS2_PKi31ggml_cuda_mm_fusion_args_devicePfj15HIP_vector_typeIjLj3EEjjjS8_jjjS8_jjjj
                                        ; -- End function
	.set _ZL13mul_mat_vec_qIL9ggml_type14ELi1ELb0ELb0EEvPKvS2_PKi31ggml_cuda_mm_fusion_args_devicePfj15HIP_vector_typeIjLj3EEjjjS8_jjjS8_jjjj.num_vgpr, 26
	.set _ZL13mul_mat_vec_qIL9ggml_type14ELi1ELb0ELb0EEvPKvS2_PKi31ggml_cuda_mm_fusion_args_devicePfj15HIP_vector_typeIjLj3EEjjjS8_jjjS8_jjjj.num_agpr, 0
	.set _ZL13mul_mat_vec_qIL9ggml_type14ELi1ELb0ELb0EEvPKvS2_PKi31ggml_cuda_mm_fusion_args_devicePfj15HIP_vector_typeIjLj3EEjjjS8_jjjS8_jjjj.numbered_sgpr, 24
	.set _ZL13mul_mat_vec_qIL9ggml_type14ELi1ELb0ELb0EEvPKvS2_PKi31ggml_cuda_mm_fusion_args_devicePfj15HIP_vector_typeIjLj3EEjjjS8_jjjS8_jjjj.num_named_barrier, 0
	.set _ZL13mul_mat_vec_qIL9ggml_type14ELi1ELb0ELb0EEvPKvS2_PKi31ggml_cuda_mm_fusion_args_devicePfj15HIP_vector_typeIjLj3EEjjjS8_jjjS8_jjjj.private_seg_size, 0
	.set _ZL13mul_mat_vec_qIL9ggml_type14ELi1ELb0ELb0EEvPKvS2_PKi31ggml_cuda_mm_fusion_args_devicePfj15HIP_vector_typeIjLj3EEjjjS8_jjjS8_jjjj.uses_vcc, 1
	.set _ZL13mul_mat_vec_qIL9ggml_type14ELi1ELb0ELb0EEvPKvS2_PKi31ggml_cuda_mm_fusion_args_devicePfj15HIP_vector_typeIjLj3EEjjjS8_jjjS8_jjjj.uses_flat_scratch, 0
	.set _ZL13mul_mat_vec_qIL9ggml_type14ELi1ELb0ELb0EEvPKvS2_PKi31ggml_cuda_mm_fusion_args_devicePfj15HIP_vector_typeIjLj3EEjjjS8_jjjS8_jjjj.has_dyn_sized_stack, 0
	.set _ZL13mul_mat_vec_qIL9ggml_type14ELi1ELb0ELb0EEvPKvS2_PKi31ggml_cuda_mm_fusion_args_devicePfj15HIP_vector_typeIjLj3EEjjjS8_jjjS8_jjjj.has_recursion, 0
	.set _ZL13mul_mat_vec_qIL9ggml_type14ELi1ELb0ELb0EEvPKvS2_PKi31ggml_cuda_mm_fusion_args_devicePfj15HIP_vector_typeIjLj3EEjjjS8_jjjS8_jjjj.has_indirect_call, 0
	.section	.AMDGPU.csdata,"",@progbits
; Kernel info:
; codeLenInByte = 1276
; TotalNumSgprs: 26
; NumVgprs: 26
; ScratchSize: 0
; MemoryBound: 0
; FloatMode: 240
; IeeeMode: 1
; LDSByteSize: 0 bytes/workgroup (compile time only)
; SGPRBlocks: 0
; VGPRBlocks: 3
; NumSGPRsForWavesPerEU: 26
; NumVGPRsForWavesPerEU: 26
; Occupancy: 16
; WaveLimiterHint : 0
; COMPUTE_PGM_RSRC2:SCRATCH_EN: 0
; COMPUTE_PGM_RSRC2:USER_SGPR: 6
; COMPUTE_PGM_RSRC2:TRAP_HANDLER: 0
; COMPUTE_PGM_RSRC2:TGID_X_EN: 1
; COMPUTE_PGM_RSRC2:TGID_Y_EN: 1
; COMPUTE_PGM_RSRC2:TGID_Z_EN: 1
; COMPUTE_PGM_RSRC2:TIDIG_COMP_CNT: 1
	.section	.text._ZL13mul_mat_vec_qIL9ggml_type14ELi2ELb0ELb0EEvPKvS2_PKi31ggml_cuda_mm_fusion_args_devicePfj15HIP_vector_typeIjLj3EEjjjS8_jjjS8_jjjj,"axG",@progbits,_ZL13mul_mat_vec_qIL9ggml_type14ELi2ELb0ELb0EEvPKvS2_PKi31ggml_cuda_mm_fusion_args_devicePfj15HIP_vector_typeIjLj3EEjjjS8_jjjS8_jjjj,comdat
	.globl	_ZL13mul_mat_vec_qIL9ggml_type14ELi2ELb0ELb0EEvPKvS2_PKi31ggml_cuda_mm_fusion_args_devicePfj15HIP_vector_typeIjLj3EEjjjS8_jjjS8_jjjj ; -- Begin function _ZL13mul_mat_vec_qIL9ggml_type14ELi2ELb0ELb0EEvPKvS2_PKi31ggml_cuda_mm_fusion_args_devicePfj15HIP_vector_typeIjLj3EEjjjS8_jjjS8_jjjj
	.p2align	8
	.type	_ZL13mul_mat_vec_qIL9ggml_type14ELi2ELb0ELb0EEvPKvS2_PKi31ggml_cuda_mm_fusion_args_devicePfj15HIP_vector_typeIjLj3EEjjjS8_jjjS8_jjjj,@function
_ZL13mul_mat_vec_qIL9ggml_type14ELi2ELb0ELb0EEvPKvS2_PKi31ggml_cuda_mm_fusion_args_devicePfj15HIP_vector_typeIjLj3EEjjjS8_jjjS8_jjjj: ; @_ZL13mul_mat_vec_qIL9ggml_type14ELi2ELb0ELb0EEvPKvS2_PKi31ggml_cuda_mm_fusion_args_devicePfj15HIP_vector_typeIjLj3EEjjjS8_jjjS8_jjjj
; %bb.0:
	s_clause 0x5
	s_load_dword s9, s[4:5], 0x40
	s_load_dwordx4 s[0:3], s[4:5], 0x50
	s_load_dword s11, s[4:5], 0x60
	s_load_dwordx4 s[12:15], s[4:5], 0x68
	;; [unrolled: 2-line block ×3, first 2 shown]
	v_mov_b32_e32 v6, 0
	v_mov_b32_e32 v7, 0
	s_waitcnt lgkmcnt(0)
	s_lshr_b32 s10, s9, 8
	s_mov_b32 s9, exec_lo
	v_cmpx_gt_u32_e64 s10, v1
	s_cbranch_execz .LBB149_4
; %bb.1:
	s_mul_i32 s13, s13, s7
	v_and_b32_e32 v5, 15, v0
	s_load_dwordx4 s[20:23], s[4:5], 0x0
	s_mul_hi_u32 s27, s13, 36
	s_mul_i32 s26, s13, 36
	s_mul_i32 s17, s17, s8
	v_mad_u64_u32 v[2:3], null, 0x120, v1, s[26:27]
	v_lshrrev_b16 v6, 3, v5
	v_lshrrev_b32_e32 v4, 4, v0
	v_and_b32_e32 v14, 7, v0
	s_mul_hi_u32 s3, s3, s7
	s_mul_hi_u32 s15, s15, s8
	v_and_b32_e32 v6, 0xffff, v6
	v_mad_u64_u32 v[2:3], null, s17, 36, v[2:3]
	v_lshlrev_b32_e32 v9, 3, v4
	s_add_i32 s3, s7, s3
	v_lshl_or_b32 v8, v4, 2, v6
	s_add_i32 s15, s8, s15
	s_mul_i32 s25, s17, 36
	s_lshr_b32 s3, s3, s11
	v_or_b32_e32 v10, v9, v14
	v_lshrrev_b16 v11, 2, v5
	v_mad_u64_u32 v[4:5], null, v8, 36, v[2:3]
	s_mul_hi_u32 s19, s17, 36
	s_lshr_b32 s11, s15, s24
	s_mul_i32 s3, s3, s12
	s_waitcnt lgkmcnt(0)
	s_add_u32 s12, s22, s25
	s_addc_u32 s13, s23, s19
	s_add_u32 s12, s12, s26
	s_addc_u32 s13, s13, s27
	v_lshlrev_b32_e32 v12, 1, v0
	v_lshlrev_b32_e32 v13, 1, v10
	v_mad_u64_u32 v[2:3], null, v8, 36, s[12:13]
	v_add_co_u32 v4, vcc_lo, s22, v4
	s_mul_i32 s0, s0, s6
	v_mov_b32_e32 v7, 0
	v_lshlrev_b32_e32 v8, 1, v6
	v_or_b32_sdwa v9, v9, v11 dst_sel:DWORD dst_unused:UNUSED_PAD src0_sel:DWORD src1_sel:WORD_0
	v_lshlrev_b32_e32 v10, 2, v14
	v_add_co_ci_u32_e64 v5, null, s23, v5, vcc_lo
	v_lshl_add_u32 v11, v1, 3, s1
	v_lshlrev_b32_e32 v12, 1, v12
	v_lshlrev_b32_e32 v13, 1, v13
	;; [unrolled: 1-line block ×3, first 2 shown]
	v_mov_b32_e32 v15, v1
	v_mov_b32_e32 v6, 0
	s_mul_i32 s11, s11, s16
	s_add_i32 s3, s3, s0
	s_mov_b32 s0, 0
	s_add_i32 s1, s11, s3
.LBB149_2:                              ; =>This Inner Loop Header: Depth=1
	v_add_nc_u32_e32 v16, s1, v15
	v_mov_b32_e32 v31, 0
	v_mov_b32_e32 v32, 0
	v_add_nc_u32_e32 v15, 1, v15
	v_mad_i64_i32 v[16:17], null, 0xd2, v16, s[20:21]
	v_add_co_u32 v18, vcc_lo, v16, v13
	v_add_co_ci_u32_e64 v19, null, 0, v17, vcc_lo
	v_add_co_u32 v20, vcc_lo, v16, v12
	v_add_co_ci_u32_e64 v21, null, 0, v17, vcc_lo
	s_clause 0x1
	global_load_dword v26, v[18:19], off offset:128
	global_load_dword v27, v[20:21], off
	v_add_co_u32 v20, vcc_lo, v4, v10
	v_mad_u64_u32 v[18:19], null, v11, 36, v[2:3]
	v_add_co_ci_u32_e64 v21, null, 0, v5, vcc_lo
	v_add_nc_u32_e32 v11, 8, v11
	global_load_dword v28, v[20:21], off offset:4
	v_add_co_u32 v22, vcc_lo, v18, v14
	v_add_co_ci_u32_e64 v23, null, 0, v19, vcc_lo
	v_add_co_u32 v24, vcc_lo, v16, v9
	v_add_co_ci_u32_e64 v25, null, 0, v17, vcc_lo
	global_load_dword v29, v[22:23], off offset:4
	global_load_dword v20, v[20:21], off offset:76
	;; [unrolled: 1-line block ×3, first 2 shown]
	s_clause 0x1
	global_load_sbyte v22, v[24:25], off offset:192
	global_load_sbyte v23, v[24:25], off offset:196
	global_load_dword v24, v[4:5], off
	global_load_dword v25, v[18:19], off
	global_load_dword v30, v[4:5], off offset:72
	global_load_dword v18, v[18:19], off offset:72
	global_load_ushort v16, v[16:17], off offset:208
	v_mov_b32_e32 v17, 0
	v_mov_b32_e32 v19, 0
	v_add_co_u32 v4, vcc_lo, 0x120, v4
	v_add_co_ci_u32_e64 v5, null, 0, v5, vcc_lo
	v_cmp_le_u32_e32 vcc_lo, s10, v15
	s_or_b32 s0, vcc_lo, s0
	s_waitcnt vmcnt(12)
	v_ashrrev_i32_e32 v26, v8, v26
	s_waitcnt vmcnt(11)
	v_lshrrev_b32_e32 v33, 4, v27
	v_and_b32_e32 v27, 0xf0f0f0f, v27
	v_lshlrev_b32_e32 v34, 4, v26
	v_and_b32_e32 v33, 0xf0f0f0f, v33
	v_and_or_b32 v27, 0x30303030, v34, v27
	v_and_or_b32 v26, 0x30303030, v26, v33
	v_lshrrev_b32_e32 v33, 16, v27
	v_lshlrev_b16 v34, 8, v27
	v_lshrrev_b32_e32 v35, 16, v26
	v_and_b32_e32 v27, 0x3f00, v27
	v_lshlrev_b16 v36, 8, v26
	v_lshlrev_b16 v37, 8, v33
	v_add_nc_u16 v34, 0xe000, v34
	v_and_b32_e32 v33, 0x3f00, v33
	v_lshlrev_b16 v38, 8, v35
	v_and_b32_e32 v35, 0x3f00, v35
	v_add_nc_u16 v37, 0xe000, v37
	v_or_b32_sdwa v27, v27, v34 dst_sel:DWORD dst_unused:UNUSED_PAD src0_sel:DWORD src1_sel:BYTE_1
	v_and_b32_e32 v26, 0x3f00, v26
	v_add_nc_u16 v34, 0xe000, v38
	v_add_nc_u16 v36, 0xe000, v36
	v_or_b32_sdwa v33, v33, v37 dst_sel:DWORD dst_unused:UNUSED_PAD src0_sel:DWORD src1_sel:BYTE_1
	v_add_nc_u16 v27, 0xe000, v27
	v_or_b32_sdwa v34, v35, v34 dst_sel:DWORD dst_unused:UNUSED_PAD src0_sel:DWORD src1_sel:BYTE_1
	v_or_b32_sdwa v26, v26, v36 dst_sel:DWORD dst_unused:UNUSED_PAD src0_sel:DWORD src1_sel:BYTE_1
	v_add_nc_u16 v33, 0xe000, v33
	v_add_nc_u16 v34, 0xe000, v34
	;; [unrolled: 1-line block ×3, first 2 shown]
	v_lshlrev_b32_e32 v33, 16, v33
	v_lshlrev_b32_e32 v34, 16, v34
	v_or_b32_sdwa v27, v27, v33 dst_sel:DWORD dst_unused:UNUSED_PAD src0_sel:WORD_0 src1_sel:DWORD
	v_or_b32_sdwa v26, v26, v34 dst_sel:DWORD dst_unused:UNUSED_PAD src0_sel:WORD_0 src1_sel:DWORD
	s_waitcnt vmcnt(9)
	v_dot4c_i32_i8 v31, v27, v29
	v_dot4c_i32_i8 v17, v27, v28
	s_waitcnt vmcnt(8)
	v_dot4c_i32_i8 v19, v26, v20
	s_waitcnt vmcnt(7)
	;; [unrolled: 2-line block ×3, first 2 shown]
	v_mul_lo_u32 v20, v31, v22
	v_mul_lo_u32 v17, v17, v22
	s_waitcnt vmcnt(5)
	v_mul_lo_u32 v19, v19, v23
	v_mul_lo_u32 v21, v32, v23
	v_cvt_f32_i32_e32 v20, v20
	v_cvt_f32_i32_e32 v17, v17
	;; [unrolled: 1-line block ×4, first 2 shown]
	s_waitcnt vmcnt(3)
	v_fma_mix_f32 v20, v25, v20, 0 op_sel_hi:[1,0,0]
	v_fma_mix_f32 v17, v24, v17, 0 op_sel_hi:[1,0,0]
	s_waitcnt vmcnt(1)
	v_fma_mix_f32 v18, v18, v21, v20 op_sel_hi:[1,0,0]
	v_fma_mix_f32 v17, v30, v19, v17 op_sel_hi:[1,0,0]
	;; [unrolled: 3-line block ×3, first 2 shown]
	s_andn2_b32 exec_lo, exec_lo, s0
	s_cbranch_execnz .LBB149_2
; %bb.3:
	s_or_b32 exec_lo, exec_lo, s0
.LBB149_4:
	s_or_b32 exec_lo, exec_lo, s9
	s_mov_b32 s1, 0
	; wave barrier
	buffer_gl0_inv
	s_mov_b32 s0, exec_lo
	v_cmpx_eq_u32_e32 0, v1
	s_cbranch_execz .LBB149_9
; %bb.5:
	v_mbcnt_lo_u32_b32 v5, -1, 0
	s_load_dwordx2 s[4:5], s[4:5], 0x38
	s_mul_i32 s0, s14, s7
	s_mul_i32 s3, s18, s8
	s_add_i32 s0, s0, s6
	v_xor_b32_e32 v1, 16, v5
	v_xor_b32_e32 v2, 8, v5
	;; [unrolled: 1-line block ×3, first 2 shown]
	s_add_i32 s0, s0, s3
	s_lshl_b64 s[0:1], s[0:1], 2
	v_cmp_gt_i32_e32 vcc_lo, 32, v1
	v_cndmask_b32_e32 v1, v5, v1, vcc_lo
	v_cmp_gt_i32_e32 vcc_lo, 32, v2
	v_lshlrev_b32_e32 v1, 2, v1
	v_cndmask_b32_e32 v2, v5, v2, vcc_lo
	s_waitcnt lgkmcnt(0)
	s_add_u32 s0, s4, s0
	s_addc_u32 s1, s5, s1
	ds_bpermute_b32 v3, v1, v7
	v_lshlrev_b32_e32 v2, 2, v2
	s_waitcnt lgkmcnt(0)
	v_add_f32_e32 v4, v7, v3
	v_xor_b32_e32 v3, 4, v5
	ds_bpermute_b32 v7, v2, v4
	v_cmp_gt_i32_e32 vcc_lo, 32, v3
	v_cndmask_b32_e32 v3, v5, v3, vcc_lo
	v_lshlrev_b32_e32 v3, 2, v3
	s_waitcnt lgkmcnt(0)
	v_add_f32_e32 v7, v4, v7
	v_xor_b32_e32 v4, 2, v5
	ds_bpermute_b32 v8, v3, v7
	v_cmp_gt_i32_e32 vcc_lo, 32, v4
	v_cndmask_b32_e32 v4, v5, v4, vcc_lo
	v_cmp_gt_i32_e32 vcc_lo, 32, v9
	v_lshlrev_b32_e32 v4, 2, v4
	v_cndmask_b32_e32 v5, v5, v9, vcc_lo
	v_cmp_eq_u32_e32 vcc_lo, 0, v0
	v_lshlrev_b32_e32 v5, 2, v5
	s_waitcnt lgkmcnt(0)
	v_add_f32_e32 v7, v7, v8
	ds_bpermute_b32 v8, v4, v7
	s_waitcnt lgkmcnt(0)
	v_add_f32_e32 v7, v7, v8
	ds_bpermute_b32 v8, v5, v7
	s_and_saveexec_b32 s3, vcc_lo
	s_cbranch_execz .LBB149_7
; %bb.6:
	s_waitcnt lgkmcnt(0)
	v_add_f32_e32 v0, v7, v8
	v_mov_b32_e32 v7, 0
	global_store_dword v7, v0, s[0:1]
.LBB149_7:
	s_or_b32 exec_lo, exec_lo, s3
	ds_bpermute_b32 v0, v1, v6
	s_waitcnt lgkmcnt(0)
	v_add_f32_e32 v0, v6, v0
	ds_bpermute_b32 v1, v2, v0
	s_waitcnt lgkmcnt(0)
	v_add_f32_e32 v0, v0, v1
	;; [unrolled: 3-line block ×4, first 2 shown]
	ds_bpermute_b32 v1, v5, v0
	s_and_b32 exec_lo, exec_lo, vcc_lo
	s_cbranch_execz .LBB149_9
; %bb.8:
	s_mov_b32 s3, 0
	s_waitcnt lgkmcnt(0)
	v_add_f32_e32 v0, v0, v1
	s_lshl_b64 s[2:3], s[2:3], 2
	v_mov_b32_e32 v1, 0
	s_add_u32 s0, s0, s2
	s_addc_u32 s1, s1, s3
	global_store_dword v1, v0, s[0:1]
.LBB149_9:
	s_endpgm
	.section	.rodata,"a",@progbits
	.p2align	6, 0x0
	.amdhsa_kernel _ZL13mul_mat_vec_qIL9ggml_type14ELi2ELb0ELb0EEvPKvS2_PKi31ggml_cuda_mm_fusion_args_devicePfj15HIP_vector_typeIjLj3EEjjjS8_jjjS8_jjjj
		.amdhsa_group_segment_fixed_size 0
		.amdhsa_private_segment_fixed_size 0
		.amdhsa_kernarg_size 144
		.amdhsa_user_sgpr_count 6
		.amdhsa_user_sgpr_private_segment_buffer 1
		.amdhsa_user_sgpr_dispatch_ptr 0
		.amdhsa_user_sgpr_queue_ptr 0
		.amdhsa_user_sgpr_kernarg_segment_ptr 1
		.amdhsa_user_sgpr_dispatch_id 0
		.amdhsa_user_sgpr_flat_scratch_init 0
		.amdhsa_user_sgpr_private_segment_size 0
		.amdhsa_wavefront_size32 1
		.amdhsa_uses_dynamic_stack 0
		.amdhsa_system_sgpr_private_segment_wavefront_offset 0
		.amdhsa_system_sgpr_workgroup_id_x 1
		.amdhsa_system_sgpr_workgroup_id_y 1
		.amdhsa_system_sgpr_workgroup_id_z 1
		.amdhsa_system_sgpr_workgroup_info 0
		.amdhsa_system_vgpr_workitem_id 1
		.amdhsa_next_free_vgpr 39
		.amdhsa_next_free_sgpr 28
		.amdhsa_reserve_vcc 1
		.amdhsa_reserve_flat_scratch 0
		.amdhsa_float_round_mode_32 0
		.amdhsa_float_round_mode_16_64 0
		.amdhsa_float_denorm_mode_32 3
		.amdhsa_float_denorm_mode_16_64 3
		.amdhsa_dx10_clamp 1
		.amdhsa_ieee_mode 1
		.amdhsa_fp16_overflow 0
		.amdhsa_workgroup_processor_mode 1
		.amdhsa_memory_ordered 1
		.amdhsa_forward_progress 1
		.amdhsa_shared_vgpr_count 0
		.amdhsa_exception_fp_ieee_invalid_op 0
		.amdhsa_exception_fp_denorm_src 0
		.amdhsa_exception_fp_ieee_div_zero 0
		.amdhsa_exception_fp_ieee_overflow 0
		.amdhsa_exception_fp_ieee_underflow 0
		.amdhsa_exception_fp_ieee_inexact 0
		.amdhsa_exception_int_div_zero 0
	.end_amdhsa_kernel
	.section	.text._ZL13mul_mat_vec_qIL9ggml_type14ELi2ELb0ELb0EEvPKvS2_PKi31ggml_cuda_mm_fusion_args_devicePfj15HIP_vector_typeIjLj3EEjjjS8_jjjS8_jjjj,"axG",@progbits,_ZL13mul_mat_vec_qIL9ggml_type14ELi2ELb0ELb0EEvPKvS2_PKi31ggml_cuda_mm_fusion_args_devicePfj15HIP_vector_typeIjLj3EEjjjS8_jjjS8_jjjj,comdat
.Lfunc_end149:
	.size	_ZL13mul_mat_vec_qIL9ggml_type14ELi2ELb0ELb0EEvPKvS2_PKi31ggml_cuda_mm_fusion_args_devicePfj15HIP_vector_typeIjLj3EEjjjS8_jjjS8_jjjj, .Lfunc_end149-_ZL13mul_mat_vec_qIL9ggml_type14ELi2ELb0ELb0EEvPKvS2_PKi31ggml_cuda_mm_fusion_args_devicePfj15HIP_vector_typeIjLj3EEjjjS8_jjjS8_jjjj
                                        ; -- End function
	.set _ZL13mul_mat_vec_qIL9ggml_type14ELi2ELb0ELb0EEvPKvS2_PKi31ggml_cuda_mm_fusion_args_devicePfj15HIP_vector_typeIjLj3EEjjjS8_jjjS8_jjjj.num_vgpr, 39
	.set _ZL13mul_mat_vec_qIL9ggml_type14ELi2ELb0ELb0EEvPKvS2_PKi31ggml_cuda_mm_fusion_args_devicePfj15HIP_vector_typeIjLj3EEjjjS8_jjjS8_jjjj.num_agpr, 0
	.set _ZL13mul_mat_vec_qIL9ggml_type14ELi2ELb0ELb0EEvPKvS2_PKi31ggml_cuda_mm_fusion_args_devicePfj15HIP_vector_typeIjLj3EEjjjS8_jjjS8_jjjj.numbered_sgpr, 28
	.set _ZL13mul_mat_vec_qIL9ggml_type14ELi2ELb0ELb0EEvPKvS2_PKi31ggml_cuda_mm_fusion_args_devicePfj15HIP_vector_typeIjLj3EEjjjS8_jjjS8_jjjj.num_named_barrier, 0
	.set _ZL13mul_mat_vec_qIL9ggml_type14ELi2ELb0ELb0EEvPKvS2_PKi31ggml_cuda_mm_fusion_args_devicePfj15HIP_vector_typeIjLj3EEjjjS8_jjjS8_jjjj.private_seg_size, 0
	.set _ZL13mul_mat_vec_qIL9ggml_type14ELi2ELb0ELb0EEvPKvS2_PKi31ggml_cuda_mm_fusion_args_devicePfj15HIP_vector_typeIjLj3EEjjjS8_jjjS8_jjjj.uses_vcc, 1
	.set _ZL13mul_mat_vec_qIL9ggml_type14ELi2ELb0ELb0EEvPKvS2_PKi31ggml_cuda_mm_fusion_args_devicePfj15HIP_vector_typeIjLj3EEjjjS8_jjjS8_jjjj.uses_flat_scratch, 0
	.set _ZL13mul_mat_vec_qIL9ggml_type14ELi2ELb0ELb0EEvPKvS2_PKi31ggml_cuda_mm_fusion_args_devicePfj15HIP_vector_typeIjLj3EEjjjS8_jjjS8_jjjj.has_dyn_sized_stack, 0
	.set _ZL13mul_mat_vec_qIL9ggml_type14ELi2ELb0ELb0EEvPKvS2_PKi31ggml_cuda_mm_fusion_args_devicePfj15HIP_vector_typeIjLj3EEjjjS8_jjjS8_jjjj.has_recursion, 0
	.set _ZL13mul_mat_vec_qIL9ggml_type14ELi2ELb0ELb0EEvPKvS2_PKi31ggml_cuda_mm_fusion_args_devicePfj15HIP_vector_typeIjLj3EEjjjS8_jjjS8_jjjj.has_indirect_call, 0
	.section	.AMDGPU.csdata,"",@progbits
; Kernel info:
; codeLenInByte = 1436
; TotalNumSgprs: 30
; NumVgprs: 39
; ScratchSize: 0
; MemoryBound: 0
; FloatMode: 240
; IeeeMode: 1
; LDSByteSize: 0 bytes/workgroup (compile time only)
; SGPRBlocks: 0
; VGPRBlocks: 4
; NumSGPRsForWavesPerEU: 30
; NumVGPRsForWavesPerEU: 39
; Occupancy: 16
; WaveLimiterHint : 0
; COMPUTE_PGM_RSRC2:SCRATCH_EN: 0
; COMPUTE_PGM_RSRC2:USER_SGPR: 6
; COMPUTE_PGM_RSRC2:TRAP_HANDLER: 0
; COMPUTE_PGM_RSRC2:TGID_X_EN: 1
; COMPUTE_PGM_RSRC2:TGID_Y_EN: 1
; COMPUTE_PGM_RSRC2:TGID_Z_EN: 1
; COMPUTE_PGM_RSRC2:TIDIG_COMP_CNT: 1
	.section	.text._ZL13mul_mat_vec_qIL9ggml_type14ELi3ELb0ELb0EEvPKvS2_PKi31ggml_cuda_mm_fusion_args_devicePfj15HIP_vector_typeIjLj3EEjjjS8_jjjS8_jjjj,"axG",@progbits,_ZL13mul_mat_vec_qIL9ggml_type14ELi3ELb0ELb0EEvPKvS2_PKi31ggml_cuda_mm_fusion_args_devicePfj15HIP_vector_typeIjLj3EEjjjS8_jjjS8_jjjj,comdat
	.globl	_ZL13mul_mat_vec_qIL9ggml_type14ELi3ELb0ELb0EEvPKvS2_PKi31ggml_cuda_mm_fusion_args_devicePfj15HIP_vector_typeIjLj3EEjjjS8_jjjS8_jjjj ; -- Begin function _ZL13mul_mat_vec_qIL9ggml_type14ELi3ELb0ELb0EEvPKvS2_PKi31ggml_cuda_mm_fusion_args_devicePfj15HIP_vector_typeIjLj3EEjjjS8_jjjS8_jjjj
	.p2align	8
	.type	_ZL13mul_mat_vec_qIL9ggml_type14ELi3ELb0ELb0EEvPKvS2_PKi31ggml_cuda_mm_fusion_args_devicePfj15HIP_vector_typeIjLj3EEjjjS8_jjjS8_jjjj,@function
_ZL13mul_mat_vec_qIL9ggml_type14ELi3ELb0ELb0EEvPKvS2_PKi31ggml_cuda_mm_fusion_args_devicePfj15HIP_vector_typeIjLj3EEjjjS8_jjjS8_jjjj: ; @_ZL13mul_mat_vec_qIL9ggml_type14ELi3ELb0ELb0EEvPKvS2_PKi31ggml_cuda_mm_fusion_args_devicePfj15HIP_vector_typeIjLj3EEjjjS8_jjjS8_jjjj
; %bb.0:
	s_clause 0x5
	s_load_dword s9, s[4:5], 0x40
	s_load_dwordx4 s[0:3], s[4:5], 0x50
	s_load_dword s11, s[4:5], 0x60
	s_load_dwordx4 s[12:15], s[4:5], 0x68
	;; [unrolled: 2-line block ×3, first 2 shown]
	v_mov_b32_e32 v6, 0
	v_mov_b32_e32 v7, 0
	;; [unrolled: 1-line block ×3, first 2 shown]
	s_waitcnt lgkmcnt(0)
	s_lshr_b32 s10, s9, 8
	s_mov_b32 s9, exec_lo
	v_cmpx_gt_u32_e64 s10, v1
	s_cbranch_execz .LBB150_4
; %bb.1:
	s_mul_i32 s13, s13, s7
	v_and_b32_e32 v5, 15, v0
	s_load_dwordx4 s[20:23], s[4:5], 0x0
	s_mul_hi_u32 s27, s13, 36
	s_mul_i32 s26, s13, 36
	v_lshrrev_b32_e32 v4, 4, v0
	v_mad_u64_u32 v[2:3], null, 0x120, v1, s[26:27]
	v_lshrrev_b16 v6, 3, v5
	s_mul_i32 s17, s17, s8
	v_lshlrev_b32_e32 v7, 3, v4
	v_and_b32_e32 v8, 7, v0
	s_mul_hi_u32 s3, s3, s7
	v_and_b32_e32 v9, 0xffff, v6
	v_mad_u64_u32 v[2:3], null, s17, 36, v[2:3]
	v_or_b32_e32 v10, v7, v8
	s_mul_hi_u32 s15, s15, s8
	v_lshl_or_b32 v11, v4, 2, v9
	s_add_i32 s3, s7, s3
	s_add_i32 s15, s8, s15
	s_mul_i32 s25, s17, 36
	s_lshr_b32 s3, s3, s11
	v_lshlrev_b32_e32 v15, 1, v10
	v_lshrrev_b16 v10, 2, v5
	v_mad_u64_u32 v[4:5], null, v11, 36, v[2:3]
	s_mul_hi_u32 s19, s17, 36
	s_lshr_b32 s11, s15, s24
	s_mul_i32 s3, s3, s12
	s_waitcnt lgkmcnt(0)
	s_add_u32 s12, s22, s25
	s_addc_u32 s13, s23, s19
	s_add_u32 s12, s12, s26
	s_addc_u32 s13, s13, s27
	v_lshlrev_b32_e32 v14, 1, v0
	v_or_b32_sdwa v10, v7, v10 dst_sel:DWORD dst_unused:UNUSED_PAD src0_sel:DWORD src1_sel:WORD_0
	v_lshlrev_b32_e32 v7, 3, v1
	v_mad_u64_u32 v[2:3], null, v11, 36, s[12:13]
	v_add_co_u32 v4, vcc_lo, s22, v4
	s_mul_i32 s0, s0, s6
	v_mov_b32_e32 v6, 0
	v_lshlrev_b32_e32 v9, 1, v9
	v_lshlrev_b32_e32 v11, 2, v8
	v_add_co_ci_u32_e64 v5, null, s23, v5, vcc_lo
	v_lshl_add_u32 v12, s1, 1, v7
	v_add_nc_u32_e32 v13, s1, v7
	v_lshlrev_b32_e32 v14, 1, v14
	v_lshlrev_b32_e32 v15, 1, v15
	;; [unrolled: 1-line block ×3, first 2 shown]
	v_mov_b32_e32 v17, v1
	v_mov_b32_e32 v8, 0
	;; [unrolled: 1-line block ×3, first 2 shown]
	s_mul_i32 s11, s11, s16
	s_add_i32 s3, s3, s0
	s_mov_b32 s0, 0
	s_add_i32 s1, s11, s3
.LBB150_2:                              ; =>This Inner Loop Header: Depth=1
	v_add_nc_u32_e32 v18, s1, v17
	v_mad_u64_u32 v[24:25], null, v12, 36, v[2:3]
	v_mov_b32_e32 v39, 0
	v_mov_b32_e32 v38, 0
	v_mad_i64_i32 v[18:19], null, 0xd2, v18, s[20:21]
	v_mov_b32_e32 v40, 0
	v_add_nc_u32_e32 v17, 1, v17
	v_add_nc_u32_e32 v12, 8, v12
	v_add_co_u32 v20, vcc_lo, v18, v15
	v_add_co_ci_u32_e64 v21, null, 0, v19, vcc_lo
	v_add_co_u32 v22, vcc_lo, v18, v14
	v_add_co_ci_u32_e64 v23, null, 0, v19, vcc_lo
	s_clause 0x1
	global_load_dword v30, v[20:21], off offset:128
	global_load_dword v31, v[22:23], off
	v_add_co_u32 v20, vcc_lo, v4, v11
	v_add_co_ci_u32_e64 v21, null, 0, v5, vcc_lo
	v_mad_u64_u32 v[22:23], null, v13, 36, v[2:3]
	s_clause 0x1
	global_load_dword v32, v[20:21], off offset:4
	global_load_dword v33, v[20:21], off offset:76
	v_add_nc_u32_e32 v13, 8, v13
	v_add_co_u32 v20, vcc_lo, v22, v16
	v_add_co_ci_u32_e64 v21, null, 0, v23, vcc_lo
	v_add_co_u32 v26, vcc_lo, v24, v16
	v_add_co_ci_u32_e64 v27, null, 0, v25, vcc_lo
	v_add_co_u32 v28, vcc_lo, v18, v10
	v_add_co_ci_u32_e64 v29, null, 0, v19, vcc_lo
	s_clause 0x3
	global_load_dword v34, v[20:21], off offset:4
	global_load_dword v20, v[20:21], off offset:76
	;; [unrolled: 1-line block ×4, first 2 shown]
	s_clause 0x1
	global_load_sbyte v27, v[28:29], off offset:192
	global_load_sbyte v28, v[28:29], off offset:196
	global_load_dword v29, v[4:5], off
	s_clause 0x1
	global_load_dword v35, v[22:23], off
	global_load_dword v36, v[24:25], off
	global_load_dword v37, v[4:5], off offset:72
	s_clause 0x1
	global_load_dword v24, v[24:25], off offset:72
	global_load_dword v22, v[22:23], off offset:72
	global_load_ushort v18, v[18:19], off offset:208
	v_mov_b32_e32 v19, 0
	v_mov_b32_e32 v23, 0
	;; [unrolled: 1-line block ×3, first 2 shown]
	v_add_co_u32 v4, vcc_lo, 0x120, v4
	v_add_co_ci_u32_e64 v5, null, 0, v5, vcc_lo
	v_cmp_le_u32_e32 vcc_lo, s10, v17
	s_or_b32 s0, vcc_lo, s0
	s_waitcnt vmcnt(16)
	v_ashrrev_i32_e32 v30, v9, v30
	s_waitcnt vmcnt(15)
	v_lshrrev_b32_e32 v41, 4, v31
	v_and_b32_e32 v31, 0xf0f0f0f, v31
	v_lshlrev_b32_e32 v42, 4, v30
	v_and_b32_e32 v41, 0xf0f0f0f, v41
	v_and_or_b32 v31, 0x30303030, v42, v31
	v_and_or_b32 v30, 0x30303030, v30, v41
	v_lshrrev_b32_e32 v41, 16, v31
	v_lshrrev_b32_e32 v43, 16, v30
	v_lshlrev_b16 v42, 8, v31
	v_and_b32_e32 v31, 0x3f00, v31
	v_and_b32_e32 v44, 0x3f00, v30
	v_lshlrev_b16 v45, 8, v41
	v_lshlrev_b16 v46, 8, v43
	;; [unrolled: 1-line block ×3, first 2 shown]
	v_add_nc_u16 v42, 0xe000, v42
	v_and_b32_e32 v41, 0x3f00, v41
	v_and_b32_e32 v43, 0x3f00, v43
	v_add_nc_u16 v45, 0xe000, v45
	v_add_nc_u16 v46, 0xe000, v46
	;; [unrolled: 1-line block ×3, first 2 shown]
	v_or_b32_sdwa v31, v31, v42 dst_sel:DWORD dst_unused:UNUSED_PAD src0_sel:DWORD src1_sel:BYTE_1
	v_or_b32_sdwa v41, v41, v45 dst_sel:DWORD dst_unused:UNUSED_PAD src0_sel:DWORD src1_sel:BYTE_1
	;; [unrolled: 1-line block ×4, first 2 shown]
	v_add_nc_u16 v31, 0xe000, v31
	v_add_nc_u16 v41, 0xe000, v41
	;; [unrolled: 1-line block ×4, first 2 shown]
	v_lshlrev_b32_e32 v41, 16, v41
	v_lshlrev_b32_e32 v42, 16, v42
	v_or_b32_sdwa v31, v31, v41 dst_sel:DWORD dst_unused:UNUSED_PAD src0_sel:WORD_0 src1_sel:DWORD
	v_or_b32_sdwa v30, v30, v42 dst_sel:DWORD dst_unused:UNUSED_PAD src0_sel:WORD_0 src1_sel:DWORD
	s_waitcnt vmcnt(14)
	v_dot4c_i32_i8 v19, v31, v32
	s_waitcnt vmcnt(12)
	v_dot4c_i32_i8 v25, v31, v34
	v_dot4c_i32_i8 v23, v30, v33
	s_waitcnt vmcnt(10)
	v_dot4c_i32_i8 v39, v31, v21
	;; [unrolled: 3-line block ×3, first 2 shown]
	s_waitcnt vmcnt(8)
	v_mul_lo_u32 v20, v25, v27
	v_mul_lo_u32 v19, v19, v27
	s_waitcnt vmcnt(7)
	v_mul_lo_u32 v21, v23, v28
	v_mul_lo_u32 v23, v39, v27
	;; [unrolled: 1-line block ×4, first 2 shown]
	v_cvt_f32_i32_e32 v20, v20
	v_cvt_f32_i32_e32 v19, v19
	v_cvt_f32_i32_e32 v21, v21
	v_cvt_f32_i32_e32 v23, v23
	v_cvt_f32_i32_e32 v25, v25
	v_cvt_f32_i32_e32 v26, v26
	s_waitcnt vmcnt(6)
	v_fma_mix_f32 v19, v29, v19, 0 op_sel_hi:[1,0,0]
	s_waitcnt vmcnt(5)
	v_fma_mix_f32 v20, v35, v20, 0 op_sel_hi:[1,0,0]
	;; [unrolled: 2-line block ×5, first 2 shown]
	v_fma_mix_f32 v21, v24, v26, v23 op_sel_hi:[1,0,0]
	s_waitcnt vmcnt(0)
	v_fma_mix_f32 v8, v19, v18, v8 op_sel_hi:[0,1,0]
	v_fma_mix_f32 v7, v20, v18, v7 op_sel_hi:[0,1,0]
	;; [unrolled: 1-line block ×3, first 2 shown]
	s_andn2_b32 exec_lo, exec_lo, s0
	s_cbranch_execnz .LBB150_2
; %bb.3:
	s_or_b32 exec_lo, exec_lo, s0
.LBB150_4:
	s_or_b32 exec_lo, exec_lo, s9
	s_mov_b32 s1, 0
	; wave barrier
	buffer_gl0_inv
	s_mov_b32 s0, exec_lo
	v_cmpx_eq_u32_e32 0, v1
	s_cbranch_execz .LBB150_11
; %bb.5:
	v_mbcnt_lo_u32_b32 v5, -1, 0
	s_load_dwordx2 s[4:5], s[4:5], 0x38
	s_mul_i32 s0, s14, s7
	s_mul_i32 s3, s18, s8
	s_add_i32 s0, s0, s6
	v_xor_b32_e32 v1, 16, v5
	v_xor_b32_e32 v2, 8, v5
	;; [unrolled: 1-line block ×3, first 2 shown]
	s_add_i32 s0, s0, s3
	s_lshl_b64 s[0:1], s[0:1], 2
	v_cmp_gt_i32_e32 vcc_lo, 32, v1
	v_cndmask_b32_e32 v1, v5, v1, vcc_lo
	v_cmp_gt_i32_e32 vcc_lo, 32, v2
	v_lshlrev_b32_e32 v1, 2, v1
	v_cndmask_b32_e32 v2, v5, v2, vcc_lo
	s_waitcnt lgkmcnt(0)
	s_add_u32 s0, s4, s0
	s_addc_u32 s1, s5, s1
	ds_bpermute_b32 v3, v1, v8
	v_lshlrev_b32_e32 v2, 2, v2
	s_waitcnt lgkmcnt(0)
	v_add_f32_e32 v4, v8, v3
	v_xor_b32_e32 v3, 4, v5
	ds_bpermute_b32 v8, v2, v4
	v_cmp_gt_i32_e32 vcc_lo, 32, v3
	v_cndmask_b32_e32 v3, v5, v3, vcc_lo
	v_lshlrev_b32_e32 v3, 2, v3
	s_waitcnt lgkmcnt(0)
	v_add_f32_e32 v8, v4, v8
	v_xor_b32_e32 v4, 2, v5
	ds_bpermute_b32 v9, v3, v8
	v_cmp_gt_i32_e32 vcc_lo, 32, v4
	v_cndmask_b32_e32 v4, v5, v4, vcc_lo
	v_cmp_gt_i32_e32 vcc_lo, 32, v10
	v_lshlrev_b32_e32 v4, 2, v4
	v_cndmask_b32_e32 v5, v5, v10, vcc_lo
	v_cmp_eq_u32_e32 vcc_lo, 0, v0
	v_lshlrev_b32_e32 v5, 2, v5
	s_waitcnt lgkmcnt(0)
	v_add_f32_e32 v8, v8, v9
	ds_bpermute_b32 v9, v4, v8
	s_waitcnt lgkmcnt(0)
	v_add_f32_e32 v8, v8, v9
	ds_bpermute_b32 v9, v5, v8
	s_and_saveexec_b32 s3, vcc_lo
	s_cbranch_execz .LBB150_7
; %bb.6:
	s_waitcnt lgkmcnt(0)
	v_add_f32_e32 v0, v8, v9
	v_mov_b32_e32 v8, 0
	global_store_dword v8, v0, s[0:1]
.LBB150_7:
	s_or_b32 exec_lo, exec_lo, s3
	ds_bpermute_b32 v0, v1, v7
	s_waitcnt lgkmcnt(0)
	v_add_f32_e32 v0, v7, v0
	ds_bpermute_b32 v7, v2, v0
	s_waitcnt lgkmcnt(0)
	v_add_f32_e32 v0, v0, v7
	;; [unrolled: 3-line block ×4, first 2 shown]
	ds_bpermute_b32 v7, v5, v0
	s_and_saveexec_b32 s4, vcc_lo
	s_cbranch_execz .LBB150_9
; %bb.8:
	s_mov_b32 s3, 0
	s_waitcnt lgkmcnt(0)
	v_add_f32_e32 v0, v0, v7
	s_lshl_b64 s[6:7], s[2:3], 2
	v_mov_b32_e32 v7, 0
	s_add_u32 s6, s0, s6
	s_addc_u32 s7, s1, s7
	global_store_dword v7, v0, s[6:7]
.LBB150_9:
	s_or_b32 exec_lo, exec_lo, s4
	ds_bpermute_b32 v0, v1, v6
	s_waitcnt lgkmcnt(0)
	v_add_f32_e32 v0, v6, v0
	ds_bpermute_b32 v1, v2, v0
	s_waitcnt lgkmcnt(0)
	v_add_f32_e32 v0, v0, v1
	;; [unrolled: 3-line block ×4, first 2 shown]
	ds_bpermute_b32 v1, v5, v0
	s_and_b32 exec_lo, exec_lo, vcc_lo
	s_cbranch_execz .LBB150_11
; %bb.10:
	s_lshl_b32 s2, s2, 1
	s_mov_b32 s3, 0
	s_waitcnt lgkmcnt(0)
	v_add_f32_e32 v0, v0, v1
	s_lshl_b64 s[2:3], s[2:3], 2
	v_mov_b32_e32 v1, 0
	s_add_u32 s0, s0, s2
	s_addc_u32 s1, s1, s3
	global_store_dword v1, v0, s[0:1]
.LBB150_11:
	s_endpgm
	.section	.rodata,"a",@progbits
	.p2align	6, 0x0
	.amdhsa_kernel _ZL13mul_mat_vec_qIL9ggml_type14ELi3ELb0ELb0EEvPKvS2_PKi31ggml_cuda_mm_fusion_args_devicePfj15HIP_vector_typeIjLj3EEjjjS8_jjjS8_jjjj
		.amdhsa_group_segment_fixed_size 0
		.amdhsa_private_segment_fixed_size 0
		.amdhsa_kernarg_size 144
		.amdhsa_user_sgpr_count 6
		.amdhsa_user_sgpr_private_segment_buffer 1
		.amdhsa_user_sgpr_dispatch_ptr 0
		.amdhsa_user_sgpr_queue_ptr 0
		.amdhsa_user_sgpr_kernarg_segment_ptr 1
		.amdhsa_user_sgpr_dispatch_id 0
		.amdhsa_user_sgpr_flat_scratch_init 0
		.amdhsa_user_sgpr_private_segment_size 0
		.amdhsa_wavefront_size32 1
		.amdhsa_uses_dynamic_stack 0
		.amdhsa_system_sgpr_private_segment_wavefront_offset 0
		.amdhsa_system_sgpr_workgroup_id_x 1
		.amdhsa_system_sgpr_workgroup_id_y 1
		.amdhsa_system_sgpr_workgroup_id_z 1
		.amdhsa_system_sgpr_workgroup_info 0
		.amdhsa_system_vgpr_workitem_id 1
		.amdhsa_next_free_vgpr 47
		.amdhsa_next_free_sgpr 28
		.amdhsa_reserve_vcc 1
		.amdhsa_reserve_flat_scratch 0
		.amdhsa_float_round_mode_32 0
		.amdhsa_float_round_mode_16_64 0
		.amdhsa_float_denorm_mode_32 3
		.amdhsa_float_denorm_mode_16_64 3
		.amdhsa_dx10_clamp 1
		.amdhsa_ieee_mode 1
		.amdhsa_fp16_overflow 0
		.amdhsa_workgroup_processor_mode 1
		.amdhsa_memory_ordered 1
		.amdhsa_forward_progress 1
		.amdhsa_shared_vgpr_count 0
		.amdhsa_exception_fp_ieee_invalid_op 0
		.amdhsa_exception_fp_denorm_src 0
		.amdhsa_exception_fp_ieee_div_zero 0
		.amdhsa_exception_fp_ieee_overflow 0
		.amdhsa_exception_fp_ieee_underflow 0
		.amdhsa_exception_fp_ieee_inexact 0
		.amdhsa_exception_int_div_zero 0
	.end_amdhsa_kernel
	.section	.text._ZL13mul_mat_vec_qIL9ggml_type14ELi3ELb0ELb0EEvPKvS2_PKi31ggml_cuda_mm_fusion_args_devicePfj15HIP_vector_typeIjLj3EEjjjS8_jjjS8_jjjj,"axG",@progbits,_ZL13mul_mat_vec_qIL9ggml_type14ELi3ELb0ELb0EEvPKvS2_PKi31ggml_cuda_mm_fusion_args_devicePfj15HIP_vector_typeIjLj3EEjjjS8_jjjS8_jjjj,comdat
.Lfunc_end150:
	.size	_ZL13mul_mat_vec_qIL9ggml_type14ELi3ELb0ELb0EEvPKvS2_PKi31ggml_cuda_mm_fusion_args_devicePfj15HIP_vector_typeIjLj3EEjjjS8_jjjS8_jjjj, .Lfunc_end150-_ZL13mul_mat_vec_qIL9ggml_type14ELi3ELb0ELb0EEvPKvS2_PKi31ggml_cuda_mm_fusion_args_devicePfj15HIP_vector_typeIjLj3EEjjjS8_jjjS8_jjjj
                                        ; -- End function
	.set _ZL13mul_mat_vec_qIL9ggml_type14ELi3ELb0ELb0EEvPKvS2_PKi31ggml_cuda_mm_fusion_args_devicePfj15HIP_vector_typeIjLj3EEjjjS8_jjjS8_jjjj.num_vgpr, 47
	.set _ZL13mul_mat_vec_qIL9ggml_type14ELi3ELb0ELb0EEvPKvS2_PKi31ggml_cuda_mm_fusion_args_devicePfj15HIP_vector_typeIjLj3EEjjjS8_jjjS8_jjjj.num_agpr, 0
	.set _ZL13mul_mat_vec_qIL9ggml_type14ELi3ELb0ELb0EEvPKvS2_PKi31ggml_cuda_mm_fusion_args_devicePfj15HIP_vector_typeIjLj3EEjjjS8_jjjS8_jjjj.numbered_sgpr, 28
	.set _ZL13mul_mat_vec_qIL9ggml_type14ELi3ELb0ELb0EEvPKvS2_PKi31ggml_cuda_mm_fusion_args_devicePfj15HIP_vector_typeIjLj3EEjjjS8_jjjS8_jjjj.num_named_barrier, 0
	.set _ZL13mul_mat_vec_qIL9ggml_type14ELi3ELb0ELb0EEvPKvS2_PKi31ggml_cuda_mm_fusion_args_devicePfj15HIP_vector_typeIjLj3EEjjjS8_jjjS8_jjjj.private_seg_size, 0
	.set _ZL13mul_mat_vec_qIL9ggml_type14ELi3ELb0ELb0EEvPKvS2_PKi31ggml_cuda_mm_fusion_args_devicePfj15HIP_vector_typeIjLj3EEjjjS8_jjjS8_jjjj.uses_vcc, 1
	.set _ZL13mul_mat_vec_qIL9ggml_type14ELi3ELb0ELb0EEvPKvS2_PKi31ggml_cuda_mm_fusion_args_devicePfj15HIP_vector_typeIjLj3EEjjjS8_jjjS8_jjjj.uses_flat_scratch, 0
	.set _ZL13mul_mat_vec_qIL9ggml_type14ELi3ELb0ELb0EEvPKvS2_PKi31ggml_cuda_mm_fusion_args_devicePfj15HIP_vector_typeIjLj3EEjjjS8_jjjS8_jjjj.has_dyn_sized_stack, 0
	.set _ZL13mul_mat_vec_qIL9ggml_type14ELi3ELb0ELb0EEvPKvS2_PKi31ggml_cuda_mm_fusion_args_devicePfj15HIP_vector_typeIjLj3EEjjjS8_jjjS8_jjjj.has_recursion, 0
	.set _ZL13mul_mat_vec_qIL9ggml_type14ELi3ELb0ELb0EEvPKvS2_PKi31ggml_cuda_mm_fusion_args_devicePfj15HIP_vector_typeIjLj3EEjjjS8_jjjS8_jjjj.has_indirect_call, 0
	.section	.AMDGPU.csdata,"",@progbits
; Kernel info:
; codeLenInByte = 1732
; TotalNumSgprs: 30
; NumVgprs: 47
; ScratchSize: 0
; MemoryBound: 0
; FloatMode: 240
; IeeeMode: 1
; LDSByteSize: 0 bytes/workgroup (compile time only)
; SGPRBlocks: 0
; VGPRBlocks: 5
; NumSGPRsForWavesPerEU: 30
; NumVGPRsForWavesPerEU: 47
; Occupancy: 16
; WaveLimiterHint : 0
; COMPUTE_PGM_RSRC2:SCRATCH_EN: 0
; COMPUTE_PGM_RSRC2:USER_SGPR: 6
; COMPUTE_PGM_RSRC2:TRAP_HANDLER: 0
; COMPUTE_PGM_RSRC2:TGID_X_EN: 1
; COMPUTE_PGM_RSRC2:TGID_Y_EN: 1
; COMPUTE_PGM_RSRC2:TGID_Z_EN: 1
; COMPUTE_PGM_RSRC2:TIDIG_COMP_CNT: 1
	.section	.text._ZL13mul_mat_vec_qIL9ggml_type14ELi4ELb0ELb0EEvPKvS2_PKi31ggml_cuda_mm_fusion_args_devicePfj15HIP_vector_typeIjLj3EEjjjS8_jjjS8_jjjj,"axG",@progbits,_ZL13mul_mat_vec_qIL9ggml_type14ELi4ELb0ELb0EEvPKvS2_PKi31ggml_cuda_mm_fusion_args_devicePfj15HIP_vector_typeIjLj3EEjjjS8_jjjS8_jjjj,comdat
	.globl	_ZL13mul_mat_vec_qIL9ggml_type14ELi4ELb0ELb0EEvPKvS2_PKi31ggml_cuda_mm_fusion_args_devicePfj15HIP_vector_typeIjLj3EEjjjS8_jjjS8_jjjj ; -- Begin function _ZL13mul_mat_vec_qIL9ggml_type14ELi4ELb0ELb0EEvPKvS2_PKi31ggml_cuda_mm_fusion_args_devicePfj15HIP_vector_typeIjLj3EEjjjS8_jjjS8_jjjj
	.p2align	8
	.type	_ZL13mul_mat_vec_qIL9ggml_type14ELi4ELb0ELb0EEvPKvS2_PKi31ggml_cuda_mm_fusion_args_devicePfj15HIP_vector_typeIjLj3EEjjjS8_jjjS8_jjjj,@function
_ZL13mul_mat_vec_qIL9ggml_type14ELi4ELb0ELb0EEvPKvS2_PKi31ggml_cuda_mm_fusion_args_devicePfj15HIP_vector_typeIjLj3EEjjjS8_jjjS8_jjjj: ; @_ZL13mul_mat_vec_qIL9ggml_type14ELi4ELb0ELb0EEvPKvS2_PKi31ggml_cuda_mm_fusion_args_devicePfj15HIP_vector_typeIjLj3EEjjjS8_jjjS8_jjjj
; %bb.0:
	s_clause 0x5
	s_load_dword s9, s[4:5], 0x40
	s_load_dwordx4 s[0:3], s[4:5], 0x50
	s_load_dword s11, s[4:5], 0x60
	s_load_dwordx4 s[12:15], s[4:5], 0x68
	s_load_dword s24, s[4:5], 0x78
	s_load_dwordx4 s[16:19], s[4:5], 0x80
	v_mov_b32_e32 v7, 0
	v_mov_b32_e32 v8, 0
	;; [unrolled: 1-line block ×4, first 2 shown]
	s_waitcnt lgkmcnt(0)
	s_lshr_b32 s10, s9, 8
	s_mov_b32 s9, exec_lo
	v_cmpx_gt_u32_e64 s10, v1
	s_cbranch_execz .LBB151_4
; %bb.1:
	s_mul_i32 s13, s13, s7
	v_and_b32_e32 v5, 15, v0
	s_load_dwordx4 s[20:23], s[4:5], 0x0
	v_lshrrev_b32_e32 v4, 4, v0
	s_mul_hi_u32 s27, s13, 36
	s_mul_i32 s26, s13, 36
	v_lshrrev_b16 v6, 3, v5
	v_mad_u64_u32 v[2:3], null, 0x120, v1, s[26:27]
	v_lshlrev_b32_e32 v7, 3, v4
	v_and_b32_e32 v9, 7, v0
	s_mul_i32 s17, s17, s8
	v_and_b32_e32 v6, 0xffff, v6
	s_mul_hi_u32 s3, s3, s7
	s_mul_hi_u32 s15, s15, s8
	v_or_b32_e32 v8, v7, v9
	v_mad_u64_u32 v[2:3], null, s17, 36, v[2:3]
	v_lshl_or_b32 v11, v4, 2, v6
	s_add_i32 s3, s7, s3
	v_lshlrev_b32_e32 v17, 1, v8
	v_lshrrev_b16 v8, 2, v5
	s_add_i32 s15, s8, s15
	s_mul_i32 s25, s17, 36
	s_lshr_b32 s3, s3, s11
	v_mad_u64_u32 v[4:5], null, v11, 36, v[2:3]
	s_mul_hi_u32 s19, s17, 36
	s_lshr_b32 s11, s15, s24
	s_mul_i32 s3, s3, s12
	s_waitcnt lgkmcnt(0)
	s_add_u32 s12, s22, s25
	v_or_b32_sdwa v12, v7, v8 dst_sel:DWORD dst_unused:UNUSED_PAD src0_sel:DWORD src1_sel:WORD_0
	v_lshlrev_b32_e32 v8, 3, v1
	s_addc_u32 s13, s23, s19
	s_add_u32 s12, s12, s26
	s_addc_u32 s13, s13, s27
	v_lshlrev_b32_e32 v16, 1, v0
	v_mad_u64_u32 v[2:3], null, v11, 36, s[12:13]
	v_lshlrev_b32_e32 v11, 1, v6
	v_mad_u64_u32 v[6:7], null, s1, 3, v[8:9]
	v_add_co_u32 v4, vcc_lo, s22, v4
	s_mul_i32 s0, s0, s6
	v_mov_b32_e32 v10, 0
	v_lshlrev_b32_e32 v13, 2, v9
	v_add_co_ci_u32_e64 v5, null, s23, v5, vcc_lo
	v_lshl_add_u32 v14, s1, 1, v8
	v_add_nc_u32_e32 v15, s1, v8
	v_lshlrev_b32_e32 v16, 1, v16
	v_lshlrev_b32_e32 v17, 1, v17
	;; [unrolled: 1-line block ×3, first 2 shown]
	v_mov_b32_e32 v9, 0
	v_mov_b32_e32 v19, v1
	;; [unrolled: 1-line block ×4, first 2 shown]
	s_mul_i32 s11, s11, s16
	s_add_i32 s3, s3, s0
	s_mov_b32 s0, 0
	s_add_i32 s1, s11, s3
.LBB151_2:                              ; =>This Inner Loop Header: Depth=1
	v_add_nc_u32_e32 v20, s1, v19
	v_mad_u64_u32 v[26:27], null, v14, 36, v[2:3]
	v_mad_u64_u32 v[28:29], null, v6, 36, v[2:3]
	v_mad_i64_i32 v[20:21], null, 0xd2, v20, s[20:21]
	v_mov_b32_e32 v45, 0
	v_mov_b32_e32 v47, 0
	;; [unrolled: 1-line block ×4, first 2 shown]
	v_add_nc_u32_e32 v19, 1, v19
	v_add_nc_u32_e32 v14, 8, v14
	v_add_co_u32 v22, vcc_lo, v20, v17
	v_add_co_ci_u32_e64 v23, null, 0, v21, vcc_lo
	v_add_co_u32 v24, vcc_lo, v20, v16
	v_add_co_ci_u32_e64 v25, null, 0, v21, vcc_lo
	s_clause 0x1
	global_load_dword v36, v[22:23], off offset:128
	global_load_dword v37, v[24:25], off
	v_add_co_u32 v22, vcc_lo, v4, v13
	v_add_co_ci_u32_e64 v23, null, 0, v5, vcc_lo
	v_mad_u64_u32 v[24:25], null, v15, 36, v[2:3]
	s_clause 0x1
	global_load_dword v38, v[22:23], off offset:4
	global_load_dword v39, v[22:23], off offset:76
	v_add_nc_u32_e32 v6, 8, v6
	v_add_nc_u32_e32 v15, 8, v15
	v_add_co_u32 v22, vcc_lo, v24, v18
	v_add_co_ci_u32_e64 v23, null, 0, v25, vcc_lo
	v_add_co_u32 v30, vcc_lo, v26, v18
	v_add_co_ci_u32_e64 v31, null, 0, v27, vcc_lo
	;; [unrolled: 2-line block ×4, first 2 shown]
	s_clause 0x5
	global_load_dword v40, v[22:23], off offset:4
	global_load_dword v22, v[22:23], off offset:76
	;; [unrolled: 1-line block ×6, first 2 shown]
	s_clause 0x1
	global_load_sbyte v33, v[34:35], off offset:192
	global_load_sbyte v34, v[34:35], off offset:196
	global_load_dword v35, v[4:5], off
	s_clause 0x2
	global_load_dword v41, v[28:29], off
	global_load_dword v42, v[24:25], off
	;; [unrolled: 1-line block ×3, first 2 shown]
	global_load_dword v44, v[4:5], off offset:72
	s_clause 0x2
	global_load_dword v26, v[26:27], off offset:72
	global_load_dword v24, v[24:25], off offset:72
	;; [unrolled: 1-line block ×3, first 2 shown]
	global_load_ushort v20, v[20:21], off offset:208
	v_mov_b32_e32 v21, 0
	v_mov_b32_e32 v27, 0
	;; [unrolled: 1-line block ×4, first 2 shown]
	v_add_co_u32 v4, vcc_lo, 0x120, v4
	v_add_co_ci_u32_e64 v5, null, 0, v5, vcc_lo
	v_cmp_le_u32_e32 vcc_lo, s10, v19
	s_or_b32 s0, vcc_lo, s0
	s_waitcnt vmcnt(20)
	v_ashrrev_i32_e32 v36, v11, v36
	s_waitcnt vmcnt(19)
	v_lshrrev_b32_e32 v49, 4, v37
	v_and_b32_e32 v37, 0xf0f0f0f, v37
	v_lshlrev_b32_e32 v50, 4, v36
	v_and_b32_e32 v49, 0xf0f0f0f, v49
	v_and_or_b32 v37, 0x30303030, v50, v37
	v_and_or_b32 v36, 0x30303030, v36, v49
	v_lshrrev_b32_e32 v49, 16, v37
	v_lshrrev_b32_e32 v51, 16, v36
	v_lshlrev_b16 v50, 8, v37
	v_and_b32_e32 v37, 0x3f00, v37
	v_and_b32_e32 v52, 0x3f00, v36
	v_lshlrev_b16 v53, 8, v49
	v_lshlrev_b16 v54, 8, v51
	;; [unrolled: 1-line block ×3, first 2 shown]
	v_add_nc_u16 v50, 0xe000, v50
	v_and_b32_e32 v49, 0x3f00, v49
	v_and_b32_e32 v51, 0x3f00, v51
	v_add_nc_u16 v53, 0xe000, v53
	v_add_nc_u16 v54, 0xe000, v54
	;; [unrolled: 1-line block ×3, first 2 shown]
	v_or_b32_sdwa v37, v37, v50 dst_sel:DWORD dst_unused:UNUSED_PAD src0_sel:DWORD src1_sel:BYTE_1
	v_or_b32_sdwa v49, v49, v53 dst_sel:DWORD dst_unused:UNUSED_PAD src0_sel:DWORD src1_sel:BYTE_1
	;; [unrolled: 1-line block ×4, first 2 shown]
	v_add_nc_u16 v37, 0xe000, v37
	v_add_nc_u16 v49, 0xe000, v49
	;; [unrolled: 1-line block ×4, first 2 shown]
	v_lshlrev_b32_e32 v49, 16, v49
	v_lshlrev_b32_e32 v50, 16, v50
	v_or_b32_sdwa v37, v37, v49 dst_sel:DWORD dst_unused:UNUSED_PAD src0_sel:WORD_0 src1_sel:DWORD
	v_or_b32_sdwa v36, v36, v50 dst_sel:DWORD dst_unused:UNUSED_PAD src0_sel:WORD_0 src1_sel:DWORD
	s_waitcnt vmcnt(18)
	v_dot4c_i32_i8 v21, v37, v38
	s_waitcnt vmcnt(17)
	v_dot4c_i32_i8 v27, v36, v39
	;; [unrolled: 2-line block ×6, first 2 shown]
	v_dot4c_i32_i8 v46, v36, v30
	s_waitcnt vmcnt(11)
	v_dot4c_i32_i8 v48, v36, v32
	s_waitcnt vmcnt(10)
	v_mul_lo_u32 v21, v21, v33
	s_waitcnt vmcnt(9)
	v_mul_lo_u32 v22, v27, v34
	v_mul_lo_u32 v23, v28, v33
	v_mul_lo_u32 v27, v29, v34
	v_mul_lo_u32 v28, v47, v33
	v_mul_lo_u32 v29, v45, v33
	v_mul_lo_u32 v30, v46, v34
	v_mul_lo_u32 v31, v48, v34
	v_cvt_f32_i32_e32 v21, v21
	v_cvt_f32_i32_e32 v22, v22
	;; [unrolled: 1-line block ×8, first 2 shown]
	s_waitcnt vmcnt(8)
	v_fma_mix_f32 v21, v35, v21, 0 op_sel_hi:[1,0,0]
	s_waitcnt vmcnt(6)
	v_fma_mix_f32 v23, v42, v23, 0 op_sel_hi:[1,0,0]
	;; [unrolled: 2-line block ×3, first 2 shown]
	v_fma_mix_f32 v28, v41, v28, 0 op_sel_hi:[1,0,0]
	s_waitcnt vmcnt(4)
	v_fma_mix_f32 v21, v44, v22, v21 op_sel_hi:[1,0,0]
	s_waitcnt vmcnt(2)
	v_fma_mix_f32 v22, v24, v27, v23 op_sel_hi:[1,0,0]
	v_fma_mix_f32 v23, v26, v30, v29 op_sel_hi:[1,0,0]
	s_waitcnt vmcnt(1)
	v_fma_mix_f32 v24, v25, v31, v28 op_sel_hi:[1,0,0]
	s_waitcnt vmcnt(0)
	v_fma_mix_f32 v10, v21, v20, v10 op_sel_hi:[0,1,0]
	v_fma_mix_f32 v9, v22, v20, v9 op_sel_hi:[0,1,0]
	;; [unrolled: 1-line block ×4, first 2 shown]
	s_andn2_b32 exec_lo, exec_lo, s0
	s_cbranch_execnz .LBB151_2
; %bb.3:
	s_or_b32 exec_lo, exec_lo, s0
.LBB151_4:
	s_or_b32 exec_lo, exec_lo, s9
	s_mov_b32 s1, 0
	; wave barrier
	buffer_gl0_inv
	s_mov_b32 s0, exec_lo
	v_cmpx_eq_u32_e32 0, v1
	s_cbranch_execz .LBB151_13
; %bb.5:
	v_mbcnt_lo_u32_b32 v5, -1, 0
	s_load_dwordx2 s[4:5], s[4:5], 0x38
	s_mul_i32 s0, s14, s7
	s_mul_i32 s3, s18, s8
	s_add_i32 s0, s0, s6
	v_xor_b32_e32 v1, 16, v5
	v_xor_b32_e32 v2, 8, v5
	;; [unrolled: 1-line block ×3, first 2 shown]
	s_add_i32 s0, s0, s3
	s_lshl_b64 s[0:1], s[0:1], 2
	v_cmp_gt_i32_e32 vcc_lo, 32, v1
	v_cndmask_b32_e32 v1, v5, v1, vcc_lo
	v_cmp_gt_i32_e32 vcc_lo, 32, v2
	v_lshlrev_b32_e32 v1, 2, v1
	v_cndmask_b32_e32 v2, v5, v2, vcc_lo
	s_waitcnt lgkmcnt(0)
	s_add_u32 s0, s4, s0
	s_addc_u32 s1, s5, s1
	ds_bpermute_b32 v3, v1, v10
	v_lshlrev_b32_e32 v2, 2, v2
	s_waitcnt lgkmcnt(0)
	v_add_f32_e32 v4, v10, v3
	v_xor_b32_e32 v3, 4, v5
	ds_bpermute_b32 v6, v2, v4
	v_cmp_gt_i32_e32 vcc_lo, 32, v3
	v_cndmask_b32_e32 v3, v5, v3, vcc_lo
	v_lshlrev_b32_e32 v3, 2, v3
	s_waitcnt lgkmcnt(0)
	v_add_f32_e32 v6, v4, v6
	v_xor_b32_e32 v4, 2, v5
	ds_bpermute_b32 v10, v3, v6
	v_cmp_gt_i32_e32 vcc_lo, 32, v4
	v_cndmask_b32_e32 v4, v5, v4, vcc_lo
	v_cmp_gt_i32_e32 vcc_lo, 32, v11
	v_lshlrev_b32_e32 v4, 2, v4
	v_cndmask_b32_e32 v5, v5, v11, vcc_lo
	v_cmp_eq_u32_e32 vcc_lo, 0, v0
	v_lshlrev_b32_e32 v5, 2, v5
	s_waitcnt lgkmcnt(0)
	v_add_f32_e32 v6, v6, v10
	ds_bpermute_b32 v10, v4, v6
	s_waitcnt lgkmcnt(0)
	v_add_f32_e32 v6, v6, v10
	ds_bpermute_b32 v10, v5, v6
	s_and_saveexec_b32 s3, vcc_lo
	s_cbranch_execz .LBB151_7
; %bb.6:
	s_waitcnt lgkmcnt(0)
	v_add_f32_e32 v0, v6, v10
	v_mov_b32_e32 v6, 0
	global_store_dword v6, v0, s[0:1]
.LBB151_7:
	s_or_b32 exec_lo, exec_lo, s3
	ds_bpermute_b32 v0, v1, v9
	s_waitcnt lgkmcnt(0)
	v_add_f32_e32 v0, v9, v0
	ds_bpermute_b32 v6, v2, v0
	s_waitcnt lgkmcnt(0)
	v_add_f32_e32 v0, v0, v6
	;; [unrolled: 3-line block ×4, first 2 shown]
	ds_bpermute_b32 v6, v5, v0
	s_and_saveexec_b32 s4, vcc_lo
	s_cbranch_execz .LBB151_9
; %bb.8:
	s_mov_b32 s3, 0
	s_waitcnt lgkmcnt(0)
	v_add_f32_e32 v0, v0, v6
	s_lshl_b64 s[6:7], s[2:3], 2
	v_mov_b32_e32 v6, 0
	s_add_u32 s6, s0, s6
	s_addc_u32 s7, s1, s7
	global_store_dword v6, v0, s[6:7]
.LBB151_9:
	s_or_b32 exec_lo, exec_lo, s4
	ds_bpermute_b32 v0, v1, v8
	s_waitcnt lgkmcnt(0)
	v_add_f32_e32 v0, v8, v0
	ds_bpermute_b32 v6, v2, v0
	s_waitcnt lgkmcnt(0)
	v_add_f32_e32 v0, v0, v6
	;; [unrolled: 3-line block ×4, first 2 shown]
	ds_bpermute_b32 v6, v5, v0
	s_and_saveexec_b32 s3, vcc_lo
	s_cbranch_execz .LBB151_11
; %bb.10:
	s_lshl_b32 s4, s2, 1
	s_mov_b32 s5, 0
	s_waitcnt lgkmcnt(0)
	v_add_f32_e32 v0, v0, v6
	s_lshl_b64 s[4:5], s[4:5], 2
	v_mov_b32_e32 v6, 0
	s_add_u32 s4, s0, s4
	s_addc_u32 s5, s1, s5
	global_store_dword v6, v0, s[4:5]
.LBB151_11:
	s_or_b32 exec_lo, exec_lo, s3
	ds_bpermute_b32 v0, v1, v7
	s_waitcnt lgkmcnt(0)
	v_add_f32_e32 v0, v7, v0
	ds_bpermute_b32 v1, v2, v0
	s_waitcnt lgkmcnt(0)
	v_add_f32_e32 v0, v0, v1
	;; [unrolled: 3-line block ×4, first 2 shown]
	ds_bpermute_b32 v1, v5, v0
	s_and_b32 exec_lo, exec_lo, vcc_lo
	s_cbranch_execz .LBB151_13
; %bb.12:
	s_mul_i32 s2, s2, 3
	s_mov_b32 s3, 0
	s_waitcnt lgkmcnt(0)
	v_add_f32_e32 v0, v0, v1
	s_lshl_b64 s[2:3], s[2:3], 2
	v_mov_b32_e32 v1, 0
	s_add_u32 s0, s0, s2
	s_addc_u32 s1, s1, s3
	global_store_dword v1, v0, s[0:1]
.LBB151_13:
	s_endpgm
	.section	.rodata,"a",@progbits
	.p2align	6, 0x0
	.amdhsa_kernel _ZL13mul_mat_vec_qIL9ggml_type14ELi4ELb0ELb0EEvPKvS2_PKi31ggml_cuda_mm_fusion_args_devicePfj15HIP_vector_typeIjLj3EEjjjS8_jjjS8_jjjj
		.amdhsa_group_segment_fixed_size 0
		.amdhsa_private_segment_fixed_size 0
		.amdhsa_kernarg_size 144
		.amdhsa_user_sgpr_count 6
		.amdhsa_user_sgpr_private_segment_buffer 1
		.amdhsa_user_sgpr_dispatch_ptr 0
		.amdhsa_user_sgpr_queue_ptr 0
		.amdhsa_user_sgpr_kernarg_segment_ptr 1
		.amdhsa_user_sgpr_dispatch_id 0
		.amdhsa_user_sgpr_flat_scratch_init 0
		.amdhsa_user_sgpr_private_segment_size 0
		.amdhsa_wavefront_size32 1
		.amdhsa_uses_dynamic_stack 0
		.amdhsa_system_sgpr_private_segment_wavefront_offset 0
		.amdhsa_system_sgpr_workgroup_id_x 1
		.amdhsa_system_sgpr_workgroup_id_y 1
		.amdhsa_system_sgpr_workgroup_id_z 1
		.amdhsa_system_sgpr_workgroup_info 0
		.amdhsa_system_vgpr_workitem_id 1
		.amdhsa_next_free_vgpr 55
		.amdhsa_next_free_sgpr 28
		.amdhsa_reserve_vcc 1
		.amdhsa_reserve_flat_scratch 0
		.amdhsa_float_round_mode_32 0
		.amdhsa_float_round_mode_16_64 0
		.amdhsa_float_denorm_mode_32 3
		.amdhsa_float_denorm_mode_16_64 3
		.amdhsa_dx10_clamp 1
		.amdhsa_ieee_mode 1
		.amdhsa_fp16_overflow 0
		.amdhsa_workgroup_processor_mode 1
		.amdhsa_memory_ordered 1
		.amdhsa_forward_progress 1
		.amdhsa_shared_vgpr_count 0
		.amdhsa_exception_fp_ieee_invalid_op 0
		.amdhsa_exception_fp_denorm_src 0
		.amdhsa_exception_fp_ieee_div_zero 0
		.amdhsa_exception_fp_ieee_overflow 0
		.amdhsa_exception_fp_ieee_underflow 0
		.amdhsa_exception_fp_ieee_inexact 0
		.amdhsa_exception_int_div_zero 0
	.end_amdhsa_kernel
	.section	.text._ZL13mul_mat_vec_qIL9ggml_type14ELi4ELb0ELb0EEvPKvS2_PKi31ggml_cuda_mm_fusion_args_devicePfj15HIP_vector_typeIjLj3EEjjjS8_jjjS8_jjjj,"axG",@progbits,_ZL13mul_mat_vec_qIL9ggml_type14ELi4ELb0ELb0EEvPKvS2_PKi31ggml_cuda_mm_fusion_args_devicePfj15HIP_vector_typeIjLj3EEjjjS8_jjjS8_jjjj,comdat
.Lfunc_end151:
	.size	_ZL13mul_mat_vec_qIL9ggml_type14ELi4ELb0ELb0EEvPKvS2_PKi31ggml_cuda_mm_fusion_args_devicePfj15HIP_vector_typeIjLj3EEjjjS8_jjjS8_jjjj, .Lfunc_end151-_ZL13mul_mat_vec_qIL9ggml_type14ELi4ELb0ELb0EEvPKvS2_PKi31ggml_cuda_mm_fusion_args_devicePfj15HIP_vector_typeIjLj3EEjjjS8_jjjS8_jjjj
                                        ; -- End function
	.set _ZL13mul_mat_vec_qIL9ggml_type14ELi4ELb0ELb0EEvPKvS2_PKi31ggml_cuda_mm_fusion_args_devicePfj15HIP_vector_typeIjLj3EEjjjS8_jjjS8_jjjj.num_vgpr, 55
	.set _ZL13mul_mat_vec_qIL9ggml_type14ELi4ELb0ELb0EEvPKvS2_PKi31ggml_cuda_mm_fusion_args_devicePfj15HIP_vector_typeIjLj3EEjjjS8_jjjS8_jjjj.num_agpr, 0
	.set _ZL13mul_mat_vec_qIL9ggml_type14ELi4ELb0ELb0EEvPKvS2_PKi31ggml_cuda_mm_fusion_args_devicePfj15HIP_vector_typeIjLj3EEjjjS8_jjjS8_jjjj.numbered_sgpr, 28
	.set _ZL13mul_mat_vec_qIL9ggml_type14ELi4ELb0ELb0EEvPKvS2_PKi31ggml_cuda_mm_fusion_args_devicePfj15HIP_vector_typeIjLj3EEjjjS8_jjjS8_jjjj.num_named_barrier, 0
	.set _ZL13mul_mat_vec_qIL9ggml_type14ELi4ELb0ELb0EEvPKvS2_PKi31ggml_cuda_mm_fusion_args_devicePfj15HIP_vector_typeIjLj3EEjjjS8_jjjS8_jjjj.private_seg_size, 0
	.set _ZL13mul_mat_vec_qIL9ggml_type14ELi4ELb0ELb0EEvPKvS2_PKi31ggml_cuda_mm_fusion_args_devicePfj15HIP_vector_typeIjLj3EEjjjS8_jjjS8_jjjj.uses_vcc, 1
	.set _ZL13mul_mat_vec_qIL9ggml_type14ELi4ELb0ELb0EEvPKvS2_PKi31ggml_cuda_mm_fusion_args_devicePfj15HIP_vector_typeIjLj3EEjjjS8_jjjS8_jjjj.uses_flat_scratch, 0
	.set _ZL13mul_mat_vec_qIL9ggml_type14ELi4ELb0ELb0EEvPKvS2_PKi31ggml_cuda_mm_fusion_args_devicePfj15HIP_vector_typeIjLj3EEjjjS8_jjjS8_jjjj.has_dyn_sized_stack, 0
	.set _ZL13mul_mat_vec_qIL9ggml_type14ELi4ELb0ELb0EEvPKvS2_PKi31ggml_cuda_mm_fusion_args_devicePfj15HIP_vector_typeIjLj3EEjjjS8_jjjS8_jjjj.has_recursion, 0
	.set _ZL13mul_mat_vec_qIL9ggml_type14ELi4ELb0ELb0EEvPKvS2_PKi31ggml_cuda_mm_fusion_args_devicePfj15HIP_vector_typeIjLj3EEjjjS8_jjjS8_jjjj.has_indirect_call, 0
	.section	.AMDGPU.csdata,"",@progbits
; Kernel info:
; codeLenInByte = 2012
; TotalNumSgprs: 30
; NumVgprs: 55
; ScratchSize: 0
; MemoryBound: 0
; FloatMode: 240
; IeeeMode: 1
; LDSByteSize: 0 bytes/workgroup (compile time only)
; SGPRBlocks: 0
; VGPRBlocks: 6
; NumSGPRsForWavesPerEU: 30
; NumVGPRsForWavesPerEU: 55
; Occupancy: 16
; WaveLimiterHint : 0
; COMPUTE_PGM_RSRC2:SCRATCH_EN: 0
; COMPUTE_PGM_RSRC2:USER_SGPR: 6
; COMPUTE_PGM_RSRC2:TRAP_HANDLER: 0
; COMPUTE_PGM_RSRC2:TGID_X_EN: 1
; COMPUTE_PGM_RSRC2:TGID_Y_EN: 1
; COMPUTE_PGM_RSRC2:TGID_Z_EN: 1
; COMPUTE_PGM_RSRC2:TIDIG_COMP_CNT: 1
	.section	.text._ZL13mul_mat_vec_qIL9ggml_type14ELi5ELb0ELb0EEvPKvS2_PKi31ggml_cuda_mm_fusion_args_devicePfj15HIP_vector_typeIjLj3EEjjjS8_jjjS8_jjjj,"axG",@progbits,_ZL13mul_mat_vec_qIL9ggml_type14ELi5ELb0ELb0EEvPKvS2_PKi31ggml_cuda_mm_fusion_args_devicePfj15HIP_vector_typeIjLj3EEjjjS8_jjjS8_jjjj,comdat
	.globl	_ZL13mul_mat_vec_qIL9ggml_type14ELi5ELb0ELb0EEvPKvS2_PKi31ggml_cuda_mm_fusion_args_devicePfj15HIP_vector_typeIjLj3EEjjjS8_jjjS8_jjjj ; -- Begin function _ZL13mul_mat_vec_qIL9ggml_type14ELi5ELb0ELb0EEvPKvS2_PKi31ggml_cuda_mm_fusion_args_devicePfj15HIP_vector_typeIjLj3EEjjjS8_jjjS8_jjjj
	.p2align	8
	.type	_ZL13mul_mat_vec_qIL9ggml_type14ELi5ELb0ELb0EEvPKvS2_PKi31ggml_cuda_mm_fusion_args_devicePfj15HIP_vector_typeIjLj3EEjjjS8_jjjS8_jjjj,@function
_ZL13mul_mat_vec_qIL9ggml_type14ELi5ELb0ELb0EEvPKvS2_PKi31ggml_cuda_mm_fusion_args_devicePfj15HIP_vector_typeIjLj3EEjjjS8_jjjS8_jjjj: ; @_ZL13mul_mat_vec_qIL9ggml_type14ELi5ELb0ELb0EEvPKvS2_PKi31ggml_cuda_mm_fusion_args_devicePfj15HIP_vector_typeIjLj3EEjjjS8_jjjS8_jjjj
; %bb.0:
	s_clause 0x5
	s_load_dword s9, s[4:5], 0x40
	s_load_dwordx4 s[0:3], s[4:5], 0x50
	s_load_dword s11, s[4:5], 0x60
	s_load_dwordx4 s[12:15], s[4:5], 0x68
	;; [unrolled: 2-line block ×3, first 2 shown]
	v_mov_b32_e32 v6, 0
	v_mov_b32_e32 v7, 0
	;; [unrolled: 1-line block ×5, first 2 shown]
	s_waitcnt lgkmcnt(0)
	s_lshr_b32 s10, s9, 8
	s_mov_b32 s9, exec_lo
	v_cmpx_gt_u32_e64 s10, v1
	s_cbranch_execz .LBB152_4
; %bb.1:
	s_mul_i32 s13, s13, s7
	v_and_b32_e32 v5, 15, v0
	s_load_dwordx4 s[20:23], s[4:5], 0x0
	s_mul_hi_u32 s27, s13, 36
	s_mul_i32 s26, s13, 36
	s_mul_i32 s17, s17, s8
	v_mad_u64_u32 v[2:3], null, 0x120, v1, s[26:27]
	v_lshrrev_b16 v6, 3, v5
	v_lshrrev_b32_e32 v4, 4, v0
	v_and_b32_e32 v8, 7, v0
	s_mul_hi_u32 s3, s3, s7
	s_mul_hi_u32 s15, s15, s8
	v_and_b32_e32 v6, 0xffff, v6
	v_mad_u64_u32 v[2:3], null, s17, 36, v[2:3]
	v_lshlrev_b32_e32 v7, 3, v4
	s_add_i32 s3, s7, s3
	v_lshl_or_b32 v9, v4, 2, v6
	s_add_i32 s15, s8, s15
	s_mul_i32 s25, s17, 36
	s_lshr_b32 s3, s3, s11
	v_or_b32_e32 v11, v7, v8
	v_lshrrev_b16 v12, 2, v5
	v_mad_u64_u32 v[4:5], null, v9, 36, v[2:3]
	s_mul_hi_u32 s19, s17, 36
	s_lshr_b32 s11, s15, s24
	s_mul_i32 s3, s3, s12
	s_waitcnt lgkmcnt(0)
	s_add_u32 s12, s22, s25
	s_addc_u32 s13, s23, s19
	s_add_u32 s12, s12, s26
	s_addc_u32 s13, s13, s27
	v_lshlrev_b32_e32 v15, 1, v0
	v_lshlrev_b32_e32 v16, 1, v11
	v_mad_u64_u32 v[2:3], null, v9, 36, s[12:13]
	v_add_co_u32 v4, vcc_lo, s22, v4
	s_mul_i32 s0, s0, s6
	v_mov_b32_e32 v10, 0
	v_lshlrev_b32_e32 v11, 1, v6
	v_or_b32_sdwa v12, v7, v12 dst_sel:DWORD dst_unused:UNUSED_PAD src0_sel:DWORD src1_sel:WORD_0
	v_lshlrev_b32_e32 v13, 2, v8
	v_add_co_ci_u32_e64 v5, null, s23, v5, vcc_lo
	v_lshlrev_b32_e32 v14, 3, v1
	v_lshlrev_b32_e32 v15, 1, v15
	v_lshlrev_b32_e32 v16, 1, v16
	v_lshlrev_b32_e32 v17, 2, v8
	v_mov_b32_e32 v18, v1
	v_mov_b32_e32 v7, 0
	;; [unrolled: 1-line block ×5, first 2 shown]
	s_mul_i32 s11, s11, s16
	s_add_i32 s3, s3, s0
	s_mul_i32 s12, s1, 3
	s_add_i32 s3, s11, s3
	s_lshl_b32 s11, s1, 1
	s_lshl_b32 s15, s1, 2
	s_mov_b32 s13, 0
.LBB152_2:                              ; =>This Inner Loop Header: Depth=1
	v_add_nc_u32_e32 v20, s3, v18
	v_add_co_u32 v19, vcc_lo, v4, v13
	v_add_nc_u32_e32 v27, s15, v14
	v_mov_b32_e32 v50, 0
	v_mad_i64_i32 v[21:22], null, 0xd2, v20, s[20:21]
	v_add_co_ci_u32_e64 v20, null, 0, v5, vcc_lo
	v_mad_u64_u32 v[27:28], null, v27, 36, v[2:3]
	v_mov_b32_e32 v52, 0
	v_mov_b32_e32 v49, 0
	v_add_co_u32 v23, s0, v21, v16
	v_add_co_ci_u32_e64 v24, null, 0, v22, s0
	v_add_co_u32 v25, s0, v21, v15
	v_add_co_ci_u32_e64 v26, null, 0, v22, s0
	s_clause 0x1
	global_load_dword v39, v[23:24], off offset:128
	global_load_dword v40, v[25:26], off
	v_add_nc_u32_e32 v23, s1, v14
	v_add_nc_u32_e32 v24, s11, v14
	;; [unrolled: 1-line block ×3, first 2 shown]
	s_clause 0x1
	global_load_dword v41, v[19:20], off offset:4
	global_load_dword v42, v[19:20], off offset:76
	v_add_co_u32 v29, vcc_lo, v21, v12
	v_mad_u64_u32 v[19:20], null, v23, 36, v[2:3]
	v_mad_u64_u32 v[23:24], null, v24, 36, v[2:3]
	;; [unrolled: 1-line block ×3, first 2 shown]
	v_add_co_ci_u32_e64 v30, null, 0, v22, vcc_lo
	v_add_co_u32 v31, vcc_lo, v19, v17
	v_add_co_ci_u32_e64 v32, null, 0, v20, vcc_lo
	v_add_co_u32 v33, vcc_lo, v23, v17
	;; [unrolled: 2-line block ×4, first 2 shown]
	v_add_co_ci_u32_e64 v38, null, 0, v28, vcc_lo
	s_clause 0x7
	global_load_dword v43, v[31:32], off offset:4
	global_load_dword v31, v[31:32], off offset:76
	;; [unrolled: 1-line block ×8, first 2 shown]
	s_clause 0x1
	global_load_sbyte v38, v[29:30], off offset:192
	global_load_sbyte v29, v[29:30], off offset:196
	s_clause 0x1
	global_load_dword v30, v[4:5], off
	global_load_dword v44, v[4:5], off offset:72
	s_clause 0x7
	global_load_dword v45, v[25:26], off
	global_load_dword v46, v[19:20], off
	global_load_dword v47, v[23:24], off
	global_load_dword v48, v[27:28], off
	global_load_dword v23, v[23:24], off offset:72
	global_load_dword v19, v[19:20], off offset:72
	;; [unrolled: 1-line block ×4, first 2 shown]
	global_load_ushort v21, v[21:22], off offset:208
	v_mov_b32_e32 v22, 0
	v_mov_b32_e32 v26, 0
	;; [unrolled: 1-line block ×7, first 2 shown]
	v_add_nc_u32_e32 v18, 1, v18
	v_add_co_u32 v4, vcc_lo, 0x120, v4
	v_add_co_ci_u32_e64 v5, null, 0, v5, vcc_lo
	v_cmp_le_u32_e32 vcc_lo, s10, v18
	v_add_nc_u32_e32 v14, 8, v14
	s_or_b32 s13, vcc_lo, s13
	s_waitcnt vmcnt(24)
	v_ashrrev_i32_e32 v39, v11, v39
	s_waitcnt vmcnt(23)
	v_lshrrev_b32_e32 v54, 4, v40
	v_and_b32_e32 v40, 0xf0f0f0f, v40
	v_lshlrev_b32_e32 v55, 4, v39
	v_and_b32_e32 v54, 0xf0f0f0f, v54
	v_and_or_b32 v40, 0x30303030, v55, v40
	v_and_or_b32 v39, 0x30303030, v39, v54
	v_lshrrev_b32_e32 v54, 16, v40
	v_lshrrev_b32_e32 v56, 16, v39
	v_lshlrev_b16 v55, 8, v40
	v_and_b32_e32 v40, 0x3f00, v40
	v_and_b32_e32 v57, 0x3f00, v39
	v_lshlrev_b16 v58, 8, v54
	v_lshlrev_b16 v59, 8, v56
	v_and_b32_e32 v54, 0x3f00, v54
	v_lshlrev_b16 v39, 8, v39
	v_add_nc_u16 v55, 0xe000, v55
	v_add_nc_u16 v58, 0xe000, v58
	v_and_b32_e32 v56, 0x3f00, v56
	v_add_nc_u16 v59, 0xe000, v59
	v_add_nc_u16 v39, 0xe000, v39
	v_or_b32_sdwa v40, v40, v55 dst_sel:DWORD dst_unused:UNUSED_PAD src0_sel:DWORD src1_sel:BYTE_1
	v_or_b32_sdwa v54, v54, v58 dst_sel:DWORD dst_unused:UNUSED_PAD src0_sel:DWORD src1_sel:BYTE_1
	;; [unrolled: 1-line block ×4, first 2 shown]
	v_add_nc_u16 v40, 0xe000, v40
	v_add_nc_u16 v54, 0xe000, v54
	;; [unrolled: 1-line block ×4, first 2 shown]
	v_lshlrev_b32_e32 v54, 16, v54
	v_lshlrev_b32_e32 v55, 16, v55
	v_or_b32_sdwa v40, v40, v54 dst_sel:DWORD dst_unused:UNUSED_PAD src0_sel:WORD_0 src1_sel:DWORD
	v_or_b32_sdwa v39, v39, v55 dst_sel:DWORD dst_unused:UNUSED_PAD src0_sel:WORD_0 src1_sel:DWORD
	s_waitcnt vmcnt(22)
	v_dot4c_i32_i8 v22, v40, v41
	s_waitcnt vmcnt(20)
	v_dot4c_i32_i8 v26, v40, v43
	;; [unrolled: 2-line block ×5, first 2 shown]
	v_dot4c_i32_i8 v25, v39, v42
	v_dot4c_i32_i8 v27, v39, v31
	;; [unrolled: 1-line block ×4, first 2 shown]
	s_waitcnt vmcnt(13)
	v_dot4c_i32_i8 v53, v39, v37
	s_waitcnt vmcnt(12)
	v_mul_lo_u32 v22, v22, v38
	v_mul_lo_u32 v26, v26, v38
	;; [unrolled: 1-line block ×5, first 2 shown]
	s_waitcnt vmcnt(11)
	v_mul_lo_u32 v25, v25, v29
	v_mul_lo_u32 v31, v49, v29
	;; [unrolled: 1-line block ×5, first 2 shown]
	v_cvt_f32_i32_e32 v22, v22
	v_cvt_f32_i32_e32 v28, v28
	;; [unrolled: 1-line block ×10, first 2 shown]
	s_waitcnt vmcnt(10)
	v_fma_mix_f32 v22, v30, v22, 0 op_sel_hi:[1,0,0]
	s_waitcnt vmcnt(7)
	v_fma_mix_f32 v26, v46, v26, 0 op_sel_hi:[1,0,0]
	;; [unrolled: 2-line block ×3, first 2 shown]
	v_fma_mix_f32 v30, v45, v32, 0 op_sel_hi:[1,0,0]
	s_waitcnt vmcnt(5)
	v_fma_mix_f32 v32, v48, v33, 0 op_sel_hi:[1,0,0]
	v_fma_mix_f32 v22, v44, v25, v22 op_sel_hi:[1,0,0]
	s_waitcnt vmcnt(3)
	v_fma_mix_f32 v19, v19, v27, v26 op_sel_hi:[1,0,0]
	;; [unrolled: 3-line block ×4, first 2 shown]
	v_fma_mix_f32 v9, v19, v21, v9 op_sel_hi:[0,1,0]
	v_fma_mix_f32 v8, v23, v21, v8 op_sel_hi:[0,1,0]
	;; [unrolled: 1-line block ×4, first 2 shown]
	s_andn2_b32 exec_lo, exec_lo, s13
	s_cbranch_execnz .LBB152_2
; %bb.3:
	s_or_b32 exec_lo, exec_lo, s13
.LBB152_4:
	s_or_b32 exec_lo, exec_lo, s9
	s_mov_b32 s1, 0
	; wave barrier
	buffer_gl0_inv
	s_mov_b32 s0, exec_lo
	v_cmpx_eq_u32_e32 0, v1
	s_cbranch_execz .LBB152_15
; %bb.5:
	v_mbcnt_lo_u32_b32 v5, -1, 0
	s_load_dwordx2 s[4:5], s[4:5], 0x38
	s_mul_i32 s0, s14, s7
	s_mul_i32 s3, s18, s8
	s_add_i32 s0, s0, s6
	v_xor_b32_e32 v1, 16, v5
	v_xor_b32_e32 v2, 8, v5
	;; [unrolled: 1-line block ×3, first 2 shown]
	s_add_i32 s0, s0, s3
	s_lshl_b64 s[0:1], s[0:1], 2
	v_cmp_gt_i32_e32 vcc_lo, 32, v1
	v_cndmask_b32_e32 v1, v5, v1, vcc_lo
	v_cmp_gt_i32_e32 vcc_lo, 32, v2
	v_lshlrev_b32_e32 v1, 2, v1
	v_cndmask_b32_e32 v2, v5, v2, vcc_lo
	s_waitcnt lgkmcnt(0)
	s_add_u32 s0, s4, s0
	s_addc_u32 s1, s5, s1
	ds_bpermute_b32 v3, v1, v10
	v_lshlrev_b32_e32 v2, 2, v2
	s_waitcnt lgkmcnt(0)
	v_add_f32_e32 v4, v10, v3
	v_xor_b32_e32 v3, 4, v5
	ds_bpermute_b32 v10, v2, v4
	v_cmp_gt_i32_e32 vcc_lo, 32, v3
	v_cndmask_b32_e32 v3, v5, v3, vcc_lo
	v_lshlrev_b32_e32 v3, 2, v3
	s_waitcnt lgkmcnt(0)
	v_add_f32_e32 v10, v4, v10
	v_xor_b32_e32 v4, 2, v5
	ds_bpermute_b32 v11, v3, v10
	v_cmp_gt_i32_e32 vcc_lo, 32, v4
	v_cndmask_b32_e32 v4, v5, v4, vcc_lo
	v_cmp_gt_i32_e32 vcc_lo, 32, v12
	v_lshlrev_b32_e32 v4, 2, v4
	v_cndmask_b32_e32 v5, v5, v12, vcc_lo
	v_cmp_eq_u32_e32 vcc_lo, 0, v0
	v_lshlrev_b32_e32 v5, 2, v5
	s_waitcnt lgkmcnt(0)
	v_add_f32_e32 v10, v10, v11
	ds_bpermute_b32 v11, v4, v10
	s_waitcnt lgkmcnt(0)
	v_add_f32_e32 v10, v10, v11
	ds_bpermute_b32 v11, v5, v10
	s_and_saveexec_b32 s3, vcc_lo
	s_cbranch_execz .LBB152_7
; %bb.6:
	s_waitcnt lgkmcnt(0)
	v_add_f32_e32 v0, v10, v11
	v_mov_b32_e32 v10, 0
	global_store_dword v10, v0, s[0:1]
.LBB152_7:
	s_or_b32 exec_lo, exec_lo, s3
	ds_bpermute_b32 v0, v1, v9
	s_waitcnt lgkmcnt(0)
	v_add_f32_e32 v0, v9, v0
	ds_bpermute_b32 v9, v2, v0
	s_waitcnt lgkmcnt(0)
	v_add_f32_e32 v0, v0, v9
	;; [unrolled: 3-line block ×4, first 2 shown]
	ds_bpermute_b32 v9, v5, v0
	s_and_saveexec_b32 s4, vcc_lo
	s_cbranch_execz .LBB152_9
; %bb.8:
	s_mov_b32 s3, 0
	s_waitcnt lgkmcnt(0)
	v_add_f32_e32 v0, v0, v9
	s_lshl_b64 s[6:7], s[2:3], 2
	v_mov_b32_e32 v9, 0
	s_add_u32 s6, s0, s6
	s_addc_u32 s7, s1, s7
	global_store_dword v9, v0, s[6:7]
.LBB152_9:
	s_or_b32 exec_lo, exec_lo, s4
	ds_bpermute_b32 v0, v1, v8
	s_waitcnt lgkmcnt(0)
	v_add_f32_e32 v0, v8, v0
	ds_bpermute_b32 v8, v2, v0
	s_waitcnt lgkmcnt(0)
	v_add_f32_e32 v0, v0, v8
	;; [unrolled: 3-line block ×4, first 2 shown]
	ds_bpermute_b32 v8, v5, v0
	s_and_saveexec_b32 s3, vcc_lo
	s_cbranch_execz .LBB152_11
; %bb.10:
	s_lshl_b32 s4, s2, 1
	s_mov_b32 s5, 0
	s_waitcnt lgkmcnt(0)
	v_add_f32_e32 v0, v0, v8
	s_lshl_b64 s[4:5], s[4:5], 2
	v_mov_b32_e32 v8, 0
	s_add_u32 s4, s0, s4
	s_addc_u32 s5, s1, s5
	global_store_dword v8, v0, s[4:5]
.LBB152_11:
	s_or_b32 exec_lo, exec_lo, s3
	ds_bpermute_b32 v0, v1, v7
	s_waitcnt lgkmcnt(0)
	v_add_f32_e32 v0, v7, v0
	ds_bpermute_b32 v7, v2, v0
	s_waitcnt lgkmcnt(0)
	v_add_f32_e32 v0, v0, v7
	;; [unrolled: 3-line block ×4, first 2 shown]
	ds_bpermute_b32 v7, v5, v0
	s_and_saveexec_b32 s3, vcc_lo
	s_cbranch_execz .LBB152_13
; %bb.12:
	s_mul_i32 s4, s2, 3
	s_mov_b32 s5, 0
	s_waitcnt lgkmcnt(0)
	v_add_f32_e32 v0, v0, v7
	s_lshl_b64 s[4:5], s[4:5], 2
	v_mov_b32_e32 v7, 0
	s_add_u32 s4, s0, s4
	s_addc_u32 s5, s1, s5
	global_store_dword v7, v0, s[4:5]
.LBB152_13:
	s_or_b32 exec_lo, exec_lo, s3
	ds_bpermute_b32 v0, v1, v6
	s_waitcnt lgkmcnt(0)
	v_add_f32_e32 v0, v6, v0
	ds_bpermute_b32 v1, v2, v0
	s_waitcnt lgkmcnt(0)
	v_add_f32_e32 v0, v0, v1
	;; [unrolled: 3-line block ×4, first 2 shown]
	ds_bpermute_b32 v1, v5, v0
	s_and_b32 exec_lo, exec_lo, vcc_lo
	s_cbranch_execz .LBB152_15
; %bb.14:
	s_lshl_b32 s2, s2, 2
	s_mov_b32 s3, 0
	s_waitcnt lgkmcnt(0)
	v_add_f32_e32 v0, v0, v1
	s_lshl_b64 s[2:3], s[2:3], 2
	v_mov_b32_e32 v1, 0
	s_add_u32 s0, s0, s2
	s_addc_u32 s1, s1, s3
	global_store_dword v1, v0, s[0:1]
.LBB152_15:
	s_endpgm
	.section	.rodata,"a",@progbits
	.p2align	6, 0x0
	.amdhsa_kernel _ZL13mul_mat_vec_qIL9ggml_type14ELi5ELb0ELb0EEvPKvS2_PKi31ggml_cuda_mm_fusion_args_devicePfj15HIP_vector_typeIjLj3EEjjjS8_jjjS8_jjjj
		.amdhsa_group_segment_fixed_size 0
		.amdhsa_private_segment_fixed_size 0
		.amdhsa_kernarg_size 144
		.amdhsa_user_sgpr_count 6
		.amdhsa_user_sgpr_private_segment_buffer 1
		.amdhsa_user_sgpr_dispatch_ptr 0
		.amdhsa_user_sgpr_queue_ptr 0
		.amdhsa_user_sgpr_kernarg_segment_ptr 1
		.amdhsa_user_sgpr_dispatch_id 0
		.amdhsa_user_sgpr_flat_scratch_init 0
		.amdhsa_user_sgpr_private_segment_size 0
		.amdhsa_wavefront_size32 1
		.amdhsa_uses_dynamic_stack 0
		.amdhsa_system_sgpr_private_segment_wavefront_offset 0
		.amdhsa_system_sgpr_workgroup_id_x 1
		.amdhsa_system_sgpr_workgroup_id_y 1
		.amdhsa_system_sgpr_workgroup_id_z 1
		.amdhsa_system_sgpr_workgroup_info 0
		.amdhsa_system_vgpr_workitem_id 1
		.amdhsa_next_free_vgpr 60
		.amdhsa_next_free_sgpr 28
		.amdhsa_reserve_vcc 1
		.amdhsa_reserve_flat_scratch 0
		.amdhsa_float_round_mode_32 0
		.amdhsa_float_round_mode_16_64 0
		.amdhsa_float_denorm_mode_32 3
		.amdhsa_float_denorm_mode_16_64 3
		.amdhsa_dx10_clamp 1
		.amdhsa_ieee_mode 1
		.amdhsa_fp16_overflow 0
		.amdhsa_workgroup_processor_mode 1
		.amdhsa_memory_ordered 1
		.amdhsa_forward_progress 1
		.amdhsa_shared_vgpr_count 0
		.amdhsa_exception_fp_ieee_invalid_op 0
		.amdhsa_exception_fp_denorm_src 0
		.amdhsa_exception_fp_ieee_div_zero 0
		.amdhsa_exception_fp_ieee_overflow 0
		.amdhsa_exception_fp_ieee_underflow 0
		.amdhsa_exception_fp_ieee_inexact 0
		.amdhsa_exception_int_div_zero 0
	.end_amdhsa_kernel
	.section	.text._ZL13mul_mat_vec_qIL9ggml_type14ELi5ELb0ELb0EEvPKvS2_PKi31ggml_cuda_mm_fusion_args_devicePfj15HIP_vector_typeIjLj3EEjjjS8_jjjS8_jjjj,"axG",@progbits,_ZL13mul_mat_vec_qIL9ggml_type14ELi5ELb0ELb0EEvPKvS2_PKi31ggml_cuda_mm_fusion_args_devicePfj15HIP_vector_typeIjLj3EEjjjS8_jjjS8_jjjj,comdat
.Lfunc_end152:
	.size	_ZL13mul_mat_vec_qIL9ggml_type14ELi5ELb0ELb0EEvPKvS2_PKi31ggml_cuda_mm_fusion_args_devicePfj15HIP_vector_typeIjLj3EEjjjS8_jjjS8_jjjj, .Lfunc_end152-_ZL13mul_mat_vec_qIL9ggml_type14ELi5ELb0ELb0EEvPKvS2_PKi31ggml_cuda_mm_fusion_args_devicePfj15HIP_vector_typeIjLj3EEjjjS8_jjjS8_jjjj
                                        ; -- End function
	.set _ZL13mul_mat_vec_qIL9ggml_type14ELi5ELb0ELb0EEvPKvS2_PKi31ggml_cuda_mm_fusion_args_devicePfj15HIP_vector_typeIjLj3EEjjjS8_jjjS8_jjjj.num_vgpr, 60
	.set _ZL13mul_mat_vec_qIL9ggml_type14ELi5ELb0ELb0EEvPKvS2_PKi31ggml_cuda_mm_fusion_args_devicePfj15HIP_vector_typeIjLj3EEjjjS8_jjjS8_jjjj.num_agpr, 0
	.set _ZL13mul_mat_vec_qIL9ggml_type14ELi5ELb0ELb0EEvPKvS2_PKi31ggml_cuda_mm_fusion_args_devicePfj15HIP_vector_typeIjLj3EEjjjS8_jjjS8_jjjj.numbered_sgpr, 28
	.set _ZL13mul_mat_vec_qIL9ggml_type14ELi5ELb0ELb0EEvPKvS2_PKi31ggml_cuda_mm_fusion_args_devicePfj15HIP_vector_typeIjLj3EEjjjS8_jjjS8_jjjj.num_named_barrier, 0
	.set _ZL13mul_mat_vec_qIL9ggml_type14ELi5ELb0ELb0EEvPKvS2_PKi31ggml_cuda_mm_fusion_args_devicePfj15HIP_vector_typeIjLj3EEjjjS8_jjjS8_jjjj.private_seg_size, 0
	.set _ZL13mul_mat_vec_qIL9ggml_type14ELi5ELb0ELb0EEvPKvS2_PKi31ggml_cuda_mm_fusion_args_devicePfj15HIP_vector_typeIjLj3EEjjjS8_jjjS8_jjjj.uses_vcc, 1
	.set _ZL13mul_mat_vec_qIL9ggml_type14ELi5ELb0ELb0EEvPKvS2_PKi31ggml_cuda_mm_fusion_args_devicePfj15HIP_vector_typeIjLj3EEjjjS8_jjjS8_jjjj.uses_flat_scratch, 0
	.set _ZL13mul_mat_vec_qIL9ggml_type14ELi5ELb0ELb0EEvPKvS2_PKi31ggml_cuda_mm_fusion_args_devicePfj15HIP_vector_typeIjLj3EEjjjS8_jjjS8_jjjj.has_dyn_sized_stack, 0
	.set _ZL13mul_mat_vec_qIL9ggml_type14ELi5ELb0ELb0EEvPKvS2_PKi31ggml_cuda_mm_fusion_args_devicePfj15HIP_vector_typeIjLj3EEjjjS8_jjjS8_jjjj.has_recursion, 0
	.set _ZL13mul_mat_vec_qIL9ggml_type14ELi5ELb0ELb0EEvPKvS2_PKi31ggml_cuda_mm_fusion_args_devicePfj15HIP_vector_typeIjLj3EEjjjS8_jjjS8_jjjj.has_indirect_call, 0
	.section	.AMDGPU.csdata,"",@progbits
; Kernel info:
; codeLenInByte = 2260
; TotalNumSgprs: 30
; NumVgprs: 60
; ScratchSize: 0
; MemoryBound: 0
; FloatMode: 240
; IeeeMode: 1
; LDSByteSize: 0 bytes/workgroup (compile time only)
; SGPRBlocks: 0
; VGPRBlocks: 7
; NumSGPRsForWavesPerEU: 30
; NumVGPRsForWavesPerEU: 60
; Occupancy: 16
; WaveLimiterHint : 0
; COMPUTE_PGM_RSRC2:SCRATCH_EN: 0
; COMPUTE_PGM_RSRC2:USER_SGPR: 6
; COMPUTE_PGM_RSRC2:TRAP_HANDLER: 0
; COMPUTE_PGM_RSRC2:TGID_X_EN: 1
; COMPUTE_PGM_RSRC2:TGID_Y_EN: 1
; COMPUTE_PGM_RSRC2:TGID_Z_EN: 1
; COMPUTE_PGM_RSRC2:TIDIG_COMP_CNT: 1
	.section	.text._ZL13mul_mat_vec_qIL9ggml_type14ELi6ELb0ELb0EEvPKvS2_PKi31ggml_cuda_mm_fusion_args_devicePfj15HIP_vector_typeIjLj3EEjjjS8_jjjS8_jjjj,"axG",@progbits,_ZL13mul_mat_vec_qIL9ggml_type14ELi6ELb0ELb0EEvPKvS2_PKi31ggml_cuda_mm_fusion_args_devicePfj15HIP_vector_typeIjLj3EEjjjS8_jjjS8_jjjj,comdat
	.globl	_ZL13mul_mat_vec_qIL9ggml_type14ELi6ELb0ELb0EEvPKvS2_PKi31ggml_cuda_mm_fusion_args_devicePfj15HIP_vector_typeIjLj3EEjjjS8_jjjS8_jjjj ; -- Begin function _ZL13mul_mat_vec_qIL9ggml_type14ELi6ELb0ELb0EEvPKvS2_PKi31ggml_cuda_mm_fusion_args_devicePfj15HIP_vector_typeIjLj3EEjjjS8_jjjS8_jjjj
	.p2align	8
	.type	_ZL13mul_mat_vec_qIL9ggml_type14ELi6ELb0ELb0EEvPKvS2_PKi31ggml_cuda_mm_fusion_args_devicePfj15HIP_vector_typeIjLj3EEjjjS8_jjjS8_jjjj,@function
_ZL13mul_mat_vec_qIL9ggml_type14ELi6ELb0ELb0EEvPKvS2_PKi31ggml_cuda_mm_fusion_args_devicePfj15HIP_vector_typeIjLj3EEjjjS8_jjjS8_jjjj: ; @_ZL13mul_mat_vec_qIL9ggml_type14ELi6ELb0ELb0EEvPKvS2_PKi31ggml_cuda_mm_fusion_args_devicePfj15HIP_vector_typeIjLj3EEjjjS8_jjjS8_jjjj
; %bb.0:
	s_clause 0x5
	s_load_dword s9, s[4:5], 0x40
	s_load_dwordx4 s[0:3], s[4:5], 0x50
	s_load_dword s11, s[4:5], 0x60
	s_load_dwordx4 s[12:15], s[4:5], 0x68
	;; [unrolled: 2-line block ×3, first 2 shown]
	v_mov_b32_e32 v6, 0
	v_mov_b32_e32 v7, 0
	;; [unrolled: 1-line block ×6, first 2 shown]
	s_waitcnt lgkmcnt(0)
	s_lshr_b32 s10, s9, 8
	s_mov_b32 s9, exec_lo
	v_cmpx_gt_u32_e64 s10, v1
	s_cbranch_execz .LBB153_4
; %bb.1:
	s_mul_i32 s13, s13, s7
	v_and_b32_e32 v5, 15, v0
	s_load_dwordx4 s[20:23], s[4:5], 0x0
	s_mul_hi_u32 s27, s13, 36
	s_mul_i32 s26, s13, 36
	s_mul_i32 s17, s17, s8
	v_mad_u64_u32 v[2:3], null, 0x120, v1, s[26:27]
	v_lshrrev_b16 v6, 3, v5
	v_lshrrev_b32_e32 v4, 4, v0
	v_and_b32_e32 v9, 7, v0
	s_mul_hi_u32 s3, s3, s7
	s_mul_hi_u32 s15, s15, s8
	v_and_b32_e32 v6, 0xffff, v6
	v_mad_u64_u32 v[2:3], null, s17, 36, v[2:3]
	v_lshlrev_b32_e32 v8, 3, v4
	s_add_i32 s3, s7, s3
	v_lshl_or_b32 v10, v4, 2, v6
	s_add_i32 s15, s8, s15
	s_mul_i32 s25, s17, 36
	s_lshr_b32 s3, s3, s11
	v_or_b32_e32 v12, v8, v9
	v_lshrrev_b16 v13, 2, v5
	v_mad_u64_u32 v[4:5], null, v10, 36, v[2:3]
	s_mul_hi_u32 s19, s17, 36
	s_lshr_b32 s11, s15, s24
	s_mul_i32 s3, s3, s12
	s_waitcnt lgkmcnt(0)
	s_add_u32 s12, s22, s25
	s_addc_u32 s13, s23, s19
	s_add_u32 s12, s12, s26
	s_addc_u32 s13, s13, s27
	v_lshlrev_b32_e32 v11, 1, v0
	v_lshlrev_b32_e32 v17, 1, v12
	v_mad_u64_u32 v[2:3], null, v10, 36, s[12:13]
	v_add_co_u32 v4, vcc_lo, s22, v4
	s_mul_i32 s0, s0, s6
	v_mov_b32_e32 v7, 0
	v_lshlrev_b32_e32 v12, 1, v6
	v_or_b32_sdwa v13, v8, v13 dst_sel:DWORD dst_unused:UNUSED_PAD src0_sel:DWORD src1_sel:WORD_0
	v_lshlrev_b32_e32 v14, 2, v9
	v_add_co_ci_u32_e64 v5, null, s23, v5, vcc_lo
	v_lshlrev_b32_e32 v15, 3, v1
	v_lshlrev_b32_e32 v16, 1, v11
	;; [unrolled: 1-line block ×4, first 2 shown]
	v_mov_b32_e32 v19, v1
	v_mov_b32_e32 v6, 0
	;; [unrolled: 1-line block ×6, first 2 shown]
	s_mul_i32 s11, s11, s16
	s_add_i32 s3, s3, s0
	s_lshl_b32 s12, s1, 2
	s_add_i32 s0, s11, s3
	s_lshl_b32 s3, s1, 1
	s_mul_i32 s11, s1, 3
	s_mul_i32 s15, s1, 5
	s_mov_b32 s13, 0
.LBB153_2:                              ; =>This Inner Loop Header: Depth=1
	v_add_nc_u32_e32 v22, s0, v19
	v_add_co_u32 v20, vcc_lo, v4, v14
	v_add_co_ci_u32_e64 v21, null, 0, v5, vcc_lo
	v_mad_i64_i32 v[22:23], null, 0xd2, v22, s[20:21]
	s_clause 0x3
	global_load_dword v44, v[4:5], off
	global_load_dword v45, v[4:5], off offset:72
	global_load_dword v46, v[20:21], off offset:4
	;; [unrolled: 1-line block ×3, first 2 shown]
	v_add_nc_u32_e32 v24, s1, v15
	v_add_nc_u32_e32 v25, s3, v15
	;; [unrolled: 1-line block ×4, first 2 shown]
	v_add_co_u32 v30, vcc_lo, v22, v17
	v_add_co_ci_u32_e64 v31, null, 0, v23, vcc_lo
	v_add_co_u32 v32, vcc_lo, v22, v16
	v_add_co_ci_u32_e64 v33, null, 0, v23, vcc_lo
	s_clause 0x1
	global_load_dword v48, v[30:31], off offset:128
	global_load_dword v49, v[32:33], off
	v_mad_u64_u32 v[20:21], null, v24, 36, v[2:3]
	v_mad_u64_u32 v[24:25], null, v25, 36, v[2:3]
	v_add_nc_u32_e32 v34, s15, v15
	v_mad_u64_u32 v[26:27], null, v26, 36, v[2:3]
	v_mad_u64_u32 v[28:29], null, v28, 36, v[2:3]
	v_add_co_u32 v32, vcc_lo, v22, v13
	v_mad_u64_u32 v[30:31], null, v34, 36, v[2:3]
	v_add_co_ci_u32_e64 v33, null, 0, v23, vcc_lo
	v_add_co_u32 v34, vcc_lo, v20, v18
	v_add_co_ci_u32_e64 v35, null, 0, v21, vcc_lo
	v_add_co_u32 v36, vcc_lo, v24, v18
	;; [unrolled: 2-line block ×5, first 2 shown]
	v_add_co_ci_u32_e64 v43, null, 0, v31, vcc_lo
	s_clause 0xa
	global_load_dword v50, v[26:27], off
	global_load_dword v51, v[34:35], off offset:4
	global_load_dword v34, v[34:35], off offset:76
	global_load_dword v35, v[36:37], off offset:4
	global_load_dword v36, v[36:37], off offset:76
	global_load_dword v37, v[38:39], off offset:4
	global_load_dword v38, v[38:39], off offset:76
	global_load_dword v39, v[40:41], off offset:4
	global_load_dword v40, v[40:41], off offset:76
	global_load_dword v41, v[42:43], off offset:4
	global_load_dword v42, v[42:43], off offset:76
	s_clause 0x1
	global_load_sbyte v43, v[32:33], off offset:192
	global_load_sbyte v32, v[32:33], off offset:196
	s_clause 0x8
	global_load_dword v33, v[30:31], off
	global_load_dword v52, v[20:21], off
	;; [unrolled: 1-line block ×4, first 2 shown]
	global_load_dword v24, v[24:25], off offset:72
	global_load_dword v20, v[20:21], off offset:72
	;; [unrolled: 1-line block ×5, first 2 shown]
	global_load_ushort v22, v[22:23], off offset:208
	v_mov_b32_e32 v23, 0
	v_mov_b32_e32 v28, 0
	;; [unrolled: 1-line block ×10, first 2 shown]
	v_add_nc_u32_e32 v19, 1, v19
	v_add_co_u32 v4, vcc_lo, 0x120, v4
	v_add_co_ci_u32_e64 v5, null, 0, v5, vcc_lo
	v_cmp_le_u32_e32 vcc_lo, s10, v19
	v_add_nc_u32_e32 v15, 8, v15
	s_or_b32 s13, vcc_lo, s13
	s_waitcnt vmcnt(24)
	v_ashrrev_i32_e32 v48, v12, v48
	s_waitcnt vmcnt(23)
	v_and_b32_e32 v59, 0xf0f0f0f, v49
	v_lshrrev_b32_e32 v49, 4, v49
	v_lshlrev_b32_e32 v60, 4, v48
	v_and_b32_e32 v49, 0xf0f0f0f, v49
	v_and_or_b32 v59, 0x30303030, v60, v59
	v_and_or_b32 v48, 0x30303030, v48, v49
	v_lshlrev_b16 v49, 8, v59
	v_lshrrev_b32_e32 v60, 16, v59
	v_and_b32_e32 v59, 0x3f00, v59
	v_lshlrev_b16 v61, 8, v48
	v_add_nc_u16 v49, 0xe000, v49
	v_add_nc_u16 v61, 0xe000, v61
	v_or_b32_sdwa v49, v59, v49 dst_sel:DWORD dst_unused:UNUSED_PAD src0_sel:DWORD src1_sel:BYTE_1
	v_lshrrev_b32_e32 v59, 16, v48
	v_and_b32_e32 v48, 0x3f00, v48
	v_add_nc_u16 v49, 0xe000, v49
	v_or_b32_sdwa v48, v48, v61 dst_sel:DWORD dst_unused:UNUSED_PAD src0_sel:DWORD src1_sel:BYTE_1
	v_lshlrev_b16 v61, 8, v60
	v_and_b32_e32 v60, 0x3f00, v60
	v_add_nc_u16 v48, 0xe000, v48
	v_add_nc_u16 v61, 0xe000, v61
	v_or_b32_sdwa v60, v60, v61 dst_sel:DWORD dst_unused:UNUSED_PAD src0_sel:DWORD src1_sel:BYTE_1
	v_lshlrev_b16 v61, 8, v59
	v_and_b32_e32 v59, 0x3f00, v59
	v_add_nc_u16 v60, 0xe000, v60
	v_add_nc_u16 v61, 0xe000, v61
	v_lshlrev_b32_e32 v60, 16, v60
	v_or_b32_sdwa v59, v59, v61 dst_sel:DWORD dst_unused:UNUSED_PAD src0_sel:DWORD src1_sel:BYTE_1
	v_mov_b32_e32 v61, 0
	v_or_b32_sdwa v49, v49, v60 dst_sel:DWORD dst_unused:UNUSED_PAD src0_sel:WORD_0 src1_sel:DWORD
	v_add_nc_u16 v59, 0xe000, v59
	v_mov_b32_e32 v60, 0
	v_dot4c_i32_i8 v23, v49, v46
	v_lshlrev_b32_e32 v59, 16, v59
	s_waitcnt vmcnt(21)
	v_dot4c_i32_i8 v28, v49, v51
	s_waitcnt vmcnt(19)
	v_dot4c_i32_i8 v30, v49, v35
	;; [unrolled: 2-line block ×4, first 2 shown]
	v_or_b32_sdwa v48, v48, v59 dst_sel:DWORD dst_unused:UNUSED_PAD src0_sel:WORD_0 src1_sel:DWORD
	s_waitcnt vmcnt(13)
	v_dot4c_i32_i8 v61, v49, v41
	s_waitcnt vmcnt(11)
	v_mul_lo_u32 v23, v23, v43
	v_mul_lo_u32 v28, v28, v43
	;; [unrolled: 1-line block ×3, first 2 shown]
	v_dot4c_i32_i8 v27, v48, v47
	v_dot4c_i32_i8 v29, v48, v34
	v_dot4c_i32_i8 v31, v48, v36
	v_dot4c_i32_i8 v56, v48, v38
	v_dot4c_i32_i8 v58, v48, v40
	v_dot4c_i32_i8 v60, v48, v42
	v_mul_lo_u32 v34, v55, v43
	v_mul_lo_u32 v36, v57, v43
	;; [unrolled: 1-line block ×3, first 2 shown]
	s_waitcnt vmcnt(10)
	v_mul_lo_u32 v29, v29, v32
	v_mul_lo_u32 v27, v27, v32
	;; [unrolled: 1-line block ×6, first 2 shown]
	v_cvt_f32_i32_e32 v28, v28
	v_cvt_f32_i32_e32 v23, v23
	;; [unrolled: 1-line block ×12, first 2 shown]
	v_fma_mix_f32 v23, v44, v23, 0 op_sel_hi:[1,0,0]
	s_waitcnt vmcnt(8)
	v_fma_mix_f32 v28, v52, v28, 0 op_sel_hi:[1,0,0]
	s_waitcnt vmcnt(7)
	v_fma_mix_f32 v30, v53, v30, 0 op_sel_hi:[1,0,0]
	v_fma_mix_f32 v34, v50, v34, 0 op_sel_hi:[1,0,0]
	s_waitcnt vmcnt(6)
	v_fma_mix_f32 v36, v54, v36, 0 op_sel_hi:[1,0,0]
	v_fma_mix_f32 v33, v33, v37, 0 op_sel_hi:[1,0,0]
	s_waitcnt vmcnt(4)
	v_fma_mix_f32 v20, v20, v29, v28 op_sel_hi:[1,0,0]
	v_fma_mix_f32 v23, v45, v27, v23 op_sel_hi:[1,0,0]
	s_waitcnt vmcnt(2)
	v_fma_mix_f32 v25, v25, v35, v34 op_sel_hi:[1,0,0]
	v_fma_mix_f32 v24, v24, v31, v30 op_sel_hi:[1,0,0]
	s_waitcnt vmcnt(1)
	v_fma_mix_f32 v26, v26, v38, v33 op_sel_hi:[1,0,0]
	v_fma_mix_f32 v21, v21, v32, v36 op_sel_hi:[1,0,0]
	s_waitcnt vmcnt(0)
	v_fma_mix_f32 v11, v23, v22, v11 op_sel_hi:[0,1,0]
	v_fma_mix_f32 v10, v20, v22, v10 op_sel_hi:[0,1,0]
	v_fma_mix_f32 v9, v24, v22, v9 op_sel_hi:[0,1,0]
	v_fma_mix_f32 v8, v25, v22, v8 op_sel_hi:[0,1,0]
	v_fma_mix_f32 v7, v21, v22, v7 op_sel_hi:[0,1,0]
	v_fma_mix_f32 v6, v26, v22, v6 op_sel_hi:[0,1,0]
	s_andn2_b32 exec_lo, exec_lo, s13
	s_cbranch_execnz .LBB153_2
; %bb.3:
	s_or_b32 exec_lo, exec_lo, s13
.LBB153_4:
	s_or_b32 exec_lo, exec_lo, s9
	s_mov_b32 s1, 0
	; wave barrier
	buffer_gl0_inv
	s_mov_b32 s0, exec_lo
	v_cmpx_eq_u32_e32 0, v1
	s_cbranch_execz .LBB153_17
; %bb.5:
	v_mbcnt_lo_u32_b32 v5, -1, 0
	s_load_dwordx2 s[4:5], s[4:5], 0x38
	s_mul_i32 s0, s14, s7
	s_mul_i32 s3, s18, s8
	s_add_i32 s0, s0, s6
	v_xor_b32_e32 v1, 16, v5
	v_xor_b32_e32 v2, 8, v5
	v_xor_b32_e32 v13, 1, v5
	s_add_i32 s0, s0, s3
	s_lshl_b64 s[0:1], s[0:1], 2
	v_cmp_gt_i32_e32 vcc_lo, 32, v1
	v_cndmask_b32_e32 v1, v5, v1, vcc_lo
	v_cmp_gt_i32_e32 vcc_lo, 32, v2
	v_lshlrev_b32_e32 v1, 2, v1
	v_cndmask_b32_e32 v2, v5, v2, vcc_lo
	s_waitcnt lgkmcnt(0)
	s_add_u32 s0, s4, s0
	s_addc_u32 s1, s5, s1
	ds_bpermute_b32 v3, v1, v11
	v_lshlrev_b32_e32 v2, 2, v2
	s_waitcnt lgkmcnt(0)
	v_add_f32_e32 v4, v11, v3
	v_xor_b32_e32 v3, 4, v5
	ds_bpermute_b32 v11, v2, v4
	v_cmp_gt_i32_e32 vcc_lo, 32, v3
	v_cndmask_b32_e32 v3, v5, v3, vcc_lo
	v_lshlrev_b32_e32 v3, 2, v3
	s_waitcnt lgkmcnt(0)
	v_add_f32_e32 v11, v4, v11
	v_xor_b32_e32 v4, 2, v5
	ds_bpermute_b32 v12, v3, v11
	v_cmp_gt_i32_e32 vcc_lo, 32, v4
	v_cndmask_b32_e32 v4, v5, v4, vcc_lo
	v_cmp_gt_i32_e32 vcc_lo, 32, v13
	v_lshlrev_b32_e32 v4, 2, v4
	v_cndmask_b32_e32 v5, v5, v13, vcc_lo
	v_cmp_eq_u32_e32 vcc_lo, 0, v0
	v_lshlrev_b32_e32 v5, 2, v5
	s_waitcnt lgkmcnt(0)
	v_add_f32_e32 v11, v11, v12
	ds_bpermute_b32 v12, v4, v11
	s_waitcnt lgkmcnt(0)
	v_add_f32_e32 v11, v11, v12
	ds_bpermute_b32 v12, v5, v11
	s_and_saveexec_b32 s3, vcc_lo
	s_cbranch_execz .LBB153_7
; %bb.6:
	s_waitcnt lgkmcnt(0)
	v_add_f32_e32 v0, v11, v12
	v_mov_b32_e32 v11, 0
	global_store_dword v11, v0, s[0:1]
.LBB153_7:
	s_or_b32 exec_lo, exec_lo, s3
	ds_bpermute_b32 v0, v1, v10
	s_waitcnt lgkmcnt(0)
	v_add_f32_e32 v0, v10, v0
	ds_bpermute_b32 v10, v2, v0
	s_waitcnt lgkmcnt(0)
	v_add_f32_e32 v0, v0, v10
	;; [unrolled: 3-line block ×4, first 2 shown]
	ds_bpermute_b32 v10, v5, v0
	s_and_saveexec_b32 s4, vcc_lo
	s_cbranch_execz .LBB153_9
; %bb.8:
	s_mov_b32 s3, 0
	s_waitcnt lgkmcnt(0)
	v_add_f32_e32 v0, v0, v10
	s_lshl_b64 s[6:7], s[2:3], 2
	v_mov_b32_e32 v10, 0
	s_add_u32 s6, s0, s6
	s_addc_u32 s7, s1, s7
	global_store_dword v10, v0, s[6:7]
.LBB153_9:
	s_or_b32 exec_lo, exec_lo, s4
	ds_bpermute_b32 v0, v1, v9
	s_waitcnt lgkmcnt(0)
	v_add_f32_e32 v0, v9, v0
	ds_bpermute_b32 v9, v2, v0
	s_waitcnt lgkmcnt(0)
	v_add_f32_e32 v0, v0, v9
	;; [unrolled: 3-line block ×4, first 2 shown]
	ds_bpermute_b32 v9, v5, v0
	s_and_saveexec_b32 s3, vcc_lo
	s_cbranch_execz .LBB153_11
; %bb.10:
	s_lshl_b32 s4, s2, 1
	s_mov_b32 s5, 0
	s_waitcnt lgkmcnt(0)
	v_add_f32_e32 v0, v0, v9
	s_lshl_b64 s[4:5], s[4:5], 2
	v_mov_b32_e32 v9, 0
	s_add_u32 s4, s0, s4
	s_addc_u32 s5, s1, s5
	global_store_dword v9, v0, s[4:5]
.LBB153_11:
	s_or_b32 exec_lo, exec_lo, s3
	ds_bpermute_b32 v0, v1, v8
	s_waitcnt lgkmcnt(0)
	v_add_f32_e32 v0, v8, v0
	ds_bpermute_b32 v8, v2, v0
	s_waitcnt lgkmcnt(0)
	v_add_f32_e32 v0, v0, v8
	;; [unrolled: 3-line block ×4, first 2 shown]
	ds_bpermute_b32 v8, v5, v0
	s_and_saveexec_b32 s3, vcc_lo
	s_cbranch_execz .LBB153_13
; %bb.12:
	s_mul_i32 s4, s2, 3
	s_mov_b32 s5, 0
	s_waitcnt lgkmcnt(0)
	v_add_f32_e32 v0, v0, v8
	s_lshl_b64 s[4:5], s[4:5], 2
	v_mov_b32_e32 v8, 0
	s_add_u32 s4, s0, s4
	s_addc_u32 s5, s1, s5
	global_store_dword v8, v0, s[4:5]
.LBB153_13:
	s_or_b32 exec_lo, exec_lo, s3
	ds_bpermute_b32 v0, v1, v7
	s_waitcnt lgkmcnt(0)
	v_add_f32_e32 v0, v7, v0
	ds_bpermute_b32 v7, v2, v0
	s_waitcnt lgkmcnt(0)
	v_add_f32_e32 v0, v0, v7
	;; [unrolled: 3-line block ×4, first 2 shown]
	ds_bpermute_b32 v7, v5, v0
	s_and_saveexec_b32 s3, vcc_lo
	s_cbranch_execz .LBB153_15
; %bb.14:
	s_lshl_b32 s4, s2, 2
	s_mov_b32 s5, 0
	s_waitcnt lgkmcnt(0)
	v_add_f32_e32 v0, v0, v7
	s_lshl_b64 s[4:5], s[4:5], 2
	v_mov_b32_e32 v7, 0
	s_add_u32 s4, s0, s4
	s_addc_u32 s5, s1, s5
	global_store_dword v7, v0, s[4:5]
.LBB153_15:
	s_or_b32 exec_lo, exec_lo, s3
	ds_bpermute_b32 v0, v1, v6
	s_waitcnt lgkmcnt(0)
	v_add_f32_e32 v0, v6, v0
	ds_bpermute_b32 v1, v2, v0
	s_waitcnt lgkmcnt(0)
	v_add_f32_e32 v0, v0, v1
	;; [unrolled: 3-line block ×4, first 2 shown]
	ds_bpermute_b32 v1, v5, v0
	s_and_b32 exec_lo, exec_lo, vcc_lo
	s_cbranch_execz .LBB153_17
; %bb.16:
	s_mul_i32 s2, s2, 5
	s_mov_b32 s3, 0
	s_waitcnt lgkmcnt(0)
	v_add_f32_e32 v0, v0, v1
	s_lshl_b64 s[2:3], s[2:3], 2
	v_mov_b32_e32 v1, 0
	s_add_u32 s0, s0, s2
	s_addc_u32 s1, s1, s3
	global_store_dword v1, v0, s[0:1]
.LBB153_17:
	s_endpgm
	.section	.rodata,"a",@progbits
	.p2align	6, 0x0
	.amdhsa_kernel _ZL13mul_mat_vec_qIL9ggml_type14ELi6ELb0ELb0EEvPKvS2_PKi31ggml_cuda_mm_fusion_args_devicePfj15HIP_vector_typeIjLj3EEjjjS8_jjjS8_jjjj
		.amdhsa_group_segment_fixed_size 0
		.amdhsa_private_segment_fixed_size 0
		.amdhsa_kernarg_size 144
		.amdhsa_user_sgpr_count 6
		.amdhsa_user_sgpr_private_segment_buffer 1
		.amdhsa_user_sgpr_dispatch_ptr 0
		.amdhsa_user_sgpr_queue_ptr 0
		.amdhsa_user_sgpr_kernarg_segment_ptr 1
		.amdhsa_user_sgpr_dispatch_id 0
		.amdhsa_user_sgpr_flat_scratch_init 0
		.amdhsa_user_sgpr_private_segment_size 0
		.amdhsa_wavefront_size32 1
		.amdhsa_uses_dynamic_stack 0
		.amdhsa_system_sgpr_private_segment_wavefront_offset 0
		.amdhsa_system_sgpr_workgroup_id_x 1
		.amdhsa_system_sgpr_workgroup_id_y 1
		.amdhsa_system_sgpr_workgroup_id_z 1
		.amdhsa_system_sgpr_workgroup_info 0
		.amdhsa_system_vgpr_workitem_id 1
		.amdhsa_next_free_vgpr 62
		.amdhsa_next_free_sgpr 28
		.amdhsa_reserve_vcc 1
		.amdhsa_reserve_flat_scratch 0
		.amdhsa_float_round_mode_32 0
		.amdhsa_float_round_mode_16_64 0
		.amdhsa_float_denorm_mode_32 3
		.amdhsa_float_denorm_mode_16_64 3
		.amdhsa_dx10_clamp 1
		.amdhsa_ieee_mode 1
		.amdhsa_fp16_overflow 0
		.amdhsa_workgroup_processor_mode 1
		.amdhsa_memory_ordered 1
		.amdhsa_forward_progress 1
		.amdhsa_shared_vgpr_count 0
		.amdhsa_exception_fp_ieee_invalid_op 0
		.amdhsa_exception_fp_denorm_src 0
		.amdhsa_exception_fp_ieee_div_zero 0
		.amdhsa_exception_fp_ieee_overflow 0
		.amdhsa_exception_fp_ieee_underflow 0
		.amdhsa_exception_fp_ieee_inexact 0
		.amdhsa_exception_int_div_zero 0
	.end_amdhsa_kernel
	.section	.text._ZL13mul_mat_vec_qIL9ggml_type14ELi6ELb0ELb0EEvPKvS2_PKi31ggml_cuda_mm_fusion_args_devicePfj15HIP_vector_typeIjLj3EEjjjS8_jjjS8_jjjj,"axG",@progbits,_ZL13mul_mat_vec_qIL9ggml_type14ELi6ELb0ELb0EEvPKvS2_PKi31ggml_cuda_mm_fusion_args_devicePfj15HIP_vector_typeIjLj3EEjjjS8_jjjS8_jjjj,comdat
.Lfunc_end153:
	.size	_ZL13mul_mat_vec_qIL9ggml_type14ELi6ELb0ELb0EEvPKvS2_PKi31ggml_cuda_mm_fusion_args_devicePfj15HIP_vector_typeIjLj3EEjjjS8_jjjS8_jjjj, .Lfunc_end153-_ZL13mul_mat_vec_qIL9ggml_type14ELi6ELb0ELb0EEvPKvS2_PKi31ggml_cuda_mm_fusion_args_devicePfj15HIP_vector_typeIjLj3EEjjjS8_jjjS8_jjjj
                                        ; -- End function
	.set _ZL13mul_mat_vec_qIL9ggml_type14ELi6ELb0ELb0EEvPKvS2_PKi31ggml_cuda_mm_fusion_args_devicePfj15HIP_vector_typeIjLj3EEjjjS8_jjjS8_jjjj.num_vgpr, 62
	.set _ZL13mul_mat_vec_qIL9ggml_type14ELi6ELb0ELb0EEvPKvS2_PKi31ggml_cuda_mm_fusion_args_devicePfj15HIP_vector_typeIjLj3EEjjjS8_jjjS8_jjjj.num_agpr, 0
	.set _ZL13mul_mat_vec_qIL9ggml_type14ELi6ELb0ELb0EEvPKvS2_PKi31ggml_cuda_mm_fusion_args_devicePfj15HIP_vector_typeIjLj3EEjjjS8_jjjS8_jjjj.numbered_sgpr, 28
	.set _ZL13mul_mat_vec_qIL9ggml_type14ELi6ELb0ELb0EEvPKvS2_PKi31ggml_cuda_mm_fusion_args_devicePfj15HIP_vector_typeIjLj3EEjjjS8_jjjS8_jjjj.num_named_barrier, 0
	.set _ZL13mul_mat_vec_qIL9ggml_type14ELi6ELb0ELb0EEvPKvS2_PKi31ggml_cuda_mm_fusion_args_devicePfj15HIP_vector_typeIjLj3EEjjjS8_jjjS8_jjjj.private_seg_size, 0
	.set _ZL13mul_mat_vec_qIL9ggml_type14ELi6ELb0ELb0EEvPKvS2_PKi31ggml_cuda_mm_fusion_args_devicePfj15HIP_vector_typeIjLj3EEjjjS8_jjjS8_jjjj.uses_vcc, 1
	.set _ZL13mul_mat_vec_qIL9ggml_type14ELi6ELb0ELb0EEvPKvS2_PKi31ggml_cuda_mm_fusion_args_devicePfj15HIP_vector_typeIjLj3EEjjjS8_jjjS8_jjjj.uses_flat_scratch, 0
	.set _ZL13mul_mat_vec_qIL9ggml_type14ELi6ELb0ELb0EEvPKvS2_PKi31ggml_cuda_mm_fusion_args_devicePfj15HIP_vector_typeIjLj3EEjjjS8_jjjS8_jjjj.has_dyn_sized_stack, 0
	.set _ZL13mul_mat_vec_qIL9ggml_type14ELi6ELb0ELb0EEvPKvS2_PKi31ggml_cuda_mm_fusion_args_devicePfj15HIP_vector_typeIjLj3EEjjjS8_jjjS8_jjjj.has_recursion, 0
	.set _ZL13mul_mat_vec_qIL9ggml_type14ELi6ELb0ELb0EEvPKvS2_PKi31ggml_cuda_mm_fusion_args_devicePfj15HIP_vector_typeIjLj3EEjjjS8_jjjS8_jjjj.has_indirect_call, 0
	.section	.AMDGPU.csdata,"",@progbits
; Kernel info:
; codeLenInByte = 2512
; TotalNumSgprs: 30
; NumVgprs: 62
; ScratchSize: 0
; MemoryBound: 0
; FloatMode: 240
; IeeeMode: 1
; LDSByteSize: 0 bytes/workgroup (compile time only)
; SGPRBlocks: 0
; VGPRBlocks: 7
; NumSGPRsForWavesPerEU: 30
; NumVGPRsForWavesPerEU: 62
; Occupancy: 16
; WaveLimiterHint : 0
; COMPUTE_PGM_RSRC2:SCRATCH_EN: 0
; COMPUTE_PGM_RSRC2:USER_SGPR: 6
; COMPUTE_PGM_RSRC2:TRAP_HANDLER: 0
; COMPUTE_PGM_RSRC2:TGID_X_EN: 1
; COMPUTE_PGM_RSRC2:TGID_Y_EN: 1
; COMPUTE_PGM_RSRC2:TGID_Z_EN: 1
; COMPUTE_PGM_RSRC2:TIDIG_COMP_CNT: 1
	.section	.text._ZL13mul_mat_vec_qIL9ggml_type14ELi7ELb0ELb0EEvPKvS2_PKi31ggml_cuda_mm_fusion_args_devicePfj15HIP_vector_typeIjLj3EEjjjS8_jjjS8_jjjj,"axG",@progbits,_ZL13mul_mat_vec_qIL9ggml_type14ELi7ELb0ELb0EEvPKvS2_PKi31ggml_cuda_mm_fusion_args_devicePfj15HIP_vector_typeIjLj3EEjjjS8_jjjS8_jjjj,comdat
	.globl	_ZL13mul_mat_vec_qIL9ggml_type14ELi7ELb0ELb0EEvPKvS2_PKi31ggml_cuda_mm_fusion_args_devicePfj15HIP_vector_typeIjLj3EEjjjS8_jjjS8_jjjj ; -- Begin function _ZL13mul_mat_vec_qIL9ggml_type14ELi7ELb0ELb0EEvPKvS2_PKi31ggml_cuda_mm_fusion_args_devicePfj15HIP_vector_typeIjLj3EEjjjS8_jjjS8_jjjj
	.p2align	8
	.type	_ZL13mul_mat_vec_qIL9ggml_type14ELi7ELb0ELb0EEvPKvS2_PKi31ggml_cuda_mm_fusion_args_devicePfj15HIP_vector_typeIjLj3EEjjjS8_jjjS8_jjjj,@function
_ZL13mul_mat_vec_qIL9ggml_type14ELi7ELb0ELb0EEvPKvS2_PKi31ggml_cuda_mm_fusion_args_devicePfj15HIP_vector_typeIjLj3EEjjjS8_jjjS8_jjjj: ; @_ZL13mul_mat_vec_qIL9ggml_type14ELi7ELb0ELb0EEvPKvS2_PKi31ggml_cuda_mm_fusion_args_devicePfj15HIP_vector_typeIjLj3EEjjjS8_jjjS8_jjjj
; %bb.0:
	s_clause 0x5
	s_load_dword s9, s[4:5], 0x40
	s_load_dwordx4 s[0:3], s[4:5], 0x50
	s_load_dword s11, s[4:5], 0x60
	s_load_dwordx4 s[12:15], s[4:5], 0x68
	;; [unrolled: 2-line block ×3, first 2 shown]
	v_mov_b32_e32 v6, 0
	v_mov_b32_e32 v7, 0
	;; [unrolled: 1-line block ×7, first 2 shown]
	s_waitcnt lgkmcnt(0)
	s_lshr_b32 s10, s9, 8
	s_mov_b32 s9, exec_lo
	v_cmpx_gt_u32_e64 s10, v1
	s_cbranch_execz .LBB154_4
; %bb.1:
	s_mul_i32 s13, s13, s7
	v_and_b32_e32 v5, 15, v0
	s_load_dwordx4 s[20:23], s[4:5], 0x0
	s_mul_hi_u32 s27, s13, 36
	s_mul_i32 s26, s13, 36
	s_mul_i32 s17, s17, s8
	v_mad_u64_u32 v[2:3], null, 0x120, v1, s[26:27]
	v_lshrrev_b16 v6, 3, v5
	v_lshrrev_b32_e32 v4, 4, v0
	v_and_b32_e32 v8, 7, v0
	s_mul_hi_u32 s3, s3, s7
	s_mul_hi_u32 s15, s15, s8
	v_and_b32_e32 v6, 0xffff, v6
	v_mad_u64_u32 v[2:3], null, s17, 36, v[2:3]
	v_lshlrev_b32_e32 v7, 3, v4
	s_add_i32 s3, s7, s3
	v_lshl_or_b32 v9, v4, 2, v6
	s_add_i32 s15, s8, s15
	s_mul_i32 s25, s17, 36
	s_lshr_b32 s3, s3, s11
	v_or_b32_e32 v11, v7, v8
	v_lshrrev_b16 v14, 2, v5
	v_mad_u64_u32 v[4:5], null, v9, 36, v[2:3]
	s_mul_hi_u32 s19, s17, 36
	s_lshr_b32 s11, s15, s24
	s_mul_i32 s3, s3, s12
	s_waitcnt lgkmcnt(0)
	s_add_u32 s12, s22, s25
	s_addc_u32 s13, s23, s19
	s_add_u32 s12, s12, s26
	s_addc_u32 s13, s13, s27
	v_lshlrev_b32_e32 v10, 1, v0
	v_lshlrev_b32_e32 v11, 1, v11
	v_mad_u64_u32 v[2:3], null, v9, 36, s[12:13]
	v_add_co_u32 v4, vcc_lo, s22, v4
	s_mul_i32 s0, s0, s6
	v_mov_b32_e32 v12, 0
	v_lshlrev_b32_e32 v13, 1, v6
	v_or_b32_sdwa v14, v7, v14 dst_sel:DWORD dst_unused:UNUSED_PAD src0_sel:DWORD src1_sel:WORD_0
	v_lshlrev_b32_e32 v15, 2, v8
	v_add_co_ci_u32_e64 v5, null, s23, v5, vcc_lo
	v_lshlrev_b32_e32 v16, 3, v1
	v_lshlrev_b32_e32 v17, 1, v10
	;; [unrolled: 1-line block ×4, first 2 shown]
	v_mov_b32_e32 v20, v1
	v_mov_b32_e32 v7, 0
	;; [unrolled: 1-line block ×7, first 2 shown]
	s_mul_i32 s11, s11, s16
	s_add_i32 s3, s3, s0
	s_lshl_b32 s12, s1, 2
	s_add_i32 s0, s11, s3
	s_lshl_b32 s3, s1, 1
	s_mul_i32 s11, s1, 3
	s_mul_i32 s13, s1, 5
	;; [unrolled: 1-line block ×3, first 2 shown]
	s_mov_b32 s15, 0
.LBB154_2:                              ; =>This Inner Loop Header: Depth=1
	v_add_nc_u32_e32 v23, s0, v20
	v_add_nc_u32_e32 v27, s11, v16
	v_add_co_u32 v21, vcc_lo, v4, v15
	v_add_nc_u32_e32 v31, s13, v16
	v_mad_i64_i32 v[23:24], null, 0xd2, v23, s[20:21]
	v_add_co_ci_u32_e64 v22, null, 0, v5, vcc_lo
	v_mad_u64_u32 v[27:28], null, v27, 36, v[2:3]
	v_mad_u64_u32 v[31:32], null, v31, 36, v[2:3]
	v_add_co_u32 v35, vcc_lo, v23, v17
	v_add_co_ci_u32_e64 v36, null, 0, v24, vcc_lo
	v_add_co_u32 v37, vcc_lo, v23, v18
	v_add_co_ci_u32_e64 v38, null, 0, v24, vcc_lo
	s_clause 0x3
	global_load_dword v51, v[4:5], off
	global_load_dword v52, v[4:5], off offset:72
	global_load_dword v53, v[21:22], off offset:4
	;; [unrolled: 1-line block ×3, first 2 shown]
	global_load_dword v55, v[27:28], off
	s_clause 0x1
	global_load_dword v37, v[37:38], off offset:128
	global_load_dword v38, v[35:36], off
	global_load_dword v56, v[31:32], off
	v_add_nc_u32_e32 v25, s1, v16
	v_add_nc_u32_e32 v26, s3, v16
	v_add_nc_u32_e32 v29, s12, v16
	v_add_nc_u32_e32 v33, s16, v16
	v_add_co_u32 v39, vcc_lo, v23, v14
	v_mad_u64_u32 v[21:22], null, v25, 36, v[2:3]
	v_mad_u64_u32 v[25:26], null, v26, 36, v[2:3]
	v_mad_u64_u32 v[29:30], null, v29, 36, v[2:3]
	v_add_co_ci_u32_e64 v40, null, 0, v24, vcc_lo
	v_add_co_u32 v41, vcc_lo, v21, v19
	v_mad_u64_u32 v[33:34], null, v33, 36, v[2:3]
	v_add_co_ci_u32_e64 v42, null, 0, v22, vcc_lo
	v_add_co_u32 v43, vcc_lo, v25, v19
	v_add_co_ci_u32_e64 v44, null, 0, v26, vcc_lo
	v_add_co_u32 v45, vcc_lo, v27, v19
	;; [unrolled: 2-line block ×5, first 2 shown]
	v_add_co_ci_u32_e64 v36, null, 0, v34, vcc_lo
	s_clause 0xc
	global_load_dword v57, v[21:22], off
	global_load_dword v58, v[41:42], off offset:4
	global_load_dword v41, v[41:42], off offset:76
	;; [unrolled: 1-line block ×12, first 2 shown]
	s_clause 0x1
	global_load_sbyte v36, v[39:40], off offset:192
	global_load_sbyte v39, v[39:40], off offset:196
	s_clause 0x8
	global_load_dword v40, v[25:26], off
	global_load_dword v59, v[29:30], off
	;; [unrolled: 1-line block ×3, first 2 shown]
	global_load_dword v25, v[25:26], off offset:72
	global_load_dword v21, v[21:22], off offset:72
	;; [unrolled: 1-line block ×6, first 2 shown]
	global_load_ushort v23, v[23:24], off offset:208
	v_mov_b32_e32 v24, 0
	v_mov_b32_e32 v30, 0
	;; [unrolled: 1-line block ×5, first 2 shown]
	v_add_nc_u32_e32 v20, 1, v20
	v_add_co_u32 v4, vcc_lo, 0x120, v4
	v_add_co_ci_u32_e64 v5, null, 0, v5, vcc_lo
	v_cmp_le_u32_e32 vcc_lo, s10, v20
	v_add_nc_u32_e32 v16, 8, v16
	s_or_b32 s15, vcc_lo, s15
	s_waitcnt vmcnt(27)
	v_ashrrev_i32_e32 v33, v13, v37
	s_waitcnt vmcnt(26)
	v_and_b32_e32 v34, 0xf0f0f0f, v38
	v_lshrrev_b32_e32 v37, 4, v38
	v_lshlrev_b32_e32 v38, 4, v33
	v_and_b32_e32 v37, 0xf0f0f0f, v37
	v_and_or_b32 v34, 0x30303030, v38, v34
	v_and_or_b32 v33, 0x30303030, v33, v37
	v_lshlrev_b16 v37, 8, v34
	v_lshrrev_b32_e32 v38, 16, v34
	v_and_b32_e32 v34, 0x3f00, v34
	v_lshlrev_b16 v61, 8, v33
	v_add_nc_u16 v37, 0xe000, v37
	v_add_nc_u16 v61, 0xe000, v61
	v_or_b32_sdwa v34, v34, v37 dst_sel:DWORD dst_unused:UNUSED_PAD src0_sel:DWORD src1_sel:BYTE_1
	v_lshrrev_b32_e32 v37, 16, v33
	v_and_b32_e32 v33, 0x3f00, v33
	v_add_nc_u16 v34, 0xe000, v34
	v_or_b32_sdwa v33, v33, v61 dst_sel:DWORD dst_unused:UNUSED_PAD src0_sel:DWORD src1_sel:BYTE_1
	v_lshlrev_b16 v61, 8, v38
	v_and_b32_e32 v38, 0x3f00, v38
	v_add_nc_u16 v33, 0xe000, v33
	v_add_nc_u16 v61, 0xe000, v61
	v_or_b32_sdwa v38, v38, v61 dst_sel:DWORD dst_unused:UNUSED_PAD src0_sel:DWORD src1_sel:BYTE_1
	v_lshlrev_b16 v61, 8, v37
	v_and_b32_e32 v37, 0x3f00, v37
	v_add_nc_u16 v38, 0xe000, v38
	v_add_nc_u16 v61, 0xe000, v61
	v_lshlrev_b32_e32 v38, 16, v38
	v_or_b32_sdwa v37, v37, v61 dst_sel:DWORD dst_unused:UNUSED_PAD src0_sel:DWORD src1_sel:BYTE_1
	v_mov_b32_e32 v61, 0
	v_or_b32_sdwa v34, v34, v38 dst_sel:DWORD dst_unused:UNUSED_PAD src0_sel:WORD_0 src1_sel:DWORD
	v_add_nc_u16 v37, 0xe000, v37
	v_mov_b32_e32 v38, 0
	v_dot4c_i32_i8 v24, v34, v53
	v_lshlrev_b32_e32 v37, 16, v37
	v_mov_b32_e32 v53, 0
	s_waitcnt vmcnt(23)
	v_dot4c_i32_i8 v30, v34, v58
	v_mov_b32_e32 v58, 0
	s_waitcnt vmcnt(21)
	v_dot4c_i32_i8 v32, v34, v42
	v_or_b32_sdwa v33, v33, v37 dst_sel:DWORD dst_unused:UNUSED_PAD src0_sel:WORD_0 src1_sel:DWORD
	v_mov_b32_e32 v42, 0
	v_mov_b32_e32 v37, 0
	s_waitcnt vmcnt(19)
	v_dot4c_i32_i8 v38, v34, v44
	s_waitcnt vmcnt(17)
	v_dot4c_i32_i8 v53, v34, v46
	v_dot4c_i32_i8 v29, v33, v54
	v_mov_b32_e32 v54, 0
	v_dot4c_i32_i8 v31, v33, v41
	v_mov_b32_e32 v41, 0
	v_dot4c_i32_i8 v61, v33, v43
	v_mov_b32_e32 v43, 0
	s_waitcnt vmcnt(15)
	v_dot4c_i32_i8 v58, v34, v48
	s_waitcnt vmcnt(13)
	v_dot4c_i32_i8 v42, v34, v50
	v_dot4c_i32_i8 v37, v33, v45
	;; [unrolled: 1-line block ×4, first 2 shown]
	s_waitcnt vmcnt(12)
	v_dot4c_i32_i8 v43, v33, v35
	s_waitcnt vmcnt(11)
	v_mul_lo_u32 v24, v24, v36
	v_mul_lo_u32 v30, v30, v36
	;; [unrolled: 1-line block ×7, first 2 shown]
	s_waitcnt vmcnt(10)
	v_mul_lo_u32 v29, v29, v39
	v_mul_lo_u32 v33, v61, v39
	;; [unrolled: 1-line block ×7, first 2 shown]
	v_cvt_f32_i32_e32 v24, v24
	v_cvt_f32_i32_e32 v32, v32
	;; [unrolled: 1-line block ×14, first 2 shown]
	v_fma_mix_f32 v24, v51, v24, 0 op_sel_hi:[1,0,0]
	v_fma_mix_f32 v30, v57, v30, 0 op_sel_hi:[1,0,0]
	s_waitcnt vmcnt(9)
	v_fma_mix_f32 v32, v40, v32, 0 op_sel_hi:[1,0,0]
	v_fma_mix_f32 v34, v55, v34, 0 op_sel_hi:[1,0,0]
	s_waitcnt vmcnt(8)
	;; [unrolled: 3-line block ×4, first 2 shown]
	v_fma_mix_f32 v25, v25, v33, v32 op_sel_hi:[1,0,0]
	s_waitcnt vmcnt(5)
	v_fma_mix_f32 v21, v21, v31, v30 op_sel_hi:[1,0,0]
	s_waitcnt vmcnt(4)
	;; [unrolled: 2-line block ×6, first 2 shown]
	v_fma_mix_f32 v12, v24, v23, v12 op_sel_hi:[0,1,0]
	v_fma_mix_f32 v11, v21, v23, v11 op_sel_hi:[0,1,0]
	;; [unrolled: 1-line block ×7, first 2 shown]
	s_andn2_b32 exec_lo, exec_lo, s15
	s_cbranch_execnz .LBB154_2
; %bb.3:
	s_or_b32 exec_lo, exec_lo, s15
.LBB154_4:
	s_or_b32 exec_lo, exec_lo, s9
	s_mov_b32 s1, 0
	; wave barrier
	buffer_gl0_inv
	s_mov_b32 s0, exec_lo
	v_cmpx_eq_u32_e32 0, v1
	s_cbranch_execz .LBB154_19
; %bb.5:
	v_mbcnt_lo_u32_b32 v5, -1, 0
	s_load_dwordx2 s[4:5], s[4:5], 0x38
	s_mul_i32 s0, s14, s7
	s_mul_i32 s3, s18, s8
	s_add_i32 s0, s0, s6
	v_xor_b32_e32 v1, 16, v5
	v_xor_b32_e32 v2, 8, v5
	;; [unrolled: 1-line block ×3, first 2 shown]
	s_add_i32 s0, s0, s3
	s_lshl_b64 s[0:1], s[0:1], 2
	v_cmp_gt_i32_e32 vcc_lo, 32, v1
	v_cndmask_b32_e32 v1, v5, v1, vcc_lo
	v_cmp_gt_i32_e32 vcc_lo, 32, v2
	v_lshlrev_b32_e32 v1, 2, v1
	v_cndmask_b32_e32 v2, v5, v2, vcc_lo
	s_waitcnt lgkmcnt(0)
	s_add_u32 s0, s4, s0
	s_addc_u32 s1, s5, s1
	ds_bpermute_b32 v3, v1, v12
	v_lshlrev_b32_e32 v2, 2, v2
	s_waitcnt lgkmcnt(0)
	v_add_f32_e32 v4, v12, v3
	v_xor_b32_e32 v3, 4, v5
	ds_bpermute_b32 v12, v2, v4
	v_cmp_gt_i32_e32 vcc_lo, 32, v3
	v_cndmask_b32_e32 v3, v5, v3, vcc_lo
	v_lshlrev_b32_e32 v3, 2, v3
	s_waitcnt lgkmcnt(0)
	v_add_f32_e32 v12, v4, v12
	v_xor_b32_e32 v4, 2, v5
	ds_bpermute_b32 v13, v3, v12
	v_cmp_gt_i32_e32 vcc_lo, 32, v4
	v_cndmask_b32_e32 v4, v5, v4, vcc_lo
	v_cmp_gt_i32_e32 vcc_lo, 32, v14
	v_lshlrev_b32_e32 v4, 2, v4
	v_cndmask_b32_e32 v5, v5, v14, vcc_lo
	v_cmp_eq_u32_e32 vcc_lo, 0, v0
	v_lshlrev_b32_e32 v5, 2, v5
	s_waitcnt lgkmcnt(0)
	v_add_f32_e32 v12, v12, v13
	ds_bpermute_b32 v13, v4, v12
	s_waitcnt lgkmcnt(0)
	v_add_f32_e32 v12, v12, v13
	ds_bpermute_b32 v13, v5, v12
	s_and_saveexec_b32 s3, vcc_lo
	s_cbranch_execz .LBB154_7
; %bb.6:
	s_waitcnt lgkmcnt(0)
	v_add_f32_e32 v0, v12, v13
	v_mov_b32_e32 v12, 0
	global_store_dword v12, v0, s[0:1]
.LBB154_7:
	s_or_b32 exec_lo, exec_lo, s3
	ds_bpermute_b32 v0, v1, v11
	s_waitcnt lgkmcnt(0)
	v_add_f32_e32 v0, v11, v0
	ds_bpermute_b32 v11, v2, v0
	s_waitcnt lgkmcnt(0)
	v_add_f32_e32 v0, v0, v11
	;; [unrolled: 3-line block ×4, first 2 shown]
	ds_bpermute_b32 v11, v5, v0
	s_and_saveexec_b32 s4, vcc_lo
	s_cbranch_execz .LBB154_9
; %bb.8:
	s_mov_b32 s3, 0
	s_waitcnt lgkmcnt(0)
	v_add_f32_e32 v0, v0, v11
	s_lshl_b64 s[6:7], s[2:3], 2
	v_mov_b32_e32 v11, 0
	s_add_u32 s6, s0, s6
	s_addc_u32 s7, s1, s7
	global_store_dword v11, v0, s[6:7]
.LBB154_9:
	s_or_b32 exec_lo, exec_lo, s4
	ds_bpermute_b32 v0, v1, v10
	s_waitcnt lgkmcnt(0)
	v_add_f32_e32 v0, v10, v0
	ds_bpermute_b32 v10, v2, v0
	s_waitcnt lgkmcnt(0)
	v_add_f32_e32 v0, v0, v10
	;; [unrolled: 3-line block ×4, first 2 shown]
	ds_bpermute_b32 v10, v5, v0
	s_and_saveexec_b32 s3, vcc_lo
	s_cbranch_execz .LBB154_11
; %bb.10:
	s_lshl_b32 s4, s2, 1
	s_mov_b32 s5, 0
	s_waitcnt lgkmcnt(0)
	v_add_f32_e32 v0, v0, v10
	s_lshl_b64 s[4:5], s[4:5], 2
	v_mov_b32_e32 v10, 0
	s_add_u32 s4, s0, s4
	s_addc_u32 s5, s1, s5
	global_store_dword v10, v0, s[4:5]
.LBB154_11:
	s_or_b32 exec_lo, exec_lo, s3
	ds_bpermute_b32 v0, v1, v9
	s_waitcnt lgkmcnt(0)
	v_add_f32_e32 v0, v9, v0
	ds_bpermute_b32 v9, v2, v0
	s_waitcnt lgkmcnt(0)
	v_add_f32_e32 v0, v0, v9
	;; [unrolled: 3-line block ×4, first 2 shown]
	ds_bpermute_b32 v9, v5, v0
	s_and_saveexec_b32 s3, vcc_lo
	s_cbranch_execz .LBB154_13
; %bb.12:
	s_mul_i32 s4, s2, 3
	s_mov_b32 s5, 0
	s_waitcnt lgkmcnt(0)
	v_add_f32_e32 v0, v0, v9
	s_lshl_b64 s[4:5], s[4:5], 2
	v_mov_b32_e32 v9, 0
	s_add_u32 s4, s0, s4
	s_addc_u32 s5, s1, s5
	global_store_dword v9, v0, s[4:5]
.LBB154_13:
	s_or_b32 exec_lo, exec_lo, s3
	ds_bpermute_b32 v0, v1, v8
	s_waitcnt lgkmcnt(0)
	v_add_f32_e32 v0, v8, v0
	ds_bpermute_b32 v8, v2, v0
	s_waitcnt lgkmcnt(0)
	v_add_f32_e32 v0, v0, v8
	;; [unrolled: 3-line block ×4, first 2 shown]
	ds_bpermute_b32 v8, v5, v0
	s_and_saveexec_b32 s3, vcc_lo
	s_cbranch_execz .LBB154_15
; %bb.14:
	s_lshl_b32 s4, s2, 2
	s_mov_b32 s5, 0
	s_waitcnt lgkmcnt(0)
	v_add_f32_e32 v0, v0, v8
	s_lshl_b64 s[4:5], s[4:5], 2
	v_mov_b32_e32 v8, 0
	s_add_u32 s4, s0, s4
	s_addc_u32 s5, s1, s5
	global_store_dword v8, v0, s[4:5]
.LBB154_15:
	s_or_b32 exec_lo, exec_lo, s3
	ds_bpermute_b32 v0, v1, v7
	s_waitcnt lgkmcnt(0)
	v_add_f32_e32 v0, v7, v0
	ds_bpermute_b32 v7, v2, v0
	s_waitcnt lgkmcnt(0)
	v_add_f32_e32 v0, v0, v7
	;; [unrolled: 3-line block ×4, first 2 shown]
	ds_bpermute_b32 v7, v5, v0
	s_and_saveexec_b32 s3, vcc_lo
	s_cbranch_execz .LBB154_17
; %bb.16:
	s_mul_i32 s4, s2, 5
	s_mov_b32 s5, 0
	s_waitcnt lgkmcnt(0)
	v_add_f32_e32 v0, v0, v7
	s_lshl_b64 s[4:5], s[4:5], 2
	v_mov_b32_e32 v7, 0
	s_add_u32 s4, s0, s4
	s_addc_u32 s5, s1, s5
	global_store_dword v7, v0, s[4:5]
.LBB154_17:
	s_or_b32 exec_lo, exec_lo, s3
	ds_bpermute_b32 v0, v1, v6
	s_waitcnt lgkmcnt(0)
	v_add_f32_e32 v0, v6, v0
	ds_bpermute_b32 v1, v2, v0
	s_waitcnt lgkmcnt(0)
	v_add_f32_e32 v0, v0, v1
	;; [unrolled: 3-line block ×4, first 2 shown]
	ds_bpermute_b32 v1, v5, v0
	s_and_b32 exec_lo, exec_lo, vcc_lo
	s_cbranch_execz .LBB154_19
; %bb.18:
	s_mul_i32 s2, s2, 6
	s_mov_b32 s3, 0
	s_waitcnt lgkmcnt(0)
	v_add_f32_e32 v0, v0, v1
	s_lshl_b64 s[2:3], s[2:3], 2
	v_mov_b32_e32 v1, 0
	s_add_u32 s0, s0, s2
	s_addc_u32 s1, s1, s3
	global_store_dword v1, v0, s[0:1]
.LBB154_19:
	s_endpgm
	.section	.rodata,"a",@progbits
	.p2align	6, 0x0
	.amdhsa_kernel _ZL13mul_mat_vec_qIL9ggml_type14ELi7ELb0ELb0EEvPKvS2_PKi31ggml_cuda_mm_fusion_args_devicePfj15HIP_vector_typeIjLj3EEjjjS8_jjjS8_jjjj
		.amdhsa_group_segment_fixed_size 0
		.amdhsa_private_segment_fixed_size 0
		.amdhsa_kernarg_size 144
		.amdhsa_user_sgpr_count 6
		.amdhsa_user_sgpr_private_segment_buffer 1
		.amdhsa_user_sgpr_dispatch_ptr 0
		.amdhsa_user_sgpr_queue_ptr 0
		.amdhsa_user_sgpr_kernarg_segment_ptr 1
		.amdhsa_user_sgpr_dispatch_id 0
		.amdhsa_user_sgpr_flat_scratch_init 0
		.amdhsa_user_sgpr_private_segment_size 0
		.amdhsa_wavefront_size32 1
		.amdhsa_uses_dynamic_stack 0
		.amdhsa_system_sgpr_private_segment_wavefront_offset 0
		.amdhsa_system_sgpr_workgroup_id_x 1
		.amdhsa_system_sgpr_workgroup_id_y 1
		.amdhsa_system_sgpr_workgroup_id_z 1
		.amdhsa_system_sgpr_workgroup_info 0
		.amdhsa_system_vgpr_workitem_id 1
		.amdhsa_next_free_vgpr 62
		.amdhsa_next_free_sgpr 28
		.amdhsa_reserve_vcc 1
		.amdhsa_reserve_flat_scratch 0
		.amdhsa_float_round_mode_32 0
		.amdhsa_float_round_mode_16_64 0
		.amdhsa_float_denorm_mode_32 3
		.amdhsa_float_denorm_mode_16_64 3
		.amdhsa_dx10_clamp 1
		.amdhsa_ieee_mode 1
		.amdhsa_fp16_overflow 0
		.amdhsa_workgroup_processor_mode 1
		.amdhsa_memory_ordered 1
		.amdhsa_forward_progress 1
		.amdhsa_shared_vgpr_count 0
		.amdhsa_exception_fp_ieee_invalid_op 0
		.amdhsa_exception_fp_denorm_src 0
		.amdhsa_exception_fp_ieee_div_zero 0
		.amdhsa_exception_fp_ieee_overflow 0
		.amdhsa_exception_fp_ieee_underflow 0
		.amdhsa_exception_fp_ieee_inexact 0
		.amdhsa_exception_int_div_zero 0
	.end_amdhsa_kernel
	.section	.text._ZL13mul_mat_vec_qIL9ggml_type14ELi7ELb0ELb0EEvPKvS2_PKi31ggml_cuda_mm_fusion_args_devicePfj15HIP_vector_typeIjLj3EEjjjS8_jjjS8_jjjj,"axG",@progbits,_ZL13mul_mat_vec_qIL9ggml_type14ELi7ELb0ELb0EEvPKvS2_PKi31ggml_cuda_mm_fusion_args_devicePfj15HIP_vector_typeIjLj3EEjjjS8_jjjS8_jjjj,comdat
.Lfunc_end154:
	.size	_ZL13mul_mat_vec_qIL9ggml_type14ELi7ELb0ELb0EEvPKvS2_PKi31ggml_cuda_mm_fusion_args_devicePfj15HIP_vector_typeIjLj3EEjjjS8_jjjS8_jjjj, .Lfunc_end154-_ZL13mul_mat_vec_qIL9ggml_type14ELi7ELb0ELb0EEvPKvS2_PKi31ggml_cuda_mm_fusion_args_devicePfj15HIP_vector_typeIjLj3EEjjjS8_jjjS8_jjjj
                                        ; -- End function
	.set _ZL13mul_mat_vec_qIL9ggml_type14ELi7ELb0ELb0EEvPKvS2_PKi31ggml_cuda_mm_fusion_args_devicePfj15HIP_vector_typeIjLj3EEjjjS8_jjjS8_jjjj.num_vgpr, 62
	.set _ZL13mul_mat_vec_qIL9ggml_type14ELi7ELb0ELb0EEvPKvS2_PKi31ggml_cuda_mm_fusion_args_devicePfj15HIP_vector_typeIjLj3EEjjjS8_jjjS8_jjjj.num_agpr, 0
	.set _ZL13mul_mat_vec_qIL9ggml_type14ELi7ELb0ELb0EEvPKvS2_PKi31ggml_cuda_mm_fusion_args_devicePfj15HIP_vector_typeIjLj3EEjjjS8_jjjS8_jjjj.numbered_sgpr, 28
	.set _ZL13mul_mat_vec_qIL9ggml_type14ELi7ELb0ELb0EEvPKvS2_PKi31ggml_cuda_mm_fusion_args_devicePfj15HIP_vector_typeIjLj3EEjjjS8_jjjS8_jjjj.num_named_barrier, 0
	.set _ZL13mul_mat_vec_qIL9ggml_type14ELi7ELb0ELb0EEvPKvS2_PKi31ggml_cuda_mm_fusion_args_devicePfj15HIP_vector_typeIjLj3EEjjjS8_jjjS8_jjjj.private_seg_size, 0
	.set _ZL13mul_mat_vec_qIL9ggml_type14ELi7ELb0ELb0EEvPKvS2_PKi31ggml_cuda_mm_fusion_args_devicePfj15HIP_vector_typeIjLj3EEjjjS8_jjjS8_jjjj.uses_vcc, 1
	.set _ZL13mul_mat_vec_qIL9ggml_type14ELi7ELb0ELb0EEvPKvS2_PKi31ggml_cuda_mm_fusion_args_devicePfj15HIP_vector_typeIjLj3EEjjjS8_jjjS8_jjjj.uses_flat_scratch, 0
	.set _ZL13mul_mat_vec_qIL9ggml_type14ELi7ELb0ELb0EEvPKvS2_PKi31ggml_cuda_mm_fusion_args_devicePfj15HIP_vector_typeIjLj3EEjjjS8_jjjS8_jjjj.has_dyn_sized_stack, 0
	.set _ZL13mul_mat_vec_qIL9ggml_type14ELi7ELb0ELb0EEvPKvS2_PKi31ggml_cuda_mm_fusion_args_devicePfj15HIP_vector_typeIjLj3EEjjjS8_jjjS8_jjjj.has_recursion, 0
	.set _ZL13mul_mat_vec_qIL9ggml_type14ELi7ELb0ELb0EEvPKvS2_PKi31ggml_cuda_mm_fusion_args_devicePfj15HIP_vector_typeIjLj3EEjjjS8_jjjS8_jjjj.has_indirect_call, 0
	.section	.AMDGPU.csdata,"",@progbits
; Kernel info:
; codeLenInByte = 2792
; TotalNumSgprs: 30
; NumVgprs: 62
; ScratchSize: 0
; MemoryBound: 0
; FloatMode: 240
; IeeeMode: 1
; LDSByteSize: 0 bytes/workgroup (compile time only)
; SGPRBlocks: 0
; VGPRBlocks: 7
; NumSGPRsForWavesPerEU: 30
; NumVGPRsForWavesPerEU: 62
; Occupancy: 16
; WaveLimiterHint : 0
; COMPUTE_PGM_RSRC2:SCRATCH_EN: 0
; COMPUTE_PGM_RSRC2:USER_SGPR: 6
; COMPUTE_PGM_RSRC2:TRAP_HANDLER: 0
; COMPUTE_PGM_RSRC2:TGID_X_EN: 1
; COMPUTE_PGM_RSRC2:TGID_Y_EN: 1
; COMPUTE_PGM_RSRC2:TGID_Z_EN: 1
; COMPUTE_PGM_RSRC2:TIDIG_COMP_CNT: 1
	.section	.text._ZL13mul_mat_vec_qIL9ggml_type14ELi8ELb0ELb0EEvPKvS2_PKi31ggml_cuda_mm_fusion_args_devicePfj15HIP_vector_typeIjLj3EEjjjS8_jjjS8_jjjj,"axG",@progbits,_ZL13mul_mat_vec_qIL9ggml_type14ELi8ELb0ELb0EEvPKvS2_PKi31ggml_cuda_mm_fusion_args_devicePfj15HIP_vector_typeIjLj3EEjjjS8_jjjS8_jjjj,comdat
	.globl	_ZL13mul_mat_vec_qIL9ggml_type14ELi8ELb0ELb0EEvPKvS2_PKi31ggml_cuda_mm_fusion_args_devicePfj15HIP_vector_typeIjLj3EEjjjS8_jjjS8_jjjj ; -- Begin function _ZL13mul_mat_vec_qIL9ggml_type14ELi8ELb0ELb0EEvPKvS2_PKi31ggml_cuda_mm_fusion_args_devicePfj15HIP_vector_typeIjLj3EEjjjS8_jjjS8_jjjj
	.p2align	8
	.type	_ZL13mul_mat_vec_qIL9ggml_type14ELi8ELb0ELb0EEvPKvS2_PKi31ggml_cuda_mm_fusion_args_devicePfj15HIP_vector_typeIjLj3EEjjjS8_jjjS8_jjjj,@function
_ZL13mul_mat_vec_qIL9ggml_type14ELi8ELb0ELb0EEvPKvS2_PKi31ggml_cuda_mm_fusion_args_devicePfj15HIP_vector_typeIjLj3EEjjjS8_jjjS8_jjjj: ; @_ZL13mul_mat_vec_qIL9ggml_type14ELi8ELb0ELb0EEvPKvS2_PKi31ggml_cuda_mm_fusion_args_devicePfj15HIP_vector_typeIjLj3EEjjjS8_jjjS8_jjjj
; %bb.0:
	s_clause 0x5
	s_load_dword s9, s[4:5], 0x40
	s_load_dwordx4 s[0:3], s[4:5], 0x50
	s_load_dword s11, s[4:5], 0x60
	s_load_dwordx4 s[12:15], s[4:5], 0x68
	;; [unrolled: 2-line block ×3, first 2 shown]
	v_mov_b32_e32 v6, 0
	v_mov_b32_e32 v7, 0
	;; [unrolled: 1-line block ×8, first 2 shown]
	s_waitcnt lgkmcnt(0)
	s_lshr_b32 s10, s9, 8
	s_mov_b32 s9, exec_lo
	v_cmpx_gt_u32_e64 s10, v1
	s_cbranch_execz .LBB155_4
; %bb.1:
	s_mul_i32 s13, s13, s7
	v_and_b32_e32 v5, 15, v0
	s_load_dwordx4 s[20:23], s[4:5], 0x0
	s_mul_hi_u32 s27, s13, 36
	s_mul_i32 s26, s13, 36
	s_mul_i32 s17, s17, s8
	v_mad_u64_u32 v[2:3], null, 0x120, v1, s[26:27]
	v_lshrrev_b16 v6, 3, v5
	v_lshrrev_b32_e32 v4, 4, v0
	v_and_b32_e32 v9, 7, v0
	s_mul_hi_u32 s3, s3, s7
	s_mul_hi_u32 s15, s15, s8
	v_and_b32_e32 v6, 0xffff, v6
	v_mad_u64_u32 v[2:3], null, s17, 36, v[2:3]
	v_lshlrev_b32_e32 v8, 3, v4
	s_add_i32 s3, s7, s3
	v_lshl_or_b32 v10, v4, 2, v6
	s_add_i32 s15, s8, s15
	s_mul_i32 s25, s17, 36
	s_lshr_b32 s3, s3, s11
	v_or_b32_e32 v12, v8, v9
	v_lshrrev_b16 v13, 2, v5
	v_mad_u64_u32 v[4:5], null, v10, 36, v[2:3]
	s_mul_hi_u32 s19, s17, 36
	s_lshr_b32 s11, s15, s24
	s_mul_i32 s3, s3, s12
	s_waitcnt lgkmcnt(0)
	s_add_u32 s12, s22, s25
	s_addc_u32 s13, s23, s19
	s_add_u32 s12, s12, s26
	s_addc_u32 s13, s13, s27
	v_lshlrev_b32_e32 v11, 1, v0
	v_lshlrev_b32_e32 v12, 1, v12
	v_mad_u64_u32 v[2:3], null, v10, 36, s[12:13]
	v_add_co_u32 v4, vcc_lo, s22, v4
	s_mul_i32 s0, s0, s6
	v_mov_b32_e32 v7, 0
	v_lshlrev_b32_e32 v14, 1, v6
	v_or_b32_sdwa v15, v8, v13 dst_sel:DWORD dst_unused:UNUSED_PAD src0_sel:DWORD src1_sel:WORD_0
	v_lshlrev_b32_e32 v16, 2, v9
	v_add_co_ci_u32_e64 v5, null, s23, v5, vcc_lo
	v_lshlrev_b32_e32 v17, 3, v1
	v_lshlrev_b32_e32 v18, 1, v11
	;; [unrolled: 1-line block ×4, first 2 shown]
	v_mov_b32_e32 v21, v1
	v_mov_b32_e32 v6, 0
	;; [unrolled: 1-line block ×8, first 2 shown]
	s_mul_i32 s11, s11, s16
	s_add_i32 s3, s3, s0
	s_lshl_b32 s12, s1, 2
	s_add_i32 s0, s11, s3
	s_lshl_b32 s3, s1, 1
	s_mul_i32 s11, s1, 3
	s_mul_i32 s13, s1, 5
	;; [unrolled: 1-line block ×4, first 2 shown]
	s_mov_b32 s16, 0
.LBB155_2:                              ; =>This Inner Loop Header: Depth=1
	v_add_nc_u32_e32 v24, s0, v21
	v_add_co_u32 v22, vcc_lo, v4, v16
	v_add_co_ci_u32_e64 v23, null, 0, v5, vcc_lo
	v_mad_i64_i32 v[24:25], null, 0xd2, v24, s[20:21]
	s_clause 0x3
	global_load_dword v56, v[4:5], off
	global_load_dword v57, v[4:5], off offset:72
	global_load_dword v58, v[22:23], off offset:4
	;; [unrolled: 1-line block ×3, first 2 shown]
	v_add_nc_u32_e32 v26, s1, v17
	v_add_nc_u32_e32 v27, s3, v17
	;; [unrolled: 1-line block ×4, first 2 shown]
	v_add_co_u32 v38, vcc_lo, v24, v18
	v_add_co_ci_u32_e64 v39, null, 0, v25, vcc_lo
	v_add_co_u32 v40, vcc_lo, v24, v19
	v_add_co_ci_u32_e64 v41, null, 0, v25, vcc_lo
	v_mad_u64_u32 v[22:23], null, v26, 36, v[2:3]
	v_mad_u64_u32 v[26:27], null, v27, 36, v[2:3]
	global_load_dword v61, v[40:41], off offset:128
	v_add_nc_u32_e32 v32, s13, v17
	v_mad_u64_u32 v[28:29], null, v28, 36, v[2:3]
	v_add_nc_u32_e32 v34, s15, v17
	v_mad_u64_u32 v[30:31], null, v30, 36, v[2:3]
	v_add_co_u32 v42, vcc_lo, v24, v15
	v_add_nc_u32_e32 v36, s17, v17
	v_mad_u64_u32 v[32:33], null, v32, 36, v[2:3]
	v_add_co_ci_u32_e64 v43, null, 0, v25, vcc_lo
	v_add_co_u32 v44, vcc_lo, v22, v20
	v_mad_u64_u32 v[34:35], null, v34, 36, v[2:3]
	v_add_co_ci_u32_e64 v45, null, 0, v23, vcc_lo
	v_add_co_u32 v46, vcc_lo, v26, v20
	;; [unrolled: 3-line block ×3, first 2 shown]
	v_add_co_ci_u32_e64 v49, null, 0, v29, vcc_lo
	v_add_co_u32 v50, vcc_lo, v30, v20
	v_add_co_ci_u32_e64 v51, null, 0, v31, vcc_lo
	v_add_co_u32 v52, vcc_lo, v32, v20
	;; [unrolled: 2-line block ×4, first 2 shown]
	v_add_co_ci_u32_e64 v41, null, 0, v37, vcc_lo
	global_load_dword v60, v[32:33], off
	global_load_dword v38, v[38:39], off
	s_clause 0xd
	global_load_dword v39, v[44:45], off offset:4
	global_load_dword v44, v[44:45], off offset:76
	;; [unrolled: 1-line block ×14, first 2 shown]
	s_clause 0x1
	global_load_sbyte v41, v[42:43], off offset:192
	global_load_sbyte v42, v[42:43], off offset:196
	s_clause 0xc
	global_load_dword v43, v[26:27], off
	global_load_dword v26, v[26:27], off offset:72
	global_load_dword v27, v[22:23], off
	global_load_dword v22, v[22:23], off offset:72
	;; [unrolled: 2-line block ×6, first 2 shown]
	global_load_dword v33, v[36:37], off offset:72
	global_load_ushort v24, v[24:25], off offset:208
	v_add_nc_u32_e32 v21, 1, v21
	v_add_co_u32 v4, vcc_lo, 0x120, v4
	v_add_co_ci_u32_e64 v5, null, 0, v5, vcc_lo
	v_cmp_le_u32_e32 vcc_lo, s10, v21
	v_add_nc_u32_e32 v17, 8, v17
	s_or_b32 s16, vcc_lo, s16
	s_waitcnt vmcnt(32)
	v_ashrrev_i32_e32 v25, v14, v61
	s_waitcnt vmcnt(30)
	v_and_b32_e32 v36, 0xf0f0f0f, v38
	v_lshrrev_b32_e32 v37, 4, v38
	v_lshlrev_b32_e32 v38, 4, v25
	v_and_b32_e32 v37, 0xf0f0f0f, v37
	v_and_or_b32 v36, 0x30303030, v38, v36
	v_and_or_b32 v25, 0x30303030, v25, v37
	v_lshlrev_b16 v37, 8, v36
	v_lshrrev_b32_e32 v38, 16, v36
	v_and_b32_e32 v36, 0x3f00, v36
	v_lshlrev_b16 v61, 8, v25
	v_add_nc_u16 v37, 0xe000, v37
	v_add_nc_u16 v61, 0xe000, v61
	v_or_b32_sdwa v36, v36, v37 dst_sel:DWORD dst_unused:UNUSED_PAD src0_sel:DWORD src1_sel:BYTE_1
	v_lshrrev_b32_e32 v37, 16, v25
	v_and_b32_e32 v25, 0x3f00, v25
	v_add_nc_u16 v36, 0xe000, v36
	v_or_b32_sdwa v25, v25, v61 dst_sel:DWORD dst_unused:UNUSED_PAD src0_sel:DWORD src1_sel:BYTE_1
	v_lshlrev_b16 v61, 8, v38
	v_and_b32_e32 v38, 0x3f00, v38
	v_add_nc_u16 v25, 0xe000, v25
	v_add_nc_u16 v61, 0xe000, v61
	v_or_b32_sdwa v38, v38, v61 dst_sel:DWORD dst_unused:UNUSED_PAD src0_sel:DWORD src1_sel:BYTE_1
	v_lshlrev_b16 v61, 8, v37
	v_and_b32_e32 v37, 0x3f00, v37
	v_add_nc_u16 v38, 0xe000, v38
	v_add_nc_u16 v61, 0xe000, v61
	v_lshlrev_b32_e32 v38, 16, v38
	v_or_b32_sdwa v37, v37, v61 dst_sel:DWORD dst_unused:UNUSED_PAD src0_sel:DWORD src1_sel:BYTE_1
	v_mov_b32_e32 v61, 0
	v_or_b32_sdwa v36, v36, v38 dst_sel:DWORD dst_unused:UNUSED_PAD src0_sel:WORD_0 src1_sel:DWORD
	v_add_nc_u16 v37, 0xe000, v37
	v_mov_b32_e32 v38, 0
	v_dot4c_i32_i8 v61, v36, v58
	v_lshlrev_b32_e32 v37, 16, v37
	v_mov_b32_e32 v58, 0
	v_or_b32_sdwa v25, v25, v37 dst_sel:DWORD dst_unused:UNUSED_PAD src0_sel:WORD_0 src1_sel:DWORD
	v_mov_b32_e32 v37, 0
	v_dot4c_i32_i8 v38, v25, v59
	s_waitcnt vmcnt(29)
	v_dot4c_i32_i8 v37, v36, v39
	v_mov_b32_e32 v39, 0
	v_mov_b32_e32 v59, 0
	s_waitcnt vmcnt(28)
	v_dot4c_i32_i8 v58, v25, v44
	v_mov_b32_e32 v44, 0
	s_waitcnt vmcnt(14)
	v_mul_lo_u32 v38, v38, v42
	v_dot4c_i32_i8 v39, v25, v46
	v_mov_b32_e32 v46, 0
	v_dot4c_i32_i8 v59, v36, v45
	v_mov_b32_e32 v45, 0
	;; [unrolled: 2-line block ×9, first 2 shown]
	v_dot4c_i32_i8 v52, v36, v55
	v_mul_lo_u32 v36, v37, v41
	v_dot4c_i32_i8 v51, v25, v54
	v_mul_lo_u32 v44, v44, v41
	;; [unrolled: 2-line block ×3, first 2 shown]
	v_mul_lo_u32 v40, v59, v41
	v_mul_lo_u32 v46, v46, v41
	;; [unrolled: 1-line block ×12, first 2 shown]
	v_cvt_f32_i32_e32 v36, v36
	v_cvt_f32_i32_e32 v25, v25
	;; [unrolled: 1-line block ×16, first 2 shown]
	v_fma_mix_f32 v25, v56, v25, 0 op_sel_hi:[1,0,0]
	s_waitcnt vmcnt(11)
	v_fma_mix_f32 v27, v27, v36, 0 op_sel_hi:[1,0,0]
	v_fma_mix_f32 v36, v43, v40, 0 op_sel_hi:[1,0,0]
	s_waitcnt vmcnt(7)
	v_fma_mix_f32 v31, v31, v44, 0 op_sel_hi:[1,0,0]
	v_fma_mix_f32 v23, v23, v46, 0 op_sel_hi:[1,0,0]
	;; [unrolled: 1-line block ×3, first 2 shown]
	s_waitcnt vmcnt(5)
	v_fma_mix_f32 v29, v29, v50, 0 op_sel_hi:[1,0,0]
	s_waitcnt vmcnt(3)
	v_fma_mix_f32 v35, v35, v41, 0 op_sel_hi:[1,0,0]
	v_fma_mix_f32 v22, v22, v37, v27 op_sel_hi:[1,0,0]
	;; [unrolled: 1-line block ×5, first 2 shown]
	s_waitcnt vmcnt(2)
	v_fma_mix_f32 v28, v32, v49, v40 op_sel_hi:[1,0,0]
	v_fma_mix_f32 v23, v30, v47, v23 op_sel_hi:[1,0,0]
	s_waitcnt vmcnt(1)
	v_fma_mix_f32 v30, v33, v51, v35 op_sel_hi:[1,0,0]
	v_fma_mix_f32 v29, v34, v42, v29 op_sel_hi:[1,0,0]
	;; [unrolled: 3-line block ×3, first 2 shown]
	v_fma_mix_f32 v11, v26, v24, v11 op_sel_hi:[0,1,0]
	v_fma_mix_f32 v10, v27, v24, v10 op_sel_hi:[0,1,0]
	;; [unrolled: 1-line block ×6, first 2 shown]
	s_andn2_b32 exec_lo, exec_lo, s16
	s_cbranch_execnz .LBB155_2
; %bb.3:
	s_or_b32 exec_lo, exec_lo, s16
.LBB155_4:
	s_or_b32 exec_lo, exec_lo, s9
	s_mov_b32 s1, 0
	; wave barrier
	buffer_gl0_inv
	s_mov_b32 s0, exec_lo
	v_cmpx_eq_u32_e32 0, v1
	s_cbranch_execz .LBB155_21
; %bb.5:
	v_mbcnt_lo_u32_b32 v5, -1, 0
	s_load_dwordx2 s[4:5], s[4:5], 0x38
	s_mul_i32 s0, s14, s7
	s_mul_i32 s3, s18, s8
	s_add_i32 s0, s0, s6
	v_xor_b32_e32 v1, 16, v5
	v_xor_b32_e32 v2, 8, v5
	;; [unrolled: 1-line block ×3, first 2 shown]
	s_add_i32 s0, s0, s3
	s_lshl_b64 s[0:1], s[0:1], 2
	v_cmp_gt_i32_e32 vcc_lo, 32, v1
	v_cndmask_b32_e32 v1, v5, v1, vcc_lo
	v_cmp_gt_i32_e32 vcc_lo, 32, v2
	v_lshlrev_b32_e32 v1, 2, v1
	v_cndmask_b32_e32 v2, v5, v2, vcc_lo
	s_waitcnt lgkmcnt(0)
	s_add_u32 s0, s4, s0
	s_addc_u32 s1, s5, s1
	ds_bpermute_b32 v3, v1, v13
	v_lshlrev_b32_e32 v2, 2, v2
	s_waitcnt lgkmcnt(0)
	v_add_f32_e32 v4, v13, v3
	v_xor_b32_e32 v3, 4, v5
	ds_bpermute_b32 v13, v2, v4
	v_cmp_gt_i32_e32 vcc_lo, 32, v3
	v_cndmask_b32_e32 v3, v5, v3, vcc_lo
	v_lshlrev_b32_e32 v3, 2, v3
	s_waitcnt lgkmcnt(0)
	v_add_f32_e32 v13, v4, v13
	v_xor_b32_e32 v4, 2, v5
	ds_bpermute_b32 v14, v3, v13
	v_cmp_gt_i32_e32 vcc_lo, 32, v4
	v_cndmask_b32_e32 v4, v5, v4, vcc_lo
	v_cmp_gt_i32_e32 vcc_lo, 32, v15
	v_lshlrev_b32_e32 v4, 2, v4
	v_cndmask_b32_e32 v5, v5, v15, vcc_lo
	v_cmp_eq_u32_e32 vcc_lo, 0, v0
	v_lshlrev_b32_e32 v5, 2, v5
	s_waitcnt lgkmcnt(0)
	v_add_f32_e32 v13, v13, v14
	ds_bpermute_b32 v14, v4, v13
	s_waitcnt lgkmcnt(0)
	v_add_f32_e32 v13, v13, v14
	ds_bpermute_b32 v14, v5, v13
	s_and_saveexec_b32 s3, vcc_lo
	s_cbranch_execz .LBB155_7
; %bb.6:
	s_waitcnt lgkmcnt(0)
	v_add_f32_e32 v0, v13, v14
	v_mov_b32_e32 v13, 0
	global_store_dword v13, v0, s[0:1]
.LBB155_7:
	s_or_b32 exec_lo, exec_lo, s3
	ds_bpermute_b32 v0, v1, v12
	s_waitcnt lgkmcnt(0)
	v_add_f32_e32 v0, v12, v0
	ds_bpermute_b32 v12, v2, v0
	s_waitcnt lgkmcnt(0)
	v_add_f32_e32 v0, v0, v12
	;; [unrolled: 3-line block ×4, first 2 shown]
	ds_bpermute_b32 v12, v5, v0
	s_and_saveexec_b32 s4, vcc_lo
	s_cbranch_execz .LBB155_9
; %bb.8:
	s_mov_b32 s3, 0
	s_waitcnt lgkmcnt(0)
	v_add_f32_e32 v0, v0, v12
	s_lshl_b64 s[6:7], s[2:3], 2
	v_mov_b32_e32 v12, 0
	s_add_u32 s6, s0, s6
	s_addc_u32 s7, s1, s7
	global_store_dword v12, v0, s[6:7]
.LBB155_9:
	s_or_b32 exec_lo, exec_lo, s4
	ds_bpermute_b32 v0, v1, v11
	s_waitcnt lgkmcnt(0)
	v_add_f32_e32 v0, v11, v0
	ds_bpermute_b32 v11, v2, v0
	s_waitcnt lgkmcnt(0)
	v_add_f32_e32 v0, v0, v11
	;; [unrolled: 3-line block ×4, first 2 shown]
	ds_bpermute_b32 v11, v5, v0
	s_and_saveexec_b32 s3, vcc_lo
	s_cbranch_execz .LBB155_11
; %bb.10:
	s_lshl_b32 s4, s2, 1
	s_mov_b32 s5, 0
	s_waitcnt lgkmcnt(0)
	v_add_f32_e32 v0, v0, v11
	s_lshl_b64 s[4:5], s[4:5], 2
	v_mov_b32_e32 v11, 0
	s_add_u32 s4, s0, s4
	s_addc_u32 s5, s1, s5
	global_store_dword v11, v0, s[4:5]
.LBB155_11:
	s_or_b32 exec_lo, exec_lo, s3
	ds_bpermute_b32 v0, v1, v10
	s_waitcnt lgkmcnt(0)
	v_add_f32_e32 v0, v10, v0
	ds_bpermute_b32 v10, v2, v0
	s_waitcnt lgkmcnt(0)
	v_add_f32_e32 v0, v0, v10
	;; [unrolled: 3-line block ×4, first 2 shown]
	ds_bpermute_b32 v10, v5, v0
	s_and_saveexec_b32 s3, vcc_lo
	s_cbranch_execz .LBB155_13
; %bb.12:
	s_mul_i32 s4, s2, 3
	s_mov_b32 s5, 0
	s_waitcnt lgkmcnt(0)
	v_add_f32_e32 v0, v0, v10
	s_lshl_b64 s[4:5], s[4:5], 2
	v_mov_b32_e32 v10, 0
	s_add_u32 s4, s0, s4
	s_addc_u32 s5, s1, s5
	global_store_dword v10, v0, s[4:5]
.LBB155_13:
	s_or_b32 exec_lo, exec_lo, s3
	ds_bpermute_b32 v0, v1, v9
	s_waitcnt lgkmcnt(0)
	v_add_f32_e32 v0, v9, v0
	ds_bpermute_b32 v9, v2, v0
	s_waitcnt lgkmcnt(0)
	v_add_f32_e32 v0, v0, v9
	;; [unrolled: 3-line block ×4, first 2 shown]
	ds_bpermute_b32 v9, v5, v0
	s_and_saveexec_b32 s3, vcc_lo
	s_cbranch_execz .LBB155_15
; %bb.14:
	s_lshl_b32 s4, s2, 2
	s_mov_b32 s5, 0
	s_waitcnt lgkmcnt(0)
	v_add_f32_e32 v0, v0, v9
	s_lshl_b64 s[4:5], s[4:5], 2
	v_mov_b32_e32 v9, 0
	s_add_u32 s4, s0, s4
	s_addc_u32 s5, s1, s5
	global_store_dword v9, v0, s[4:5]
.LBB155_15:
	s_or_b32 exec_lo, exec_lo, s3
	ds_bpermute_b32 v0, v1, v8
	s_waitcnt lgkmcnt(0)
	v_add_f32_e32 v0, v8, v0
	ds_bpermute_b32 v8, v2, v0
	s_waitcnt lgkmcnt(0)
	v_add_f32_e32 v0, v0, v8
	;; [unrolled: 3-line block ×4, first 2 shown]
	ds_bpermute_b32 v8, v5, v0
	s_and_saveexec_b32 s3, vcc_lo
	s_cbranch_execz .LBB155_17
; %bb.16:
	s_mul_i32 s4, s2, 5
	s_mov_b32 s5, 0
	s_waitcnt lgkmcnt(0)
	v_add_f32_e32 v0, v0, v8
	s_lshl_b64 s[4:5], s[4:5], 2
	v_mov_b32_e32 v8, 0
	s_add_u32 s4, s0, s4
	s_addc_u32 s5, s1, s5
	global_store_dword v8, v0, s[4:5]
.LBB155_17:
	s_or_b32 exec_lo, exec_lo, s3
	ds_bpermute_b32 v0, v1, v7
	s_waitcnt lgkmcnt(0)
	v_add_f32_e32 v0, v7, v0
	ds_bpermute_b32 v7, v2, v0
	s_waitcnt lgkmcnt(0)
	v_add_f32_e32 v0, v0, v7
	;; [unrolled: 3-line block ×4, first 2 shown]
	ds_bpermute_b32 v7, v5, v0
	s_and_saveexec_b32 s3, vcc_lo
	s_cbranch_execz .LBB155_19
; %bb.18:
	s_mul_i32 s4, s2, 6
	s_mov_b32 s5, 0
	s_waitcnt lgkmcnt(0)
	v_add_f32_e32 v0, v0, v7
	s_lshl_b64 s[4:5], s[4:5], 2
	v_mov_b32_e32 v7, 0
	s_add_u32 s4, s0, s4
	s_addc_u32 s5, s1, s5
	global_store_dword v7, v0, s[4:5]
.LBB155_19:
	s_or_b32 exec_lo, exec_lo, s3
	ds_bpermute_b32 v0, v1, v6
	s_waitcnt lgkmcnt(0)
	v_add_f32_e32 v0, v6, v0
	ds_bpermute_b32 v1, v2, v0
	s_waitcnt lgkmcnt(0)
	v_add_f32_e32 v0, v0, v1
	;; [unrolled: 3-line block ×4, first 2 shown]
	ds_bpermute_b32 v1, v5, v0
	s_and_b32 exec_lo, exec_lo, vcc_lo
	s_cbranch_execz .LBB155_21
; %bb.20:
	s_mul_i32 s2, s2, 7
	s_mov_b32 s3, 0
	s_waitcnt lgkmcnt(0)
	v_add_f32_e32 v0, v0, v1
	s_lshl_b64 s[2:3], s[2:3], 2
	v_mov_b32_e32 v1, 0
	s_add_u32 s0, s0, s2
	s_addc_u32 s1, s1, s3
	global_store_dword v1, v0, s[0:1]
.LBB155_21:
	s_endpgm
	.section	.rodata,"a",@progbits
	.p2align	6, 0x0
	.amdhsa_kernel _ZL13mul_mat_vec_qIL9ggml_type14ELi8ELb0ELb0EEvPKvS2_PKi31ggml_cuda_mm_fusion_args_devicePfj15HIP_vector_typeIjLj3EEjjjS8_jjjS8_jjjj
		.amdhsa_group_segment_fixed_size 0
		.amdhsa_private_segment_fixed_size 0
		.amdhsa_kernarg_size 144
		.amdhsa_user_sgpr_count 6
		.amdhsa_user_sgpr_private_segment_buffer 1
		.amdhsa_user_sgpr_dispatch_ptr 0
		.amdhsa_user_sgpr_queue_ptr 0
		.amdhsa_user_sgpr_kernarg_segment_ptr 1
		.amdhsa_user_sgpr_dispatch_id 0
		.amdhsa_user_sgpr_flat_scratch_init 0
		.amdhsa_user_sgpr_private_segment_size 0
		.amdhsa_wavefront_size32 1
		.amdhsa_uses_dynamic_stack 0
		.amdhsa_system_sgpr_private_segment_wavefront_offset 0
		.amdhsa_system_sgpr_workgroup_id_x 1
		.amdhsa_system_sgpr_workgroup_id_y 1
		.amdhsa_system_sgpr_workgroup_id_z 1
		.amdhsa_system_sgpr_workgroup_info 0
		.amdhsa_system_vgpr_workitem_id 1
		.amdhsa_next_free_vgpr 62
		.amdhsa_next_free_sgpr 28
		.amdhsa_reserve_vcc 1
		.amdhsa_reserve_flat_scratch 0
		.amdhsa_float_round_mode_32 0
		.amdhsa_float_round_mode_16_64 0
		.amdhsa_float_denorm_mode_32 3
		.amdhsa_float_denorm_mode_16_64 3
		.amdhsa_dx10_clamp 1
		.amdhsa_ieee_mode 1
		.amdhsa_fp16_overflow 0
		.amdhsa_workgroup_processor_mode 1
		.amdhsa_memory_ordered 1
		.amdhsa_forward_progress 1
		.amdhsa_shared_vgpr_count 0
		.amdhsa_exception_fp_ieee_invalid_op 0
		.amdhsa_exception_fp_denorm_src 0
		.amdhsa_exception_fp_ieee_div_zero 0
		.amdhsa_exception_fp_ieee_overflow 0
		.amdhsa_exception_fp_ieee_underflow 0
		.amdhsa_exception_fp_ieee_inexact 0
		.amdhsa_exception_int_div_zero 0
	.end_amdhsa_kernel
	.section	.text._ZL13mul_mat_vec_qIL9ggml_type14ELi8ELb0ELb0EEvPKvS2_PKi31ggml_cuda_mm_fusion_args_devicePfj15HIP_vector_typeIjLj3EEjjjS8_jjjS8_jjjj,"axG",@progbits,_ZL13mul_mat_vec_qIL9ggml_type14ELi8ELb0ELb0EEvPKvS2_PKi31ggml_cuda_mm_fusion_args_devicePfj15HIP_vector_typeIjLj3EEjjjS8_jjjS8_jjjj,comdat
.Lfunc_end155:
	.size	_ZL13mul_mat_vec_qIL9ggml_type14ELi8ELb0ELb0EEvPKvS2_PKi31ggml_cuda_mm_fusion_args_devicePfj15HIP_vector_typeIjLj3EEjjjS8_jjjS8_jjjj, .Lfunc_end155-_ZL13mul_mat_vec_qIL9ggml_type14ELi8ELb0ELb0EEvPKvS2_PKi31ggml_cuda_mm_fusion_args_devicePfj15HIP_vector_typeIjLj3EEjjjS8_jjjS8_jjjj
                                        ; -- End function
	.set _ZL13mul_mat_vec_qIL9ggml_type14ELi8ELb0ELb0EEvPKvS2_PKi31ggml_cuda_mm_fusion_args_devicePfj15HIP_vector_typeIjLj3EEjjjS8_jjjS8_jjjj.num_vgpr, 62
	.set _ZL13mul_mat_vec_qIL9ggml_type14ELi8ELb0ELb0EEvPKvS2_PKi31ggml_cuda_mm_fusion_args_devicePfj15HIP_vector_typeIjLj3EEjjjS8_jjjS8_jjjj.num_agpr, 0
	.set _ZL13mul_mat_vec_qIL9ggml_type14ELi8ELb0ELb0EEvPKvS2_PKi31ggml_cuda_mm_fusion_args_devicePfj15HIP_vector_typeIjLj3EEjjjS8_jjjS8_jjjj.numbered_sgpr, 28
	.set _ZL13mul_mat_vec_qIL9ggml_type14ELi8ELb0ELb0EEvPKvS2_PKi31ggml_cuda_mm_fusion_args_devicePfj15HIP_vector_typeIjLj3EEjjjS8_jjjS8_jjjj.num_named_barrier, 0
	.set _ZL13mul_mat_vec_qIL9ggml_type14ELi8ELb0ELb0EEvPKvS2_PKi31ggml_cuda_mm_fusion_args_devicePfj15HIP_vector_typeIjLj3EEjjjS8_jjjS8_jjjj.private_seg_size, 0
	.set _ZL13mul_mat_vec_qIL9ggml_type14ELi8ELb0ELb0EEvPKvS2_PKi31ggml_cuda_mm_fusion_args_devicePfj15HIP_vector_typeIjLj3EEjjjS8_jjjS8_jjjj.uses_vcc, 1
	.set _ZL13mul_mat_vec_qIL9ggml_type14ELi8ELb0ELb0EEvPKvS2_PKi31ggml_cuda_mm_fusion_args_devicePfj15HIP_vector_typeIjLj3EEjjjS8_jjjS8_jjjj.uses_flat_scratch, 0
	.set _ZL13mul_mat_vec_qIL9ggml_type14ELi8ELb0ELb0EEvPKvS2_PKi31ggml_cuda_mm_fusion_args_devicePfj15HIP_vector_typeIjLj3EEjjjS8_jjjS8_jjjj.has_dyn_sized_stack, 0
	.set _ZL13mul_mat_vec_qIL9ggml_type14ELi8ELb0ELb0EEvPKvS2_PKi31ggml_cuda_mm_fusion_args_devicePfj15HIP_vector_typeIjLj3EEjjjS8_jjjS8_jjjj.has_recursion, 0
	.set _ZL13mul_mat_vec_qIL9ggml_type14ELi8ELb0ELb0EEvPKvS2_PKi31ggml_cuda_mm_fusion_args_devicePfj15HIP_vector_typeIjLj3EEjjjS8_jjjS8_jjjj.has_indirect_call, 0
	.section	.AMDGPU.csdata,"",@progbits
; Kernel info:
; codeLenInByte = 3012
; TotalNumSgprs: 30
; NumVgprs: 62
; ScratchSize: 0
; MemoryBound: 0
; FloatMode: 240
; IeeeMode: 1
; LDSByteSize: 0 bytes/workgroup (compile time only)
; SGPRBlocks: 0
; VGPRBlocks: 7
; NumSGPRsForWavesPerEU: 30
; NumVGPRsForWavesPerEU: 62
; Occupancy: 16
; WaveLimiterHint : 0
; COMPUTE_PGM_RSRC2:SCRATCH_EN: 0
; COMPUTE_PGM_RSRC2:USER_SGPR: 6
; COMPUTE_PGM_RSRC2:TRAP_HANDLER: 0
; COMPUTE_PGM_RSRC2:TGID_X_EN: 1
; COMPUTE_PGM_RSRC2:TGID_Y_EN: 1
; COMPUTE_PGM_RSRC2:TGID_Z_EN: 1
; COMPUTE_PGM_RSRC2:TIDIG_COMP_CNT: 1
	.section	.text._ZL17mul_mat_vec_q_moeIL9ggml_type16ELi2EEvPKvS2_PKiPfj15HIP_vector_typeIjLj3EEjjjjjjjjj,"axG",@progbits,_ZL17mul_mat_vec_q_moeIL9ggml_type16ELi2EEvPKvS2_PKiPfj15HIP_vector_typeIjLj3EEjjjjjjjjj,comdat
	.globl	_ZL17mul_mat_vec_q_moeIL9ggml_type16ELi2EEvPKvS2_PKiPfj15HIP_vector_typeIjLj3EEjjjjjjjjj ; -- Begin function _ZL17mul_mat_vec_q_moeIL9ggml_type16ELi2EEvPKvS2_PKiPfj15HIP_vector_typeIjLj3EEjjjjjjjjj
	.p2align	8
	.type	_ZL17mul_mat_vec_q_moeIL9ggml_type16ELi2EEvPKvS2_PKiPfj15HIP_vector_typeIjLj3EEjjjjjjjjj,@function
_ZL17mul_mat_vec_q_moeIL9ggml_type16ELi2EEvPKvS2_PKiPfj15HIP_vector_typeIjLj3EEjjjjjjjjj: ; @_ZL17mul_mat_vec_q_moeIL9ggml_type16ELi2EEvPKvS2_PKiPfj15HIP_vector_typeIjLj3EEjjjjjjjjj
; %bb.0:
	s_load_dwordx8 s[16:23], s[4:5], 0x30
	s_mov_b32 s0, exec_lo
	s_waitcnt lgkmcnt(0)
	v_cmpx_gt_u32_e64 s23, v1
	s_cbranch_execz .LBB156_7
; %bb.1:
	s_clause 0x2
	s_load_dword s1, s[4:5], 0x20
	s_load_dword s0, s[4:5], 0x50
	s_load_dwordx8 s[8:15], s[4:5], 0x0
	v_lshrrev_b32_e32 v12, 3, v0
	v_mov_b32_e32 v11, 0
	v_mov_b32_e32 v13, 0
	s_mov_b32 s2, s7
	s_lshl_b32 s3, s6, 1
	s_mov_b32 s6, exec_lo
	s_waitcnt lgkmcnt(0)
	s_lshr_b32 s7, s1, 8
	v_cmpx_gt_u32_e64 s7, v12
	s_cbranch_execz .LBB156_5
; %bb.2:
	v_mad_u64_u32 v[5:6], null, s0, v1, s[2:3]
	v_mov_b32_e32 v6, 0
	s_load_dwordx4 s[24:27], s[4:5], 0x24
	v_lshlrev_b32_e32 v7, 1, v0
	v_mov_b32_e32 v15, 3
	v_mov_b32_e32 v13, 0
	s_mov_b32 s4, 0
	v_lshlrev_b64 v[2:3], 2, v[5:6]
	v_lshrrev_b32_e32 v5, 3, v0
	v_add_co_u32 v2, vcc_lo, s12, v2
	v_add_co_ci_u32_e64 v3, null, s13, v3, vcc_lo
	global_load_dword v4, v[2:3], off
	v_mul_lo_u32 v2, s18, v1
	s_waitcnt lgkmcnt(0)
	s_mul_hi_u32 s0, s24, s2
	s_add_i32 s0, s2, s0
	s_lshr_b32 s0, s0, s25
	s_mul_i32 s0, s0, s26
	v_mad_u64_u32 v[2:3], null, v2, 36, 0
	s_sub_i32 s0, s2, s0
	s_mul_i32 s0, s0, s21
	v_mad_u64_u32 v[2:3], null, 0x120, v5, v[2:3]
	v_and_b32_e32 v5, 7, v0
	v_mad_u64_u32 v[2:3], null, s0, 36, v[2:3]
	s_add_i32 s0, s3, 1
	v_mad_u64_u32 v[2:3], null, v5, 36, v[2:3]
	v_and_b32_e32 v5, 14, v7
	v_lshlrev_b32_e32 v5, 1, v5
	v_add_co_u32 v2, vcc_lo, s10, v2
	v_add_co_ci_u32_e64 v3, null, s11, v3, vcc_lo
	v_lshlrev_b32_e32 v14, 1, v5
	v_add_co_u32 v7, vcc_lo, v2, 32
	v_add_co_ci_u32_e64 v8, null, 0, v3, vcc_lo
	s_waitcnt vmcnt(0)
	v_mul_lo_u32 v4, v4, s20
	v_mad_u64_u32 v[9:10], null, s3, s17, v[4:5]
	v_mad_u64_u32 v[10:11], null, s17, s0, v[4:5]
	v_mov_b32_e32 v11, 0
.LBB156_3:                              ; =>This Inner Loop Header: Depth=1
	v_add_nc_u32_e32 v16, v9, v12
	v_add_nc_u32_e32 v17, v10, v12
	global_load_dwordx4 v[2:5], v[7:8], off offset:-32
	s_getpc_b64 s[0:1]
	s_add_u32 s0, s0, _ZL11iq2xxs_grid@rel32@lo+4
	s_addc_u32 s1, s1, _ZL11iq2xxs_grid@rel32@hi+12
	v_add_nc_u32_e32 v12, 4, v12
	v_mad_i64_i32 v[18:19], null, 0x42, v16, s[8:9]
	v_mad_i64_i32 v[16:17], null, 0x42, v17, s[8:9]
	v_add_co_u32 v20, vcc_lo, v18, v14
	v_add_co_ci_u32_e64 v21, null, 0, v19, vcc_lo
	v_add_co_u32 v22, vcc_lo, v16, v14
	v_add_co_ci_u32_e64 v23, null, 0, v17, vcc_lo
	s_clause 0x3
	global_load_dwordx2 v[24:25], v[20:21], off offset:2
	global_load_dwordx2 v[21:22], v[22:23], off offset:2
	global_load_ushort v16, v[16:17], off
	global_load_ushort v17, v[18:19], off
	s_waitcnt vmcnt(4)
	v_cvt_f32_f16_e32 v2, v2
	s_waitcnt vmcnt(3)
	v_lshlrev_b32_sdwa v18, v15, v24 dst_sel:DWORD dst_unused:UNUSED_PAD src0_sel:DWORD src1_sel:BYTE_0
	v_lshlrev_b32_sdwa v20, v15, v24 dst_sel:DWORD dst_unused:UNUSED_PAD src0_sel:DWORD src1_sel:BYTE_1
	v_lshlrev_b32_sdwa v23, v15, v24 dst_sel:DWORD dst_unused:UNUSED_PAD src0_sel:DWORD src1_sel:BYTE_2
	v_lshlrev_b32_sdwa v26, v15, v24 dst_sel:DWORD dst_unused:UNUSED_PAD src0_sel:DWORD src1_sel:BYTE_3
	s_waitcnt vmcnt(2)
	v_lshlrev_b32_sdwa v28, v15, v21 dst_sel:DWORD dst_unused:UNUSED_PAD src0_sel:DWORD src1_sel:BYTE_0
	v_lshlrev_b32_sdwa v30, v15, v21 dst_sel:DWORD dst_unused:UNUSED_PAD src0_sel:DWORD src1_sel:BYTE_1
	v_lshlrev_b32_sdwa v32, v15, v21 dst_sel:DWORD dst_unused:UNUSED_PAD src0_sel:DWORD src1_sel:BYTE_2
	v_lshlrev_b32_sdwa v34, v15, v21 dst_sel:DWORD dst_unused:UNUSED_PAD src0_sel:DWORD src1_sel:BYTE_3
	s_clause 0x7
	global_load_dwordx2 v[18:19], v18, s[0:1]
	global_load_dwordx2 v[20:21], v20, s[0:1]
	;; [unrolled: 1-line block ×8, first 2 shown]
	v_and_b32_e32 v36, 0xff, v25
	v_bfe_u32 v37, v25, 7, 8
	v_bfe_u32 v39, v25, 21, 8
	v_and_b32_e32 v40, 0xff, v22
	v_bfe_u32 v38, v25, 14, 8
	v_bcnt_u32_b32 v44, v36, 0
	v_bcnt_u32_b32 v45, v37, 0
	;; [unrolled: 1-line block ×4, first 2 shown]
	v_bfe_u32 v43, v22, 21, 8
	v_and_b32_e32 v44, 1, v44
	v_and_b32_e32 v45, 1, v45
	;; [unrolled: 1-line block ×4, first 2 shown]
	v_bcnt_u32_b32 v46, v38, 0
	v_lshlrev_b32_e32 v44, 7, v44
	v_lshlrev_b32_e32 v45, 7, v45
	;; [unrolled: 1-line block ×3, first 2 shown]
	v_bcnt_u32_b32 v51, v43, 0
	v_lshlrev_b32_e32 v48, 7, v48
	v_xor_b32_e32 v36, v44, v36
	v_xor_b32_e32 v37, v45, v37
	;; [unrolled: 1-line block ×3, first 2 shown]
	v_and_b32_e32 v46, 1, v46
	v_and_b32_e32 v51, 1, v51
	v_mul_lo_u32 v36, 0x1010101, v36
	v_mul_lo_u32 v37, 0x1010101, v37
	v_xor_b32_e32 v40, v48, v40
	v_lshlrev_b32_e32 v46, 7, v46
	v_lshlrev_b32_e32 v51, 7, v51
	v_mul_lo_u32 v39, 0x1010101, v39
	v_bfe_u32 v41, v22, 7, 8
	v_mul_lo_u32 v40, 0x1010101, v40
	v_and_b32_e32 v44, 0x8040201, v36
	v_and_b32_e32 v47, 0x80402010, v36
	v_and_b32_e32 v48, 0x8040201, v37
	v_xor_b32_e32 v38, v46, v38
	v_xor_b32_e32 v43, v51, v43
	v_cmp_ne_u16_sdwa s0, v44, v6 src0_sel:BYTE_1 src1_sel:DWORD
	v_lshrrev_b16 v76, 4, v47
	v_and_b32_e32 v51, 0x80402010, v37
	v_mul_lo_u32 v38, 0x1010101, v38
	v_and_b32_e32 v56, 0x8040201, v39
	v_cndmask_b32_e64 v82, 0, -1, s0
	v_cmp_ne_u16_sdwa s0, v44, v6 src0_sel:BYTE_3 src1_sel:DWORD
	v_lshrrev_b16 v77, 4, v51
	v_and_b32_e32 v59, 0x80402010, v39
	v_bcnt_u32_b32 v49, v41, 0
	v_and_b32_e32 v60, 0x8040201, v40
	v_cndmask_b32_e64 v44, 0, -1, s0
	v_cmp_ne_u16_sdwa s0, v47, v6 src0_sel:BYTE_1 src1_sel:DWORD
	v_and_b32_e32 v52, 0x8040201, v38
	v_and_b32_e32 v55, 0x80402010, v38
	;; [unrolled: 1-line block ×3, first 2 shown]
	v_lshrrev_b16 v79, 4, v59
	v_cndmask_b32_e64 v83, 0, -1, s0
	v_cmp_ne_u16_sdwa s0, v47, v6 src0_sel:BYTE_3 src1_sel:DWORD
	v_lshrrev_b16 v78, 4, v55
	v_lshlrev_b32_e32 v49, 7, v49
	v_bfe_u32 v42, v22, 14, 8
	v_and_b32_e32 v63, 0x80402010, v40
	v_cndmask_b32_e64 v47, 0, -1, s0
	v_cmp_ne_u16_sdwa s0, v48, v6 src0_sel:BYTE_1 src1_sel:DWORD
	v_xor_b32_e32 v41, v49, v41
	v_bcnt_u32_b32 v50, v42, 0
	v_lshrrev_b32_e32 v45, 18, v36
	v_bfe_i32 v46, v36, 0, 1
	v_cndmask_b32_e64 v84, 0, -1, s0
	v_cmp_ne_u16_sdwa s0, v48, v6 src0_sel:BYTE_3 src1_sel:DWORD
	v_mul_lo_u32 v41, 0x1010101, v41
	v_and_b32_e32 v50, 1, v50
	v_lshrrev_b32_e32 v36, 22, v36
	v_bfe_i32 v45, v45, 0, 1
	v_cndmask_b32_e64 v48, 0, -1, s0
	v_cmp_ne_u16_sdwa s0, v51, v6 src0_sel:BYTE_1 src1_sel:DWORD
	v_lshlrev_b32_e32 v50, 7, v50
	v_lshrrev_b16 v80, 4, v63
	v_and_b32_e32 v64, 0x8040201, v41
	v_lshlrev_b16 v82, 8, v82
	v_cndmask_b32_e64 v85, 0, -1, s0
	v_cmp_ne_u16_sdwa s0, v51, v6 src0_sel:BYTE_3 src1_sel:DWORD
	v_lshlrev_b16 v44, 8, v44
	v_xor_b32_e32 v42, v50, v42
	v_lshrrev_b32_e32 v49, 18, v37
	v_bfe_i32 v50, v37, 0, 1
	v_cndmask_b32_e64 v51, 0, -1, s0
	v_cmp_ne_u16_sdwa s0, v52, v6 src0_sel:BYTE_1 src1_sel:DWORD
	v_lshrrev_b32_e32 v37, 22, v37
	v_and_b32_e32 v67, 0x80402010, v41
	v_bfe_i32 v36, v36, 0, 1
	v_bfe_i32 v76, v76, 0, 1
	v_cndmask_b32_e64 v86, 0, -1, s0
	v_cmp_ne_u16_sdwa s0, v52, v6 src0_sel:BYTE_3 src1_sel:DWORD
	v_lshlrev_b16 v83, 8, v83
	v_lshlrev_b16 v47, 8, v47
	v_or_b32_sdwa v100, v46, v82 dst_sel:DWORD dst_unused:UNUSED_PAD src0_sel:BYTE_0 src1_sel:DWORD
	v_or_b32_sdwa v101, v45, v44 dst_sel:WORD_1 dst_unused:UNUSED_PAD src0_sel:BYTE_0 src1_sel:DWORD
	v_cndmask_b32_e64 v52, 0, -1, s0
	v_cmp_ne_u16_sdwa s0, v55, v6 src0_sel:BYTE_1 src1_sel:DWORD
	v_mul_lo_u32 v42, 0x1010101, v42
	v_bfe_i32 v37, v37, 0, 1
	v_bfe_i32 v77, v77, 0, 1
	v_lshlrev_b16 v85, 8, v85
	v_cndmask_b32_e64 v87, 0, -1, s0
	v_cmp_ne_u16_sdwa s0, v55, v6 src0_sel:BYTE_3 src1_sel:DWORD
	v_lshlrev_b16 v51, 8, v51
	v_or_b32_sdwa v102, v76, v83 dst_sel:DWORD dst_unused:UNUSED_PAD src0_sel:BYTE_0 src1_sel:DWORD
	v_or_b32_sdwa v103, v36, v47 dst_sel:WORD_1 dst_unused:UNUSED_PAD src0_sel:BYTE_0 src1_sel:DWORD
	v_or_b32_sdwa v100, v100, v101 dst_sel:DWORD dst_unused:UNUSED_PAD src0_sel:WORD_0 src1_sel:DWORD
	v_cndmask_b32_e64 v55, 0, -1, s0
	v_cmp_ne_u16_sdwa s0, v56, v6 src0_sel:BYTE_1 src1_sel:DWORD
	v_lshrrev_b32_e32 v53, 18, v38
	v_bfe_i32 v54, v38, 0, 1
	v_lshrrev_b32_e32 v38, 22, v38
	v_and_b32_e32 v68, 0x8040201, v42
	v_cndmask_b32_e64 v88, 0, -1, s0
	v_cmp_ne_u16_sdwa s0, v56, v6 src0_sel:BYTE_3 src1_sel:DWORD
	v_or_b32_sdwa v102, v102, v103 dst_sel:DWORD dst_unused:UNUSED_PAD src0_sel:WORD_0 src1_sel:DWORD
	v_or_b32_sdwa v103, v77, v85 dst_sel:DWORD dst_unused:UNUSED_PAD src0_sel:BYTE_0 src1_sel:DWORD
	v_bfe_i32 v38, v38, 0, 1
	v_lshrrev_b16 v81, 4, v67
	v_cndmask_b32_e64 v56, 0, -1, s0
	v_cmp_ne_u16_sdwa s0, v59, v6 src0_sel:BYTE_1 src1_sel:DWORD
	v_bfe_i32 v78, v78, 0, 1
	v_lshlrev_b16 v87, 8, v87
	v_lshlrev_b16 v55, 8, v55
	v_lshrrev_b32_e32 v57, 18, v39
	v_cndmask_b32_e64 v89, 0, -1, s0
	v_cmp_ne_u16_sdwa s0, v59, v6 src0_sel:BYTE_3 src1_sel:DWORD
	v_bfe_i32 v58, v39, 0, 1
	v_lshrrev_b32_e32 v39, 22, v39
	v_and_b32_e32 v71, 0x80402010, v42
	v_mul_lo_u32 v43, 0x1010101, v43
	v_cndmask_b32_e64 v59, 0, -1, s0
	v_cmp_ne_u16_sdwa s0, v60, v6 src0_sel:BYTE_1 src1_sel:DWORD
	v_bfe_i32 v49, v49, 0, 1
	v_bfe_i32 v39, v39, 0, 1
	;; [unrolled: 1-line block ×3, first 2 shown]
	v_lshlrev_b16 v84, 8, v84
	v_cndmask_b32_e64 v90, 0, -1, s0
	v_cmp_ne_u16_sdwa s0, v60, v6 src0_sel:BYTE_3 src1_sel:DWORD
	v_lshlrev_b16 v48, 8, v48
	v_lshlrev_b16 v89, 8, v89
	;; [unrolled: 1-line block ×3, first 2 shown]
	v_lshrrev_b32_e32 v61, 18, v40
	v_cndmask_b32_e64 v60, 0, -1, s0
	v_cmp_ne_u16_sdwa s0, v63, v6 src0_sel:BYTE_1 src1_sel:DWORD
	v_bfe_i32 v62, v40, 0, 1
	v_lshrrev_b32_e32 v40, 22, v40
	v_and_b32_e32 v72, 0x8040201, v43
	v_bfe_i32 v53, v53, 0, 1
	v_cndmask_b32_e64 v91, 0, -1, s0
	v_cmp_ne_u16_sdwa s0, v63, v6 src0_sel:BYTE_3 src1_sel:DWORD
	v_lshlrev_b16 v86, 8, v86
	v_lshlrev_b16 v52, 8, v52
	v_or_b32_sdwa v104, v50, v84 dst_sel:DWORD dst_unused:UNUSED_PAD src0_sel:BYTE_0 src1_sel:DWORD
	v_or_b32_sdwa v101, v49, v48 dst_sel:WORD_1 dst_unused:UNUSED_PAD src0_sel:BYTE_0 src1_sel:DWORD
	v_cndmask_b32_e64 v63, 0, -1, s0
	v_cmp_ne_u16_sdwa s0, v64, v6 src0_sel:BYTE_1 src1_sel:DWORD
	v_bfe_i32 v57, v57, 0, 1
	v_bfe_i32 v40, v40, 0, 1
	v_lshrrev_b16 v95, 4, v71
	v_bfe_i32 v80, v80, 0, 1
	v_cndmask_b32_e64 v92, 0, -1, s0
	v_cmp_ne_u16_sdwa s0, v64, v6 src0_sel:BYTE_3 src1_sel:DWORD
	v_lshlrev_b16 v88, 8, v88
	v_lshlrev_b16 v56, 8, v56
	;; [unrolled: 1-line block ×4, first 2 shown]
	v_cndmask_b32_e64 v64, 0, -1, s0
	v_cmp_ne_u16_sdwa s0, v67, v6 src0_sel:BYTE_1 src1_sel:DWORD
	v_or_b32_sdwa v101, v104, v101 dst_sel:DWORD dst_unused:UNUSED_PAD src0_sel:WORD_0 src1_sel:DWORD
	v_or_b32_sdwa v104, v53, v52 dst_sel:WORD_1 dst_unused:UNUSED_PAD src0_sel:BYTE_0 src1_sel:DWORD
	v_lshrrev_b32_e32 v65, 18, v41
	v_bfe_i32 v66, v41, 0, 1
	v_cndmask_b32_e64 v93, 0, -1, s0
	v_cmp_ne_u16_sdwa s0, v67, v6 src0_sel:BYTE_3 src1_sel:DWORD
	v_lshrrev_b32_e32 v41, 22, v41
	v_and_b32_e32 v75, 0x80402010, v43
	v_bfe_i32 v61, v61, 0, 1
	v_lshlrev_b16 v90, 8, v90
	v_cndmask_b32_e64 v67, 0, -1, s0
	v_cmp_ne_u16_sdwa s0, v68, v6 src0_sel:BYTE_1 src1_sel:DWORD
	v_lshlrev_b16 v60, 8, v60
	v_lshrrev_b32_e32 v69, 18, v42
	v_bfe_i32 v65, v65, 0, 1
	v_bfe_i32 v41, v41, 0, 1
	v_cndmask_b32_e64 v94, 0, -1, s0
	v_cmp_ne_u16_sdwa s0, v68, v6 src0_sel:BYTE_3 src1_sel:DWORD
	v_bfe_i32 v81, v81, 0, 1
	v_lshlrev_b16 v92, 8, v92
	v_lshlrev_b16 v64, 8, v64
	;; [unrolled: 1-line block ×3, first 2 shown]
	v_cndmask_b32_e64 v68, 0, -1, s0
	v_cmp_ne_u16_sdwa s0, v71, v6 src0_sel:BYTE_1 src1_sel:DWORD
	v_lshlrev_b16 v67, 8, v67
	v_bfe_i32 v70, v42, 0, 1
	v_lshrrev_b32_e32 v42, 22, v42
	v_lshrrev_b32_e32 v73, 18, v43
	v_cndmask_b32_e64 v96, 0, -1, s0
	v_cmp_ne_u16_sdwa s0, v71, v6 src0_sel:BYTE_3 src1_sel:DWORD
	v_bfe_i32 v69, v69, 0, 1
	v_lshlrev_b16 v94, 8, v94
	v_lshlrev_b16 v68, 8, v68
	v_bfe_i32 v74, v43, 0, 1
	v_cndmask_b32_e64 v71, 0, -1, s0
	v_cmp_ne_u16_sdwa s0, v72, v6 src0_sel:BYTE_1 src1_sel:DWORD
	v_lshrrev_b32_e32 v43, 22, v43
	v_bfe_i32 v42, v42, 0, 1
	v_bfe_i32 v73, v73, 0, 1
	v_lshrrev_b16 v98, 4, v75
	v_cndmask_b32_e64 v97, 0, -1, s0
	v_cmp_ne_u16_sdwa s0, v72, v6 src0_sel:BYTE_3 src1_sel:DWORD
	v_bfe_i32 v95, v95, 0, 1
	v_lshlrev_b16 v96, 8, v96
	v_lshlrev_b16 v71, 8, v71
	;; [unrolled: 1-line block ×3, first 2 shown]
	v_cndmask_b32_e64 v72, 0, -1, s0
	v_cmp_ne_u16_sdwa s0, v75, v6 src0_sel:BYTE_1 src1_sel:DWORD
	v_bfe_i32 v43, v43, 0, 1
	v_bfe_i32 v98, v98, 0, 1
	v_lshlrev_b16 v46, 8, v46
	v_lshlrev_b16 v72, 8, v72
	v_cndmask_b32_e64 v99, 0, -1, s0
	v_cmp_ne_u16_sdwa s0, v75, v6 src0_sel:BYTE_3 src1_sel:DWORD
	v_lshlrev_b16 v76, 8, v76
	v_lshlrev_b16 v50, 8, v50
	;; [unrolled: 1-line block ×4, first 2 shown]
	v_cndmask_b32_e64 v75, 0, -1, s0
	v_lshlrev_b16 v45, 8, v45
	v_lshlrev_b16 v36, 8, v36
	;; [unrolled: 1-line block ×5, first 2 shown]
	v_lshrrev_b32_e32 v25, 27, v25
	v_lshrrev_b32_e32 v22, 27, v22
	s_waitcnt vmcnt(9)
	v_cvt_f32_f16_e32 v16, v16
	v_cmp_le_u32_e64 s0, s7, v12
	s_or_b32 s4, s0, s4
	s_waitcnt vmcnt(7)
	v_xor_b32_e32 v100, v18, v100
	v_or_b32_sdwa v18, v37, v51 dst_sel:WORD_1 dst_unused:UNUSED_PAD src0_sel:BYTE_0 src1_sel:DWORD
	v_xor_b32_e32 v102, v19, v102
	v_or_b32_sdwa v19, v54, v86 dst_sel:DWORD dst_unused:UNUSED_PAD src0_sel:BYTE_0 src1_sel:DWORD
	s_waitcnt vmcnt(6)
	v_xor_b32_e32 v101, v20, v101
	v_or_b32_sdwa v20, v58, v88 dst_sel:DWORD dst_unused:UNUSED_PAD src0_sel:BYTE_0 src1_sel:DWORD
	v_or_b32_sdwa v18, v103, v18 dst_sel:DWORD dst_unused:UNUSED_PAD src0_sel:WORD_0 src1_sel:DWORD
	v_or_b32_sdwa v103, v78, v87 dst_sel:DWORD dst_unused:UNUSED_PAD src0_sel:BYTE_0 src1_sel:DWORD
	v_or_b32_sdwa v19, v19, v104 dst_sel:DWORD dst_unused:UNUSED_PAD src0_sel:WORD_0 src1_sel:DWORD
	v_and_b32_e32 v106, 0xffffff00, v100
	v_lshlrev_b16 v54, 8, v54
	v_xor_b32_e32 v105, v21, v18
	v_or_b32_sdwa v18, v38, v55 dst_sel:WORD_1 dst_unused:UNUSED_PAD src0_sel:BYTE_0 src1_sel:DWORD
	v_or_b32_sdwa v21, v57, v56 dst_sel:WORD_1 dst_unused:UNUSED_PAD src0_sel:BYTE_0 src1_sel:DWORD
	s_waitcnt vmcnt(5)
	v_xor_b32_e32 v23, v23, v19
	v_or_b32_sdwa v19, v62, v90 dst_sel:DWORD dst_unused:UNUSED_PAD src0_sel:BYTE_0 src1_sel:DWORD
	v_sub_nc_i16 v82, v106, v82 clamp
	v_or_b32_sdwa v18, v103, v18 dst_sel:DWORD dst_unused:UNUSED_PAD src0_sel:WORD_0 src1_sel:DWORD
	v_or_b32_sdwa v103, v79, v89 dst_sel:DWORD dst_unused:UNUSED_PAD src0_sel:BYTE_0 src1_sel:DWORD
	v_or_b32_sdwa v20, v20, v21 dst_sel:DWORD dst_unused:UNUSED_PAD src0_sel:WORD_0 src1_sel:DWORD
	v_or_b32_sdwa v21, v61, v60 dst_sel:WORD_1 dst_unused:UNUSED_PAD src0_sel:BYTE_0 src1_sel:DWORD
	v_lshlrev_b16 v106, 8, v100
	v_xor_b32_e32 v24, v24, v18
	v_or_b32_sdwa v18, v39, v59 dst_sel:WORD_1 dst_unused:UNUSED_PAD src0_sel:BYTE_0 src1_sel:DWORD
	s_waitcnt vmcnt(4)
	v_xor_b32_e32 v26, v26, v20
	v_or_b32_sdwa v20, v66, v92 dst_sel:DWORD dst_unused:UNUSED_PAD src0_sel:BYTE_0 src1_sel:DWORD
	v_or_b32_sdwa v19, v19, v21 dst_sel:DWORD dst_unused:UNUSED_PAD src0_sel:WORD_0 src1_sel:DWORD
	v_or_b32_sdwa v21, v65, v64 dst_sel:WORD_1 dst_unused:UNUSED_PAD src0_sel:BYTE_0 src1_sel:DWORD
	v_or_b32_sdwa v18, v103, v18 dst_sel:DWORD dst_unused:UNUSED_PAD src0_sel:WORD_0 src1_sel:DWORD
	v_or_b32_sdwa v103, v80, v91 dst_sel:DWORD dst_unused:UNUSED_PAD src0_sel:BYTE_0 src1_sel:DWORD
	v_sub_nc_i16 v46, v106, v46 clamp
	s_waitcnt vmcnt(3)
	v_xor_b32_e32 v28, v28, v19
	v_or_b32_sdwa v19, v70, v94 dst_sel:DWORD dst_unused:UNUSED_PAD src0_sel:BYTE_0 src1_sel:DWORD
	v_xor_b32_e32 v27, v27, v18
	v_or_b32_sdwa v18, v40, v63 dst_sel:WORD_1 dst_unused:UNUSED_PAD src0_sel:BYTE_0 src1_sel:DWORD
	v_or_b32_sdwa v20, v20, v21 dst_sel:DWORD dst_unused:UNUSED_PAD src0_sel:WORD_0 src1_sel:DWORD
	v_or_b32_sdwa v21, v69, v68 dst_sel:WORD_1 dst_unused:UNUSED_PAD src0_sel:BYTE_0 src1_sel:DWORD
	v_and_b32_e32 v106, 0xffffff00, v102
	v_lshlrev_b16 v78, 8, v78
	v_or_b32_sdwa v18, v103, v18 dst_sel:DWORD dst_unused:UNUSED_PAD src0_sel:WORD_0 src1_sel:DWORD
	v_or_b32_sdwa v103, v81, v93 dst_sel:DWORD dst_unused:UNUSED_PAD src0_sel:BYTE_0 src1_sel:DWORD
	s_waitcnt vmcnt(2)
	v_xor_b32_e32 v30, v30, v20
	v_or_b32_sdwa v20, v74, v97 dst_sel:DWORD dst_unused:UNUSED_PAD src0_sel:BYTE_0 src1_sel:DWORD
	v_or_b32_sdwa v19, v19, v21 dst_sel:DWORD dst_unused:UNUSED_PAD src0_sel:WORD_0 src1_sel:DWORD
	v_xor_b32_e32 v29, v29, v18
	v_or_b32_sdwa v18, v41, v67 dst_sel:WORD_1 dst_unused:UNUSED_PAD src0_sel:BYTE_0 src1_sel:DWORD
	v_or_b32_sdwa v21, v73, v72 dst_sel:WORD_1 dst_unused:UNUSED_PAD src0_sel:BYTE_0 src1_sel:DWORD
	v_sub_nc_i16 v83, v106, v83 clamp
	s_waitcnt vmcnt(1)
	v_xor_b32_e32 v32, v32, v19
	v_lshlrev_b16 v106, 8, v102
	v_or_b32_sdwa v18, v103, v18 dst_sel:DWORD dst_unused:UNUSED_PAD src0_sel:WORD_0 src1_sel:DWORD
	v_or_b32_sdwa v103, v95, v96 dst_sel:DWORD dst_unused:UNUSED_PAD src0_sel:BYTE_0 src1_sel:DWORD
	v_or_b32_sdwa v20, v20, v21 dst_sel:DWORD dst_unused:UNUSED_PAD src0_sel:WORD_0 src1_sel:DWORD
	v_or_b32_sdwa v21, v43, v75 dst_sel:WORD_1 dst_unused:UNUSED_PAD src0_sel:BYTE_0 src1_sel:DWORD
	v_sub_nc_i16 v76, v106, v76 clamp
	v_xor_b32_e32 v31, v31, v18
	v_or_b32_sdwa v18, v42, v71 dst_sel:WORD_1 dst_unused:UNUSED_PAD src0_sel:BYTE_0 src1_sel:DWORD
	s_waitcnt vmcnt(0)
	v_xor_b32_e32 v34, v34, v20
	v_and_b32_e32 v106, 0xffffff00, v101
	v_lshlrev_b16 v58, 8, v58
	v_lshlrev_b16 v79, 8, v79
	v_or_b32_sdwa v18, v103, v18 dst_sel:DWORD dst_unused:UNUSED_PAD src0_sel:WORD_0 src1_sel:DWORD
	v_or_b32_sdwa v103, v98, v99 dst_sel:DWORD dst_unused:UNUSED_PAD src0_sel:BYTE_0 src1_sel:DWORD
	v_sub_nc_i16 v84, v106, v84 clamp
	v_lshlrev_b16 v106, 8, v101
	v_lshlrev_b16 v62, 8, v62
	v_xor_b32_e32 v33, v33, v18
	v_or_b32_sdwa v21, v103, v21 dst_sel:DWORD dst_unused:UNUSED_PAD src0_sel:WORD_0 src1_sel:DWORD
	v_lshlrev_b16 v80, 8, v80
	v_sub_nc_i16 v50, v106, v50 clamp
	v_and_b32_e32 v106, 0xffffff00, v105
	v_lshlrev_b16 v66, 8, v66
	v_xor_b32_e32 v35, v35, v21
	s_clause 0x1
	global_load_dwordx4 v[18:21], v[7:8], off offset:-16
	global_load_dword v103, v[7:8], off
	v_lshlrev_b16 v81, 8, v81
	v_sub_nc_i16 v85, v106, v85 clamp
	v_lshlrev_b16 v106, 8, v105
	v_lshlrev_b16 v70, 8, v70
	;; [unrolled: 1-line block ×3, first 2 shown]
	v_lshrrev_b32_e32 v100, 16, v100
	v_lshlrev_b16 v74, 8, v74
	v_sub_nc_i16 v77, v106, v77 clamp
	v_and_b32_e32 v106, 0xffffff00, v23
	v_lshrrev_b32_e32 v102, 16, v102
	v_lshrrev_b32_e32 v101, 16, v101
	v_perm_b32 v46, v46, v82, 0xc0c0105
	v_and_b32_e32 v82, 0xffffff00, v100
	v_sub_nc_i16 v86, v106, v86 clamp
	v_lshlrev_b16 v106, 8, v23
	v_lshlrev_b16 v100, 8, v100
	;; [unrolled: 1-line block ×3, first 2 shown]
	v_sub_nc_i16 v44, v82, v44 clamp
	v_and_b32_e32 v82, 0xffffff00, v102
	v_sub_nc_i16 v54, v106, v54 clamp
	v_and_b32_e32 v106, 0xffffff00, v24
	v_lshlrev_b16 v102, 8, v102
	v_sub_nc_i16 v45, v100, v45 clamp
	v_and_b32_e32 v100, 0xffffff00, v101
	v_lshlrev_b16 v101, 8, v101
	v_sub_nc_i16 v87, v106, v87 clamp
	v_lshlrev_b16 v106, 8, v24
	v_lshrrev_b32_e32 v24, 16, v24
	v_lshlrev_b16 v61, 8, v61
	v_lshrrev_b32_e32 v105, 16, v105
	v_sub_nc_i16 v36, v102, v36 clamp
	v_sub_nc_i16 v78, v106, v78 clamp
	v_and_b32_e32 v106, 0xffffff00, v26
	v_and_b32_e32 v102, 0xffffff00, v24
	v_lshlrev_b16 v24, 8, v24
	v_sub_nc_i16 v48, v100, v48 clamp
	v_sub_nc_i16 v49, v101, v49 clamp
	;; [unrolled: 1-line block ×3, first 2 shown]
	v_lshlrev_b16 v106, 8, v26
	v_lshlrev_b16 v39, 8, v39
	v_lshlrev_b16 v40, 8, v40
	v_lshlrev_b16 v43, 8, v43
	v_perm_b32 v76, v76, v83, 0xc0c0105
	v_sub_nc_i16 v58, v106, v58 clamp
	v_and_b32_e32 v106, 0xffffff00, v27
	v_and_b32_e32 v83, 0xffffff00, v105
	v_perm_b32 v77, v77, v85, 0xc0c0105
	v_perm_b32 v78, v78, v87, 0xc0c0105
	v_sub_nc_i16 v24, v24, v38 clamp
	v_sub_nc_i16 v89, v106, v89 clamp
	v_lshlrev_b16 v106, 8, v27
	v_lshrrev_b32_e32 v27, 16, v27
	v_perm_b32 v38, v58, v88, 0xc0c0105
	v_lshlrev_b16 v98, 8, v98
	v_lshlrev_b16 v37, 8, v37
	v_sub_nc_i16 v79, v106, v79 clamp
	v_and_b32_e32 v106, 0xffffff00, v28
	v_and_b32_e32 v100, 0xffffff00, v27
	v_lshlrev_b16 v27, 8, v27
	v_lshlrev_b16 v65, 8, v65
	;; [unrolled: 1-line block ×3, first 2 shown]
	v_sub_nc_i16 v90, v106, v90 clamp
	v_lshlrev_b16 v106, 8, v28
	v_lshrrev_b32_e32 v28, 16, v28
	v_sub_nc_i16 v58, v100, v59 clamp
	v_sub_nc_i16 v47, v82, v47 clamp
	;; [unrolled: 1-line block ×4, first 2 shown]
	v_and_b32_e32 v106, 0xffffff00, v29
	v_and_b32_e32 v101, 0xffffff00, v28
	v_lshlrev_b16 v28, 8, v28
	v_sub_nc_i16 v27, v27, v39 clamp
	v_perm_b32 v39, v62, v90, 0xc0c0105
	v_sub_nc_i16 v91, v106, v91 clamp
	v_lshlrev_b16 v106, 8, v29
	v_lshrrev_b32_e32 v29, 16, v29
	v_sub_nc_i16 v59, v101, v60 clamp
	v_sub_nc_i16 v28, v28, v61 clamp
	v_mov_b32_e32 v104, 0
	v_sub_nc_i16 v80, v106, v80 clamp
	v_and_b32_e32 v106, 0xffffff00, v30
	v_and_b32_e32 v85, 0xffffff00, v29
	v_lshlrev_b16 v29, 8, v29
	v_perm_b32 v28, v28, v59, 0xc0c0105
	v_lshlrev_b16 v41, 8, v41
	v_sub_nc_i16 v92, v106, v92 clamp
	v_lshlrev_b16 v106, 8, v30
	v_lshrrev_b32_e32 v30, 16, v30
	v_sub_nc_i16 v61, v85, v63 clamp
	v_sub_nc_i16 v29, v29, v40 clamp
	v_lshrrev_b32_e32 v23, 16, v23
	v_sub_nc_i16 v66, v106, v66 clamp
	v_and_b32_e32 v106, 0xffffff00, v31
	v_and_b32_e32 v83, 0xffffff00, v30
	v_lshlrev_b16 v30, 8, v30
	v_sub_nc_i16 v37, v105, v37 clamp
	v_perm_b32 v60, v80, v91, 0xc0c0105
	v_sub_nc_i16 v93, v106, v93 clamp
	v_lshlrev_b16 v106, 8, v31
	v_lshrrev_b32_e32 v31, 16, v31
	v_sub_nc_i16 v62, v83, v64 clamp
	v_sub_nc_i16 v30, v30, v65 clamp
	v_perm_b32 v36, v36, v47, 0xc0c0105
	v_sub_nc_i16 v81, v106, v81 clamp
	v_and_b32_e32 v106, 0xffffff00, v32
	v_and_b32_e32 v105, 0xffffff00, v31
	v_lshlrev_b16 v31, 8, v31
	v_perm_b32 v29, v29, v61, 0xc0c0105
	v_lshl_or_b32 v28, v28, 16, v39
	v_sub_nc_i16 v94, v106, v94 clamp
	v_lshlrev_b16 v106, 8, v32
	v_lshrrev_b32_e32 v32, 16, v32
	v_lshlrev_b16 v69, 8, v69
	v_and_b32_e32 v82, 0xffffff00, v23
	v_lshlrev_b16 v23, 8, v23
	v_sub_nc_i16 v70, v106, v70 clamp
	v_and_b32_e32 v106, 0xffffff00, v33
	v_perm_b32 v50, v50, v84, 0xc0c0105
	v_perm_b32 v54, v54, v86, 0xc0c0105
	v_and_b32_e32 v86, 0xffffff00, v32
	v_lshlrev_b16 v32, 8, v32
	v_sub_nc_i16 v96, v106, v96 clamp
	v_lshlrev_b16 v106, 8, v33
	v_lshrrev_b32_e32 v33, 16, v33
	v_perm_b32 v40, v66, v92, 0xc0c0105
	v_sub_nc_i16 v64, v105, v67 clamp
	v_sub_nc_i16 v31, v31, v41 clamp
	;; [unrolled: 1-line block ×3, first 2 shown]
	v_and_b32_e32 v106, 0xffffff00, v34
	v_perm_b32 v30, v30, v62, 0xc0c0105
	v_lshl_or_b32 v36, v36, 16, v76
	v_lshl_or_b32 v29, v29, 16, v60
	v_lshlrev_b16 v42, 8, v42
	v_sub_nc_i16 v97, v106, v97 clamp
	v_lshlrev_b16 v106, 8, v34
	v_lshrrev_b32_e32 v26, 16, v26
	v_lshrrev_b32_e32 v34, 16, v34
	v_sub_nc_i16 v52, v82, v52 clamp
	v_and_b32_e32 v82, 0xffffff00, v33
	v_sub_nc_i16 v74, v106, v74 clamp
	v_and_b32_e32 v106, 0xffffff00, v35
	v_lshlrev_b16 v33, 8, v33
	v_sub_nc_i16 v23, v23, v53 clamp
	v_perm_b32 v63, v81, v93, 0xc0c0105
	v_sub_nc_i16 v65, v86, v68 clamp
	v_sub_nc_i16 v99, v106, v99 clamp
	v_lshlrev_b16 v106, 8, v35
	v_lshrrev_b32_e32 v35, 16, v35
	v_sub_nc_i16 v32, v32, v69 clamp
	v_perm_b32 v37, v37, v51, 0xc0c0105
	v_perm_b32 v31, v31, v64, 0xc0c0105
	v_sub_nc_i16 v98, v106, v98 clamp
	v_and_b32_e32 v87, 0xffffff00, v35
	v_lshlrev_b16 v35, 8, v35
	v_mov_b32_e32 v106, 0
	v_lshlrev_b16 v57, 8, v57
	v_lshlrev_b16 v73, 8, v73
	v_and_b32_e32 v84, 0xffffff00, v26
	v_sub_nc_i16 v35, v35, v43 clamp
	v_perm_b32 v43, v45, v44, 0xc0c0105
	v_perm_b32 v44, v49, v48, 0xc0c0105
	v_dot4c_i32_i8 v106, v28, v3
	v_lshl_or_b32 v28, v30, 16, v40
	v_lshlrev_b16 v26, 8, v26
	v_lshl_or_b32 v43, v43, 16, v46
	v_and_b32_e32 v53, 0xffffff00, v34
	v_dot4c_i32_i8 v106, v29, v4
	v_lshlrev_b16 v34, 8, v34
	v_sub_nc_i16 v55, v102, v55 clamp
	v_dot4c_i32_i8 v104, v43, v3
	v_lshl_or_b32 v3, v44, 16, v50
	v_perm_b32 v41, v70, v94, 0xc0c0105
	v_sub_nc_i16 v67, v82, v71 clamp
	v_sub_nc_i16 v33, v33, v42 clamp
	v_dot4c_i32_i8 v104, v36, v4
	v_perm_b32 v23, v23, v52, 0xc0c0105
	v_perm_b32 v32, v32, v65, 0xc0c0105
	v_lshl_or_b32 v4, v37, 16, v77
	v_lshl_or_b32 v29, v31, 16, v63
	v_dot4c_i32_i8 v104, v3, v5
	v_dot4c_i32_i8 v106, v28, v5
	v_sub_nc_i16 v56, v84, v56 clamp
	v_sub_nc_i16 v26, v26, v57 clamp
	v_perm_b32 v66, v95, v96, 0xc0c0105
	v_sub_nc_i16 v53, v53, v72 clamp
	v_sub_nc_i16 v34, v34, v73 clamp
	v_perm_b32 v24, v24, v55, 0xc0c0105
	v_perm_b32 v33, v33, v67, 0xc0c0105
	v_lshl_or_b32 v3, v23, 16, v54
	v_lshl_or_b32 v5, v32, 16, v41
	v_perm_b32 v42, v74, v97, 0xc0c0105
	v_sub_nc_i16 v69, v87, v75 clamp
	v_perm_b32 v26, v26, v56, 0xc0c0105
	v_perm_b32 v34, v34, v53, 0xc0c0105
	;; [unrolled: 1-line block ×6, first 2 shown]
	v_add_co_u32 v7, vcc_lo, 0x480, v7
	v_add_co_ci_u32_e64 v8, null, 0, v8, vcc_lo
	s_waitcnt vmcnt(1)
	v_dot4c_i32_i8 v104, v4, v18
	v_dot4c_i32_i8 v106, v29, v18
	v_lshl_or_b32 v4, v24, 16, v78
	v_lshl_or_b32 v18, v33, 16, v66
	v_dot4c_i32_i8 v104, v3, v19
	v_dot4c_i32_i8 v106, v5, v19
	v_lshl_or_b32 v3, v26, 16, v38
	v_lshl_or_b32 v5, v34, 16, v42
	;; [unrolled: 4-line block ×3, first 2 shown]
	v_dot4c_i32_i8 v104, v3, v21
	v_dot4c_i32_i8 v106, v5, v21
	v_or_b32_e32 v3, 1, v25
	v_or_b32_e32 v5, 1, v22
	s_waitcnt vmcnt(0)
	v_dot4c_i32_i8 v104, v4, v103
	v_dot4c_i32_i8 v106, v18, v103
	v_mul_lo_u32 v3, v104, v3
	v_mul_lo_u32 v4, v106, v5
	v_ashrrev_i32_e32 v5, 31, v3
	v_ashrrev_i32_e32 v18, 31, v4
	v_lshrrev_b32_e32 v5, 29, v5
	v_lshrrev_b32_e32 v18, 29, v18
	v_add_nc_u32_e32 v3, v3, v5
	v_add_nc_u32_e32 v4, v4, v18
	v_cvt_f32_f16_e32 v5, v17
	v_ashrrev_i32_e32 v3, 3, v3
	v_ashrrev_i32_e32 v4, 3, v4
	v_mul_f32_e32 v5, v5, v2
	v_mul_f32_e32 v2, v16, v2
	v_cvt_f32_i32_e32 v3, v3
	v_cvt_f32_i32_e32 v4, v4
	v_fmac_f32_e32 v13, v5, v3
	v_fmac_f32_e32 v11, v2, v4
	s_andn2_b32 exec_lo, exec_lo, s4
	s_cbranch_execnz .LBB156_3
; %bb.4:
	s_or_b32 exec_lo, exec_lo, s4
.LBB156_5:
	s_or_b32 exec_lo, exec_lo, s6
	v_mbcnt_lo_u32_b32 v2, -1, 0
	v_xor_b32_e32 v3, 16, v2
	v_xor_b32_e32 v5, 8, v2
	;; [unrolled: 1-line block ×3, first 2 shown]
	v_cmp_gt_i32_e32 vcc_lo, 32, v3
	v_cndmask_b32_e32 v3, v2, v3, vcc_lo
	v_cmp_gt_i32_e32 vcc_lo, 32, v5
	v_lshlrev_b32_e32 v3, 2, v3
	v_cndmask_b32_e32 v5, v2, v5, vcc_lo
	v_cmp_gt_i32_e32 vcc_lo, 32, v7
	ds_bpermute_b32 v4, v3, v13
	ds_bpermute_b32 v3, v3, v11
	v_lshlrev_b32_e32 v5, 2, v5
	v_cndmask_b32_e32 v7, v2, v7, vcc_lo
	v_lshlrev_b32_e32 v7, 2, v7
	s_waitcnt lgkmcnt(1)
	v_add_f32_e32 v4, v13, v4
	s_waitcnt lgkmcnt(0)
	v_add_f32_e32 v3, v11, v3
	ds_bpermute_b32 v6, v5, v4
	ds_bpermute_b32 v5, v5, v3
	s_waitcnt lgkmcnt(1)
	v_add_f32_e32 v4, v4, v6
	s_waitcnt lgkmcnt(0)
	v_add_f32_e32 v3, v3, v5
	ds_bpermute_b32 v5, v7, v4
	ds_bpermute_b32 v6, v7, v3
	v_xor_b32_e32 v7, 2, v2
	v_cmp_gt_i32_e32 vcc_lo, 32, v7
	v_cndmask_b32_e32 v7, v2, v7, vcc_lo
	v_lshlrev_b32_e32 v7, 2, v7
	s_waitcnt lgkmcnt(1)
	v_add_f32_e32 v4, v4, v5
	s_waitcnt lgkmcnt(0)
	v_add_f32_e32 v3, v3, v6
	ds_bpermute_b32 v5, v7, v4
	ds_bpermute_b32 v6, v7, v3
	v_xor_b32_e32 v7, 1, v2
	v_cmp_gt_i32_e32 vcc_lo, 32, v7
	v_cndmask_b32_e32 v2, v2, v7, vcc_lo
	v_cmp_gt_u32_e32 vcc_lo, 2, v0
	v_lshlrev_b32_e32 v7, 2, v2
	s_waitcnt lgkmcnt(1)
	v_add_f32_e32 v2, v4, v5
	s_waitcnt lgkmcnt(0)
	v_add_f32_e32 v3, v3, v6
	v_add_nc_u32_e32 v6, s3, v0
	ds_bpermute_b32 v4, v7, v2
	ds_bpermute_b32 v5, v7, v3
	v_cmp_gt_u32_e64 s0, s16, v6
	s_and_b32 s0, vcc_lo, s0
	s_and_b32 exec_lo, exec_lo, s0
	s_cbranch_execz .LBB156_7
; %bb.6:
	v_mul_lo_u32 v1, s19, v1
	v_or_b32_e32 v6, s3, v0
	s_mul_i32 s0, s22, s2
	v_mov_b32_e32 v7, 0
	s_waitcnt lgkmcnt(1)
	v_add_f32_e32 v4, v2, v4
	s_waitcnt lgkmcnt(0)
	v_add_f32_e32 v3, v3, v5
	v_cmp_eq_u32_e32 vcc_lo, 1, v0
	v_add3_u32 v6, v6, v1, s0
	v_cndmask_b32_e32 v3, v4, v3, vcc_lo
	v_lshlrev_b64 v[1:2], 2, v[6:7]
	v_add_co_u32 v0, vcc_lo, s14, v1
	v_add_co_ci_u32_e64 v1, null, s15, v2, vcc_lo
	global_store_dword v[0:1], v3, off
.LBB156_7:
	s_endpgm
	.section	.rodata,"a",@progbits
	.p2align	6, 0x0
	.amdhsa_kernel _ZL17mul_mat_vec_q_moeIL9ggml_type16ELi2EEvPKvS2_PKiPfj15HIP_vector_typeIjLj3EEjjjjjjjjj
		.amdhsa_group_segment_fixed_size 0
		.amdhsa_private_segment_fixed_size 0
		.amdhsa_kernarg_size 84
		.amdhsa_user_sgpr_count 6
		.amdhsa_user_sgpr_private_segment_buffer 1
		.amdhsa_user_sgpr_dispatch_ptr 0
		.amdhsa_user_sgpr_queue_ptr 0
		.amdhsa_user_sgpr_kernarg_segment_ptr 1
		.amdhsa_user_sgpr_dispatch_id 0
		.amdhsa_user_sgpr_flat_scratch_init 0
		.amdhsa_user_sgpr_private_segment_size 0
		.amdhsa_wavefront_size32 1
		.amdhsa_uses_dynamic_stack 0
		.amdhsa_system_sgpr_private_segment_wavefront_offset 0
		.amdhsa_system_sgpr_workgroup_id_x 1
		.amdhsa_system_sgpr_workgroup_id_y 1
		.amdhsa_system_sgpr_workgroup_id_z 0
		.amdhsa_system_sgpr_workgroup_info 0
		.amdhsa_system_vgpr_workitem_id 1
		.amdhsa_next_free_vgpr 107
		.amdhsa_next_free_sgpr 28
		.amdhsa_reserve_vcc 1
		.amdhsa_reserve_flat_scratch 0
		.amdhsa_float_round_mode_32 0
		.amdhsa_float_round_mode_16_64 0
		.amdhsa_float_denorm_mode_32 3
		.amdhsa_float_denorm_mode_16_64 3
		.amdhsa_dx10_clamp 1
		.amdhsa_ieee_mode 1
		.amdhsa_fp16_overflow 0
		.amdhsa_workgroup_processor_mode 1
		.amdhsa_memory_ordered 1
		.amdhsa_forward_progress 1
		.amdhsa_shared_vgpr_count 0
		.amdhsa_exception_fp_ieee_invalid_op 0
		.amdhsa_exception_fp_denorm_src 0
		.amdhsa_exception_fp_ieee_div_zero 0
		.amdhsa_exception_fp_ieee_overflow 0
		.amdhsa_exception_fp_ieee_underflow 0
		.amdhsa_exception_fp_ieee_inexact 0
		.amdhsa_exception_int_div_zero 0
	.end_amdhsa_kernel
	.section	.text._ZL17mul_mat_vec_q_moeIL9ggml_type16ELi2EEvPKvS2_PKiPfj15HIP_vector_typeIjLj3EEjjjjjjjjj,"axG",@progbits,_ZL17mul_mat_vec_q_moeIL9ggml_type16ELi2EEvPKvS2_PKiPfj15HIP_vector_typeIjLj3EEjjjjjjjjj,comdat
.Lfunc_end156:
	.size	_ZL17mul_mat_vec_q_moeIL9ggml_type16ELi2EEvPKvS2_PKiPfj15HIP_vector_typeIjLj3EEjjjjjjjjj, .Lfunc_end156-_ZL17mul_mat_vec_q_moeIL9ggml_type16ELi2EEvPKvS2_PKiPfj15HIP_vector_typeIjLj3EEjjjjjjjjj
                                        ; -- End function
	.set _ZL17mul_mat_vec_q_moeIL9ggml_type16ELi2EEvPKvS2_PKiPfj15HIP_vector_typeIjLj3EEjjjjjjjjj.num_vgpr, 107
	.set _ZL17mul_mat_vec_q_moeIL9ggml_type16ELi2EEvPKvS2_PKiPfj15HIP_vector_typeIjLj3EEjjjjjjjjj.num_agpr, 0
	.set _ZL17mul_mat_vec_q_moeIL9ggml_type16ELi2EEvPKvS2_PKiPfj15HIP_vector_typeIjLj3EEjjjjjjjjj.numbered_sgpr, 28
	.set _ZL17mul_mat_vec_q_moeIL9ggml_type16ELi2EEvPKvS2_PKiPfj15HIP_vector_typeIjLj3EEjjjjjjjjj.num_named_barrier, 0
	.set _ZL17mul_mat_vec_q_moeIL9ggml_type16ELi2EEvPKvS2_PKiPfj15HIP_vector_typeIjLj3EEjjjjjjjjj.private_seg_size, 0
	.set _ZL17mul_mat_vec_q_moeIL9ggml_type16ELi2EEvPKvS2_PKiPfj15HIP_vector_typeIjLj3EEjjjjjjjjj.uses_vcc, 1
	.set _ZL17mul_mat_vec_q_moeIL9ggml_type16ELi2EEvPKvS2_PKiPfj15HIP_vector_typeIjLj3EEjjjjjjjjj.uses_flat_scratch, 0
	.set _ZL17mul_mat_vec_q_moeIL9ggml_type16ELi2EEvPKvS2_PKiPfj15HIP_vector_typeIjLj3EEjjjjjjjjj.has_dyn_sized_stack, 0
	.set _ZL17mul_mat_vec_q_moeIL9ggml_type16ELi2EEvPKvS2_PKiPfj15HIP_vector_typeIjLj3EEjjjjjjjjj.has_recursion, 0
	.set _ZL17mul_mat_vec_q_moeIL9ggml_type16ELi2EEvPKvS2_PKiPfj15HIP_vector_typeIjLj3EEjjjjjjjjj.has_indirect_call, 0
	.section	.AMDGPU.csdata,"",@progbits
; Kernel info:
; codeLenInByte = 5140
; TotalNumSgprs: 30
; NumVgprs: 107
; ScratchSize: 0
; MemoryBound: 0
; FloatMode: 240
; IeeeMode: 1
; LDSByteSize: 0 bytes/workgroup (compile time only)
; SGPRBlocks: 0
; VGPRBlocks: 13
; NumSGPRsForWavesPerEU: 30
; NumVGPRsForWavesPerEU: 107
; Occupancy: 9
; WaveLimiterHint : 1
; COMPUTE_PGM_RSRC2:SCRATCH_EN: 0
; COMPUTE_PGM_RSRC2:USER_SGPR: 6
; COMPUTE_PGM_RSRC2:TRAP_HANDLER: 0
; COMPUTE_PGM_RSRC2:TGID_X_EN: 1
; COMPUTE_PGM_RSRC2:TGID_Y_EN: 1
; COMPUTE_PGM_RSRC2:TGID_Z_EN: 0
; COMPUTE_PGM_RSRC2:TIDIG_COMP_CNT: 1
	.section	.text._ZL13mul_mat_vec_qIL9ggml_type16ELi1ELb1ELb1EEvPKvS2_PKi31ggml_cuda_mm_fusion_args_devicePfj15HIP_vector_typeIjLj3EEjjjS8_jjjS8_jjjj,"axG",@progbits,_ZL13mul_mat_vec_qIL9ggml_type16ELi1ELb1ELb1EEvPKvS2_PKi31ggml_cuda_mm_fusion_args_devicePfj15HIP_vector_typeIjLj3EEjjjS8_jjjS8_jjjj,comdat
	.globl	_ZL13mul_mat_vec_qIL9ggml_type16ELi1ELb1ELb1EEvPKvS2_PKi31ggml_cuda_mm_fusion_args_devicePfj15HIP_vector_typeIjLj3EEjjjS8_jjjS8_jjjj ; -- Begin function _ZL13mul_mat_vec_qIL9ggml_type16ELi1ELb1ELb1EEvPKvS2_PKi31ggml_cuda_mm_fusion_args_devicePfj15HIP_vector_typeIjLj3EEjjjS8_jjjS8_jjjj
	.p2align	8
	.type	_ZL13mul_mat_vec_qIL9ggml_type16ELi1ELb1ELb1EEvPKvS2_PKi31ggml_cuda_mm_fusion_args_devicePfj15HIP_vector_typeIjLj3EEjjjS8_jjjS8_jjjj,@function
_ZL13mul_mat_vec_qIL9ggml_type16ELi1ELb1ELb1EEvPKvS2_PKi31ggml_cuda_mm_fusion_args_devicePfj15HIP_vector_typeIjLj3EEjjjS8_jjjS8_jjjj: ; @_ZL13mul_mat_vec_qIL9ggml_type16ELi1ELb1ELb1EEvPKvS2_PKi31ggml_cuda_mm_fusion_args_devicePfj15HIP_vector_typeIjLj3EEjjjS8_jjjS8_jjjj
; %bb.0:
	s_clause 0x3
	s_load_dwordx8 s[12:19], s[4:5], 0x0
	s_load_dwordx4 s[28:31], s[4:5], 0x20
	s_load_dwordx4 s[36:39], s[4:5], 0x40
	;; [unrolled: 1-line block ×3, first 2 shown]
	s_mov_b32 s10, s7
	s_waitcnt lgkmcnt(0)
	s_cmp_lg_u64 s[16:17], 0
	s_cselect_b32 s0, -1, 0
	s_cmp_eq_u64 s[16:17], 0
	s_cbranch_scc1 .LBB157_5
; %bb.1:
	s_mov_b32 s11, 0
	s_lshl_b64 s[2:3], s[10:11], 2
	s_add_u32 s2, s16, s2
	s_addc_u32 s3, s17, s3
	s_load_dword s33, s[2:3], 0x0
	s_clause 0x1
	s_load_dword s35, s[4:5], 0x50
	s_load_dword s34, s[4:5], 0x78
	s_cbranch_execnz .LBB157_3
.LBB157_2:
	s_load_dwordx2 s[2:3], s[4:5], 0x5c
	s_waitcnt lgkmcnt(0)
	s_mul_hi_u32 s1, s2, s10
	s_add_i32 s1, s10, s1
	s_lshr_b32 s33, s1, s3
.LBB157_3:
	s_andn2_b32 vcc_lo, exec_lo, s0
	s_cbranch_vccnz .LBB157_6
; %bb.4:
	s_mul_hi_u32 s0, s37, s10
	s_waitcnt lgkmcnt(0)
	s_mov_b32 s1, s33
	s_add_i32 s0, s10, s0
	s_lshr_b32 s0, s0, s38
	s_mul_i32 s0, s0, s39
	s_sub_i32 s37, s10, s0
	s_branch .LBB157_7
.LBB157_5:
                                        ; implicit-def: $sgpr33
	s_clause 0x1
	s_load_dword s35, s[4:5], 0x50
	s_load_dword s34, s[4:5], 0x78
	s_branch .LBB157_2
.LBB157_6:
	s_mov_b32 s1, s10
	s_mov_b32 s37, s10
.LBB157_7:
	s_load_dwordx4 s[24:27], s[4:5], 0x80
	v_or_b32_e32 v2, v0, v1
	s_cmp_lg_u64 s[18:19], 0
	v_mov_b32_e32 v24, 0
	v_mov_b32_e32 v25, 0
	s_cselect_b32 s0, -1, 0
	v_cmp_eq_u32_e32 vcc_lo, 0, v2
	s_mov_b32 s17, 0
	s_mul_i32 s2, s1, s22
	s_and_b32 s3, s0, vcc_lo
	s_and_saveexec_b32 s1, s3
	s_cbranch_execz .LBB157_9
; %bb.8:
	s_waitcnt lgkmcnt(0)
	s_mul_i32 s16, s26, s8
	s_mov_b32 s3, s17
	s_lshl_b64 s[38:39], s[16:17], 2
	v_lshlrev_b32_e32 v2, 2, v0
	s_add_u32 s7, s18, s38
	s_addc_u32 s9, s19, s39
	s_lshl_b64 s[16:17], s[2:3], 2
	s_add_u32 s3, s7, s16
	s_addc_u32 s9, s9, s17
	s_ashr_i32 s7, s6, 31
	s_lshl_b64 s[16:17], s[6:7], 2
	s_add_u32 s16, s3, s16
	s_addc_u32 s17, s9, s17
	global_load_dword v25, v2, s[16:17]
.LBB157_9:
	s_or_b32 exec_lo, exec_lo, s1
	s_cmp_lg_u64 s[28:29], 0
	s_cselect_b32 s9, -1, 0
	s_cmp_lg_u64 s[30:31], 0
	s_cselect_b32 s1, -1, 0
	s_and_b32 s3, s1, s9
	s_and_b32 s3, s3, vcc_lo
	s_and_saveexec_b32 s11, s3
	s_cbranch_execz .LBB157_11
; %bb.10:
	s_waitcnt lgkmcnt(0)
	s_mul_i32 s16, s26, s8
	s_mov_b32 s17, 0
	v_lshlrev_b32_e32 v2, 2, v0
	s_lshl_b64 s[18:19], s[16:17], 2
	s_mov_b32 s3, s17
	s_add_u32 s7, s30, s18
	s_addc_u32 s16, s31, s19
	s_lshl_b64 s[2:3], s[2:3], 2
	s_add_u32 s17, s7, s2
	s_addc_u32 s16, s16, s3
	s_ashr_i32 s7, s6, 31
	s_lshl_b64 s[2:3], s[6:7], 2
	s_add_u32 s2, s17, s2
	s_addc_u32 s3, s16, s3
	global_load_dword v24, v2, s[2:3]
.LBB157_11:
	s_or_b32 exec_lo, exec_lo, s11
	v_lshl_or_b32 v2, v1, 5, v0
	v_mov_b32_e32 v29, 0
	v_cndmask_b32_e64 v26, 0, 1, s9
	v_mov_b32_e32 v27, 0
	s_lshr_b32 s7, s36, 8
	v_lshrrev_b32_e32 v28, 3, v2
	s_mov_b32 s11, exec_lo
	v_cmpx_gt_u32_e64 s7, v28
	s_cbranch_execz .LBB157_17
; %bb.12:
	v_lshrrev_b32_e32 v2, 3, v2
	s_mul_i32 s2, s37, s21
	v_and_b32_e32 v5, 7, v0
	s_mul_hi_u32 s3, s2, 36
	s_mul_i32 s2, s2, 36
	v_lshlrev_b32_e32 v4, 1, v0
	v_mad_u64_u32 v[2:3], null, 0x120, v2, s[2:3]
	s_waitcnt lgkmcnt(0)
	s_mul_i32 s3, s25, s8
	s_mul_hi_u32 s2, s23, s8
	v_and_b32_e32 v4, 14, v4
	s_add_i32 s2, s8, s2
	s_mul_i32 s35, s35, s6
	s_lshr_b32 s2, s2, s34
	v_mad_u64_u32 v[2:3], null, s3, 36, v[2:3]
	v_lshlrev_b32_e32 v4, 1, v4
	s_mul_i32 s2, s2, s24
	v_mov_b32_e32 v30, 0
	v_mov_b32_e32 v31, 3
	;; [unrolled: 1-line block ×3, first 2 shown]
	v_lshlrev_b32_e32 v32, 1, v4
	v_mad_u64_u32 v[2:3], null, v5, 36, v[2:3]
	v_mov_b32_e32 v27, 0
	s_mul_i32 s3, s33, s20
	s_add_i32 s2, s2, s35
	v_add_co_u32 v2, vcc_lo, s14, v2
	v_add_co_ci_u32_e64 v3, null, s15, v3, vcc_lo
	s_add_i32 s15, s3, s2
	v_add_co_u32 v10, vcc_lo, v2, 32
	v_add_co_ci_u32_e64 v11, null, 0, v3, vcc_lo
	s_mov_b32 s14, 0
	s_branch .LBB157_14
.LBB157_13:                             ;   in Loop: Header=BB157_14 Depth=1
	v_and_b32_e32 v22, 0xff, v13
	v_bfe_u32 v23, v13, 7, 8
	v_add_nc_u32_e32 v28, 4, v28
	v_bcnt_u32_b32 v34, v22, 0
	v_bcnt_u32_b32 v35, v23, 0
	v_cmp_le_u32_e32 vcc_lo, s7, v28
	v_and_b32_e32 v34, 1, v34
	v_and_b32_e32 v35, 1, v35
	s_or_b32 s14, vcc_lo, s14
	v_lshlrev_b32_e32 v34, 7, v34
	v_lshlrev_b32_e32 v35, 7, v35
	v_xor_b32_e32 v22, v34, v22
	v_xor_b32_e32 v23, v35, v23
	v_bfe_u32 v34, v13, 14, 8
	v_mov_b32_e32 v35, 0
	v_mul_lo_u32 v22, 0x1010101, v22
	v_mul_lo_u32 v23, 0x1010101, v23
	v_bcnt_u32_b32 v36, v34, 0
	v_and_b32_e32 v37, 0x8040201, v22
	v_and_b32_e32 v40, 0x80402010, v22
	v_lshrrev_b32_e32 v38, 18, v22
	v_and_b32_e32 v41, 0x8040201, v23
	v_bfe_i32 v39, v22, 0, 1
	v_cmp_ne_u16_sdwa s2, v37, v30 src0_sel:BYTE_1 src1_sel:DWORD
	v_lshrrev_b16 v45, 4, v40
	v_bfe_i32 v38, v38, 0, 1
	v_lshrrev_b32_e32 v22, 22, v22
	v_lshrrev_b32_e32 v42, 18, v23
	v_cndmask_b32_e64 v44, 0, -1, s2
	v_cmp_ne_u16_sdwa s2, v37, v30 src0_sel:BYTE_3 src1_sel:DWORD
	v_bfe_i32 v45, v45, 0, 1
	v_bfe_i32 v22, v22, 0, 1
	;; [unrolled: 1-line block ×3, first 2 shown]
	v_lshlrev_b16 v44, 8, v44
	v_cndmask_b32_e64 v37, 0, -1, s2
	v_cmp_ne_u16_sdwa s2, v40, v30 src0_sel:BYTE_1 src1_sel:DWORD
	v_bfe_i32 v42, v42, 0, 1
	v_or_b32_sdwa v48, v39, v44 dst_sel:DWORD dst_unused:UNUSED_PAD src0_sel:BYTE_0 src1_sel:DWORD
	v_lshlrev_b16 v37, 8, v37
	v_cndmask_b32_e64 v46, 0, -1, s2
	v_cmp_ne_u16_sdwa s2, v40, v30 src0_sel:BYTE_3 src1_sel:DWORD
	v_lshlrev_b16 v39, 8, v39
	v_or_b32_sdwa v49, v38, v37 dst_sel:WORD_1 dst_unused:UNUSED_PAD src0_sel:BYTE_0 src1_sel:DWORD
	v_lshlrev_b16 v46, 8, v46
	v_cndmask_b32_e64 v40, 0, -1, s2
	v_cmp_ne_u16_sdwa s2, v41, v30 src0_sel:BYTE_1 src1_sel:DWORD
	v_lshlrev_b16 v38, 8, v38
	v_or_b32_sdwa v48, v48, v49 dst_sel:DWORD dst_unused:UNUSED_PAD src0_sel:WORD_0 src1_sel:DWORD
	v_or_b32_sdwa v50, v45, v46 dst_sel:DWORD dst_unused:UNUSED_PAD src0_sel:BYTE_0 src1_sel:DWORD
	v_lshlrev_b16 v40, 8, v40
	v_cndmask_b32_e64 v47, 0, -1, s2
	v_cmp_ne_u16_sdwa s2, v41, v30 src0_sel:BYTE_3 src1_sel:DWORD
	s_waitcnt vmcnt(3)
	v_xor_b32_e32 v20, v20, v48
	v_lshlrev_b16 v45, 8, v45
	v_or_b32_sdwa v51, v22, v40 dst_sel:WORD_1 dst_unused:UNUSED_PAD src0_sel:BYTE_0 src1_sel:DWORD
	v_lshlrev_b16 v47, 8, v47
	v_cndmask_b32_e64 v41, 0, -1, s2
	v_lshrrev_b32_e32 v48, 16, v20
	v_lshlrev_b16 v22, 8, v22
	v_or_b32_sdwa v49, v50, v51 dst_sel:DWORD dst_unused:UNUSED_PAD src0_sel:WORD_0 src1_sel:DWORD
	v_or_b32_sdwa v52, v43, v47 dst_sel:DWORD dst_unused:UNUSED_PAD src0_sel:BYTE_0 src1_sel:DWORD
	v_lshlrev_b16 v41, 8, v41
	v_xor_b32_e32 v21, v21, v49
	v_and_b32_e32 v49, 0xffffff00, v20
	v_or_b32_sdwa v53, v42, v41 dst_sel:WORD_1 dst_unused:UNUSED_PAD src0_sel:BYTE_0 src1_sel:DWORD
	v_lshlrev_b16 v20, 8, v20
	v_and_b32_e32 v51, 0xffffff00, v21
	v_sub_nc_i16 v44, v49, v44 clamp
	v_or_b32_sdwa v50, v52, v53 dst_sel:DWORD dst_unused:UNUSED_PAD src0_sel:WORD_0 src1_sel:DWORD
	v_and_b32_e32 v52, 0xffffff00, v48
	v_lshlrev_b16 v48, 8, v48
	v_sub_nc_i16 v20, v20, v39 clamp
	s_waitcnt vmcnt(2)
	v_xor_b32_e32 v18, v18, v50
	v_sub_nc_i16 v37, v52, v37 clamp
	v_sub_nc_i16 v38, v48, v38 clamp
	v_perm_b32 v20, v20, v44, 0xc0c0105
	v_lshrrev_b32_e32 v50, 16, v21
	v_lshlrev_b16 v21, 8, v21
	v_and_b32_e32 v39, 0xffffff00, v18
	v_perm_b32 v37, v38, v37, 0xc0c0105
	v_sub_nc_i16 v38, v51, v46 clamp
	v_and_b32_e32 v48, 0xffffff00, v50
	v_sub_nc_i16 v21, v21, v45 clamp
	v_lshlrev_b16 v49, 8, v50
	v_lshl_or_b32 v20, v37, 16, v20
	v_lshrrev_b32_e32 v37, 16, v18
	v_sub_nc_i16 v40, v48, v40 clamp
	v_perm_b32 v21, v21, v38, 0xc0c0105
	v_and_b32_e32 v38, 0x80402010, v23
	v_dot4c_i32_i8 v35, v20, v7
	v_and_b32_e32 v20, 1, v36
	v_sub_nc_i16 v22, v49, v22 clamp
	v_lshlrev_b16 v7, 8, v18
	v_cmp_ne_u16_sdwa s2, v38, v30 src0_sel:BYTE_1 src1_sel:DWORD
	v_lshlrev_b16 v18, 8, v43
	v_lshlrev_b32_e32 v20, 7, v20
	v_perm_b32 v22, v22, v40, 0xc0c0105
	v_lshlrev_b16 v40, 8, v42
	v_cndmask_b32_e64 v43, 0, -1, s2
	v_cmp_ne_u16_sdwa s2, v38, v30 src0_sel:BYTE_3 src1_sel:DWORD
	v_xor_b32_e32 v20, v20, v34
	v_lshrrev_b32_e32 v23, 22, v23
	v_lshrrev_b16 v42, 4, v38
	v_lshl_or_b32 v21, v22, 16, v21
	v_cndmask_b32_e64 v34, 0, -1, s2
	v_mul_lo_u32 v20, 0x1010101, v20
	v_sub_nc_i16 v39, v39, v47 clamp
	v_and_b32_e32 v36, 0xffffff00, v37
	v_lshlrev_b16 v37, 8, v37
	v_bfe_i32 v38, v42, 0, 1
	v_lshlrev_b16 v42, 8, v43
	v_bfe_i32 v23, v23, 0, 1
	v_lshlrev_b16 v34, 8, v34
	v_and_b32_e32 v22, 0x8040201, v20
	v_sub_nc_i16 v7, v7, v18 clamp
	v_sub_nc_i16 v18, v36, v41 clamp
	;; [unrolled: 1-line block ×3, first 2 shown]
	v_or_b32_sdwa v37, v38, v42 dst_sel:DWORD dst_unused:UNUSED_PAD src0_sel:BYTE_0 src1_sel:DWORD
	v_cmp_ne_u16_sdwa s2, v22, v30 src0_sel:BYTE_1 src1_sel:DWORD
	v_or_b32_sdwa v40, v23, v34 dst_sel:WORD_1 dst_unused:UNUSED_PAD src0_sel:BYTE_0 src1_sel:DWORD
	v_perm_b32 v7, v7, v39, 0xc0c0105
	v_perm_b32 v18, v36, v18, 0xc0c0105
	v_dot4c_i32_i8 v35, v21, v8
	v_cndmask_b32_e64 v39, 0, -1, s2
	v_cmp_ne_u16_sdwa s2, v22, v30 src0_sel:BYTE_3 src1_sel:DWORD
	v_or_b32_sdwa v36, v37, v40 dst_sel:DWORD dst_unused:UNUSED_PAD src0_sel:WORD_0 src1_sel:DWORD
	v_lshrrev_b32_e32 v37, 18, v20
	v_lshl_or_b32 v7, v18, 16, v7
	v_lshlrev_b16 v39, 8, v39
	v_cndmask_b32_e64 v22, 0, -1, s2
	v_xor_b32_e32 v19, v19, v36
	v_bfe_i32 v36, v20, 0, 1
	v_bfe_i32 v37, v37, 0, 1
	v_lshlrev_b16 v38, 8, v38
	v_lshlrev_b16 v22, 8, v22
	v_lshrrev_b32_e32 v8, 16, v19
	v_or_b32_sdwa v18, v36, v39 dst_sel:DWORD dst_unused:UNUSED_PAD src0_sel:BYTE_0 src1_sel:DWORD
	v_and_b32_e32 v40, 0xffffff00, v19
	v_lshlrev_b16 v19, 8, v19
	v_or_b32_sdwa v21, v37, v22 dst_sel:WORD_1 dst_unused:UNUSED_PAD src0_sel:BYTE_0 src1_sel:DWORD
	v_and_b32_e32 v41, 0xffffff00, v8
	v_lshlrev_b16 v8, 8, v8
	v_dot4c_i32_i8 v35, v7, v9
	v_sub_nc_i16 v19, v19, v38 clamp
	v_or_b32_sdwa v18, v18, v21 dst_sel:DWORD dst_unused:UNUSED_PAD src0_sel:WORD_0 src1_sel:DWORD
	v_lshlrev_b16 v21, 8, v23
	v_sub_nc_i16 v23, v40, v42 clamp
	v_lshlrev_b16 v36, 8, v36
	v_lshlrev_b16 v37, 8, v37
	s_waitcnt vmcnt(1)
	v_xor_b32_e32 v16, v16, v18
	v_sub_nc_i16 v18, v41, v34 clamp
	v_sub_nc_i16 v8, v8, v21 clamp
	v_perm_b32 v9, v19, v23, 0xc0c0105
	v_bfe_u32 v23, v13, 21, 8
	v_and_b32_e32 v7, 0xffffff00, v16
	v_lshrrev_b32_e32 v19, 16, v16
	v_perm_b32 v8, v8, v18, 0xc0c0105
	v_and_b32_e32 v18, 0x80402010, v20
	v_lshrrev_b32_e32 v20, 22, v20
	v_bcnt_u32_b32 v38, v23, 0
	v_lshlrev_b16 v16, 8, v16
	v_sub_nc_i16 v7, v7, v39 clamp
	v_cmp_ne_u16_sdwa s2, v18, v30 src0_sel:BYTE_1 src1_sel:DWORD
	v_lshrrev_b16 v21, 4, v18
	v_bfe_i32 v20, v20, 0, 1
	v_and_b32_e32 v38, 1, v38
	v_and_b32_e32 v39, 0xffffff00, v19
	v_cndmask_b32_e64 v34, 0, -1, s2
	v_cmp_ne_u16_sdwa s2, v18, v30 src0_sel:BYTE_3 src1_sel:DWORD
	v_bfe_i32 v21, v21, 0, 1
	v_lshlrev_b32_e32 v38, 7, v38
	v_lshlrev_b16 v19, 8, v19
	v_lshlrev_b16 v34, 8, v34
	v_cndmask_b32_e64 v18, 0, -1, s2
	v_sub_nc_i16 v16, v16, v36 clamp
	v_xor_b32_e32 v23, v38, v23
	v_sub_nc_i16 v22, v39, v22 clamp
	v_or_b32_sdwa v40, v21, v34 dst_sel:DWORD dst_unused:UNUSED_PAD src0_sel:BYTE_0 src1_sel:DWORD
	v_lshlrev_b16 v18, 8, v18
	v_sub_nc_i16 v19, v19, v37 clamp
	v_lshl_or_b32 v8, v8, 16, v9
	v_perm_b32 v7, v16, v7, 0xc0c0105
	v_or_b32_sdwa v41, v20, v18 dst_sel:WORD_1 dst_unused:UNUSED_PAD src0_sel:BYTE_0 src1_sel:DWORD
	v_perm_b32 v16, v19, v22, 0xc0c0105
	v_dot4c_i32_i8 v35, v8, v2
	v_lshlrev_b16 v20, 8, v20
	v_or_b32_sdwa v36, v40, v41 dst_sel:DWORD dst_unused:UNUSED_PAD src0_sel:WORD_0 src1_sel:DWORD
	v_lshl_or_b32 v2, v16, 16, v7
	v_xor_b32_e32 v9, v17, v36
	v_mul_lo_u32 v17, 0x1010101, v23
	v_dot4c_i32_i8 v35, v2, v3
	v_and_b32_e32 v19, 0xffffff00, v9
	v_lshlrev_b16 v16, 8, v9
	v_lshrrev_b32_e32 v9, 16, v9
	v_and_b32_e32 v7, 0x8040201, v17
	v_sub_nc_i16 v8, v19, v34 clamp
	v_lshlrev_b16 v19, 8, v21
	v_lshrrev_b32_e32 v21, 18, v17
	v_and_b32_e32 v23, 0x80402010, v17
	v_cmp_ne_u16_sdwa s2, v7, v30 src0_sel:BYTE_1 src1_sel:DWORD
	v_sub_nc_i16 v16, v16, v19 clamp
	v_bfe_i32 v19, v17, 0, 1
	v_bfe_i32 v21, v21, 0, 1
	v_cndmask_b32_e64 v22, 0, -1, s2
	v_cmp_ne_u16_sdwa s2, v7, v30 src0_sel:BYTE_3 src1_sel:DWORD
	v_perm_b32 v2, v16, v8, 0xc0c0105
	v_and_b32_e32 v16, 0xffffff00, v9
	v_lshlrev_b16 v9, 8, v9
	v_lshlrev_b16 v22, 8, v22
	v_cndmask_b32_e64 v7, 0, -1, s2
	v_cmp_ne_u16_sdwa s2, v23, v30 src0_sel:BYTE_1 src1_sel:DWORD
	v_sub_nc_i16 v16, v16, v18 clamp
	v_sub_nc_i16 v9, v9, v20 clamp
	v_or_b32_sdwa v3, v19, v22 dst_sel:DWORD dst_unused:UNUSED_PAD src0_sel:BYTE_0 src1_sel:DWORD
	v_lshlrev_b16 v7, 8, v7
	v_cndmask_b32_e64 v34, 0, -1, s2
	v_cmp_ne_u16_sdwa s2, v23, v30 src0_sel:BYTE_3 src1_sel:DWORD
	v_lshlrev_b16 v19, 8, v19
	v_perm_b32 v9, v9, v16, 0xc0c0105
	v_or_b32_sdwa v8, v21, v7 dst_sel:WORD_1 dst_unused:UNUSED_PAD src0_sel:BYTE_0 src1_sel:DWORD
	v_lshl_or_b32 v2, v9, 16, v2
	v_or_b32_sdwa v3, v3, v8 dst_sel:DWORD dst_unused:UNUSED_PAD src0_sel:WORD_0 src1_sel:DWORD
	v_lshrrev_b32_e32 v8, 22, v17
	v_lshrrev_b16 v17, 4, v23
	v_cndmask_b32_e64 v23, 0, -1, s2
	v_dot4c_i32_i8 v35, v2, v4
	s_waitcnt vmcnt(0)
	v_xor_b32_e32 v3, v14, v3
	v_bfe_i32 v8, v8, 0, 1
	v_bfe_i32 v14, v17, 0, 1
	v_lshlrev_b16 v17, 8, v34
	v_lshlrev_b16 v23, 8, v23
	v_and_b32_e32 v18, 0xffffff00, v3
	v_lshlrev_b16 v36, 8, v3
	v_lshrrev_b32_e32 v3, 16, v3
	v_or_b32_sdwa v20, v14, v17 dst_sel:DWORD dst_unused:UNUSED_PAD src0_sel:BYTE_0 src1_sel:DWORD
	v_or_b32_sdwa v34, v8, v23 dst_sel:WORD_1 dst_unused:UNUSED_PAD src0_sel:BYTE_0 src1_sel:DWORD
	v_sub_nc_i16 v18, v18, v22 clamp
	v_sub_nc_i16 v19, v36, v19 clamp
	v_lshlrev_b16 v14, 8, v14
	v_lshlrev_b16 v8, 8, v8
	v_or_b32_sdwa v16, v20, v34 dst_sel:DWORD dst_unused:UNUSED_PAD src0_sel:WORD_0 src1_sel:DWORD
	v_and_b32_e32 v20, 0xffffff00, v3
	v_lshlrev_b16 v3, 8, v3
	v_perm_b32 v9, v19, v18, 0xc0c0105
	v_add_co_u32 v10, s2, 0x480, v10
	v_xor_b32_e32 v15, v15, v16
	v_lshlrev_b16 v16, 8, v21
	v_sub_nc_i16 v7, v20, v7 clamp
	v_add_co_ci_u32_e64 v11, null, 0, v11, s2
	v_lshrrev_b32_e32 v18, 16, v15
	v_sub_nc_i16 v3, v3, v16 clamp
	v_and_b32_e32 v16, 0xffffff00, v15
	v_lshlrev_b16 v15, 8, v15
	v_and_b32_e32 v19, 0xffffff00, v18
	v_lshlrev_b16 v18, 8, v18
	v_perm_b32 v3, v3, v7, 0xc0c0105
	v_sub_nc_i16 v7, v16, v17 clamp
	v_sub_nc_i16 v14, v15, v14 clamp
	;; [unrolled: 1-line block ×4, first 2 shown]
	v_lshl_or_b32 v2, v3, 16, v9
	v_perm_b32 v3, v14, v7, 0xc0c0105
	v_perm_b32 v4, v8, v15, 0xc0c0105
	v_dot4c_i32_i8 v35, v2, v5
	v_lshl_or_b32 v2, v4, 16, v3
	v_lshrrev_b32_e32 v3, 27, v13
	v_dot4c_i32_i8 v35, v2, v12
	v_or_b32_e32 v2, 1, v3
	v_mul_lo_u32 v2, v35, v2
	v_ashrrev_i32_e32 v3, 31, v2
	v_lshrrev_b32_e32 v3, 29, v3
	v_add_nc_u32_e32 v2, v2, v3
	v_cvt_f32_f16_e32 v3, v33
	v_ashrrev_i32_e32 v2, 3, v2
	v_mul_f32_e32 v3, v3, v6
	v_cvt_f32_i32_e32 v2, v2
	v_fmac_f32_e32 v29, v3, v2
	s_andn2_b32 exec_lo, exec_lo, s14
	s_cbranch_execz .LBB157_16
.LBB157_14:                             ; =>This Inner Loop Header: Depth=1
	v_add_nc_u32_e32 v22, s15, v28
	s_getpc_b64 s[2:3]
	s_add_u32 s2, s2, _ZL11iq2xxs_grid@rel32@lo+4
	s_addc_u32 s3, s3, _ZL11iq2xxs_grid@rel32@hi+12
	v_mad_i64_i32 v[14:15], null, 0x42, v22, s[12:13]
	v_add_co_u32 v2, vcc_lo, v14, v32
	v_add_co_ci_u32_e64 v3, null, 0, v15, vcc_lo
	s_andn2_b32 vcc_lo, exec_lo, s9
	global_load_dwordx2 v[12:13], v[2:3], off offset:2
	s_clause 0x1
	global_load_dwordx4 v[6:9], v[10:11], off offset:-32
	global_load_dwordx4 v[2:5], v[10:11], off offset:-16
	global_load_ushort v33, v[14:15], off
	s_waitcnt vmcnt(2)
	v_cvt_f32_f16_e32 v6, v6
	v_lshlrev_b32_sdwa v14, v31, v12 dst_sel:DWORD dst_unused:UNUSED_PAD src0_sel:DWORD src1_sel:BYTE_0
	v_lshlrev_b32_sdwa v15, v31, v12 dst_sel:DWORD dst_unused:UNUSED_PAD src0_sel:DWORD src1_sel:BYTE_1
	v_lshlrev_b32_sdwa v16, v31, v12 dst_sel:DWORD dst_unused:UNUSED_PAD src0_sel:DWORD src1_sel:BYTE_2
	v_lshlrev_b32_sdwa v23, v31, v12 dst_sel:DWORD dst_unused:UNUSED_PAD src0_sel:DWORD src1_sel:BYTE_3
	global_load_dword v12, v[10:11], off
	s_clause 0x3
	global_load_dwordx2 v[20:21], v14, s[2:3]
	global_load_dwordx2 v[18:19], v15, s[2:3]
	;; [unrolled: 1-line block ×4, first 2 shown]
	s_cbranch_vccnz .LBB157_13
; %bb.15:                               ;   in Loop: Header=BB157_14 Depth=1
	v_mad_i64_i32 v[22:23], null, 0x42, v22, s[28:29]
	v_add_co_u32 v34, vcc_lo, v22, v32
	v_add_co_ci_u32_e64 v35, null, 0, v23, vcc_lo
	s_clause 0x1
	global_load_ushort v22, v[22:23], off
	global_load_dwordx2 v[34:35], v[34:35], off offset:2
	s_waitcnt vmcnt(1)
	v_cvt_f32_f16_e32 v22, v22
	s_waitcnt vmcnt(0)
	v_lshlrev_b32_sdwa v36, v31, v34 dst_sel:DWORD dst_unused:UNUSED_PAD src0_sel:DWORD src1_sel:BYTE_0
	v_and_b32_e32 v38, 0xff, v35
	v_mul_f32_e32 v22, v6, v22
	global_load_dwordx2 v[36:37], v36, s[2:3]
	v_bcnt_u32_b32 v39, v38, 0
	v_and_b32_e32 v39, 1, v39
	v_lshlrev_b32_e32 v39, 7, v39
	v_xor_b32_e32 v38, v39, v38
	v_mul_lo_u32 v38, 0x1010101, v38
	v_and_b32_e32 v39, 0x8040201, v38
	v_lshrrev_b32_e32 v40, 18, v38
	v_cmp_ne_u16_sdwa s16, v39, v30 src0_sel:BYTE_3 src1_sel:DWORD
	v_cmp_ne_u16_sdwa s17, v39, v30 src0_sel:BYTE_1 src1_sel:DWORD
	v_bfe_i32 v39, v38, 0, 1
	v_bfe_i32 v40, v40, 0, 1
	v_cndmask_b32_e64 v43, 0, -1, s16
	v_cndmask_b32_e64 v41, 0, -1, s17
	v_lshlrev_b16 v43, 8, v43
	v_lshlrev_b16 v41, 8, v41
	v_or_b32_sdwa v44, v40, v43 dst_sel:WORD_1 dst_unused:UNUSED_PAD src0_sel:BYTE_0 src1_sel:DWORD
	v_or_b32_sdwa v42, v39, v41 dst_sel:DWORD dst_unused:UNUSED_PAD src0_sel:BYTE_0 src1_sel:DWORD
	v_lshlrev_b16 v39, 8, v39
	v_lshlrev_b16 v40, 8, v40
	v_or_b32_sdwa v42, v42, v44 dst_sel:DWORD dst_unused:UNUSED_PAD src0_sel:WORD_0 src1_sel:DWORD
	s_waitcnt vmcnt(0)
	v_xor_b32_e32 v36, v36, v42
	v_lshrrev_b32_e32 v42, 16, v36
	v_and_b32_e32 v44, 0xffffff00, v36
	v_lshlrev_b16 v36, 8, v36
	v_sub_nc_i16 v41, v44, v41 clamp
	v_sub_nc_i16 v36, v36, v39 clamp
	v_and_b32_e32 v39, 0xffffff00, v42
	v_perm_b32 v36, v36, v41, 0xc0c0105
	v_lshlrev_b16 v41, 8, v42
	v_sub_nc_i16 v39, v39, v43 clamp
	v_sub_nc_i16 v40, v41, v40 clamp
	v_perm_b32 v39, v40, v39, 0xc0c0105
	v_lshl_or_b32 v36, v39, 16, v36
	v_mov_b32_e32 v39, 0
	v_dot4c_i32_i8 v39, v36, v7
	v_and_b32_e32 v36, 0x80402010, v38
	v_lshrrev_b32_e32 v38, 22, v38
	v_cmp_ne_u16_sdwa s16, v36, v30 src0_sel:BYTE_3 src1_sel:DWORD
	v_cmp_ne_u16_sdwa s17, v36, v30 src0_sel:BYTE_1 src1_sel:DWORD
	v_lshrrev_b16 v36, 4, v36
	v_bfe_i32 v38, v38, 0, 1
	v_cndmask_b32_e64 v42, 0, -1, s16
	v_cndmask_b32_e64 v40, 0, -1, s17
	v_bfe_i32 v36, v36, 0, 1
	v_lshlrev_b16 v42, 8, v42
	v_lshlrev_b16 v40, 8, v40
	v_or_b32_sdwa v43, v38, v42 dst_sel:WORD_1 dst_unused:UNUSED_PAD src0_sel:BYTE_0 src1_sel:DWORD
	v_or_b32_sdwa v41, v36, v40 dst_sel:DWORD dst_unused:UNUSED_PAD src0_sel:BYTE_0 src1_sel:DWORD
	v_lshlrev_b16 v36, 8, v36
	v_lshlrev_b16 v38, 8, v38
	v_or_b32_sdwa v41, v41, v43 dst_sel:DWORD dst_unused:UNUSED_PAD src0_sel:WORD_0 src1_sel:DWORD
	v_xor_b32_e32 v37, v37, v41
	v_lshrrev_b32_e32 v41, 16, v37
	v_and_b32_e32 v43, 0xffffff00, v37
	v_lshlrev_b16 v37, 8, v37
	v_sub_nc_i16 v40, v43, v40 clamp
	v_sub_nc_i16 v36, v37, v36 clamp
	v_and_b32_e32 v37, 0xffffff00, v41
	v_perm_b32 v36, v36, v40, 0xc0c0105
	v_lshlrev_b16 v40, 8, v41
	v_sub_nc_i16 v37, v37, v42 clamp
	v_sub_nc_i16 v38, v40, v38 clamp
	v_perm_b32 v37, v38, v37, 0xc0c0105
	v_bfe_u32 v38, v35, 7, 8
	v_lshl_or_b32 v36, v37, 16, v36
	v_bcnt_u32_b32 v40, v38, 0
	v_dot4c_i32_i8 v39, v36, v8
	v_lshlrev_b32_sdwa v36, v31, v34 dst_sel:DWORD dst_unused:UNUSED_PAD src0_sel:DWORD src1_sel:BYTE_1
	v_and_b32_e32 v40, 1, v40
	global_load_dwordx2 v[36:37], v36, s[2:3]
	v_lshlrev_b32_e32 v40, 7, v40
	v_xor_b32_e32 v38, v40, v38
	v_mul_lo_u32 v38, 0x1010101, v38
	v_and_b32_e32 v40, 0x8040201, v38
	v_lshrrev_b32_e32 v41, 18, v38
	v_cmp_ne_u16_sdwa s16, v40, v30 src0_sel:BYTE_3 src1_sel:DWORD
	v_cmp_ne_u16_sdwa s17, v40, v30 src0_sel:BYTE_1 src1_sel:DWORD
	v_bfe_i32 v40, v38, 0, 1
	v_bfe_i32 v41, v41, 0, 1
	v_cndmask_b32_e64 v44, 0, -1, s16
	v_cndmask_b32_e64 v42, 0, -1, s17
	v_lshlrev_b16 v44, 8, v44
	v_lshlrev_b16 v42, 8, v42
	v_or_b32_sdwa v45, v41, v44 dst_sel:WORD_1 dst_unused:UNUSED_PAD src0_sel:BYTE_0 src1_sel:DWORD
	v_or_b32_sdwa v43, v40, v42 dst_sel:DWORD dst_unused:UNUSED_PAD src0_sel:BYTE_0 src1_sel:DWORD
	v_lshlrev_b16 v40, 8, v40
	v_lshlrev_b16 v41, 8, v41
	v_or_b32_sdwa v43, v43, v45 dst_sel:DWORD dst_unused:UNUSED_PAD src0_sel:WORD_0 src1_sel:DWORD
	s_waitcnt vmcnt(0)
	v_xor_b32_e32 v36, v36, v43
	v_lshrrev_b32_e32 v43, 16, v36
	v_and_b32_e32 v45, 0xffffff00, v36
	v_lshlrev_b16 v36, 8, v36
	v_sub_nc_i16 v42, v45, v42 clamp
	v_sub_nc_i16 v36, v36, v40 clamp
	v_and_b32_e32 v40, 0xffffff00, v43
	v_perm_b32 v36, v36, v42, 0xc0c0105
	v_lshlrev_b16 v42, 8, v43
	v_sub_nc_i16 v40, v40, v44 clamp
	v_sub_nc_i16 v41, v42, v41 clamp
	v_perm_b32 v40, v41, v40, 0xc0c0105
	v_lshl_or_b32 v36, v40, 16, v36
	v_dot4c_i32_i8 v39, v36, v9
	v_and_b32_e32 v36, 0x80402010, v38
	v_lshrrev_b32_e32 v38, 22, v38
	v_cmp_ne_u16_sdwa s16, v36, v30 src0_sel:BYTE_3 src1_sel:DWORD
	v_cmp_ne_u16_sdwa s17, v36, v30 src0_sel:BYTE_1 src1_sel:DWORD
	v_lshrrev_b16 v36, 4, v36
	v_bfe_i32 v38, v38, 0, 1
	v_cndmask_b32_e64 v42, 0, -1, s16
	v_cndmask_b32_e64 v40, 0, -1, s17
	v_bfe_i32 v36, v36, 0, 1
	v_lshlrev_b16 v42, 8, v42
	v_lshlrev_b16 v40, 8, v40
	v_or_b32_sdwa v43, v38, v42 dst_sel:WORD_1 dst_unused:UNUSED_PAD src0_sel:BYTE_0 src1_sel:DWORD
	v_or_b32_sdwa v41, v36, v40 dst_sel:DWORD dst_unused:UNUSED_PAD src0_sel:BYTE_0 src1_sel:DWORD
	v_lshlrev_b16 v36, 8, v36
	v_lshlrev_b16 v38, 8, v38
	v_or_b32_sdwa v41, v41, v43 dst_sel:DWORD dst_unused:UNUSED_PAD src0_sel:WORD_0 src1_sel:DWORD
	v_xor_b32_e32 v37, v37, v41
	v_lshrrev_b32_e32 v41, 16, v37
	v_and_b32_e32 v43, 0xffffff00, v37
	v_lshlrev_b16 v37, 8, v37
	v_sub_nc_i16 v40, v43, v40 clamp
	v_sub_nc_i16 v36, v37, v36 clamp
	v_and_b32_e32 v37, 0xffffff00, v41
	v_perm_b32 v36, v36, v40, 0xc0c0105
	v_lshlrev_b16 v40, 8, v41
	v_sub_nc_i16 v37, v37, v42 clamp
	v_sub_nc_i16 v38, v40, v38 clamp
	v_perm_b32 v37, v38, v37, 0xc0c0105
	v_bfe_u32 v38, v35, 14, 8
	v_lshl_or_b32 v36, v37, 16, v36
	v_bcnt_u32_b32 v40, v38, 0
	v_dot4c_i32_i8 v39, v36, v2
	v_lshlrev_b32_sdwa v36, v31, v34 dst_sel:DWORD dst_unused:UNUSED_PAD src0_sel:DWORD src1_sel:BYTE_2
	v_and_b32_e32 v40, 1, v40
	v_lshlrev_b32_sdwa v34, v31, v34 dst_sel:DWORD dst_unused:UNUSED_PAD src0_sel:DWORD src1_sel:BYTE_3
	global_load_dwordx2 v[36:37], v36, s[2:3]
	v_lshlrev_b32_e32 v40, 7, v40
	v_xor_b32_e32 v38, v40, v38
	v_mul_lo_u32 v38, 0x1010101, v38
	v_and_b32_e32 v40, 0x8040201, v38
	v_lshrrev_b32_e32 v41, 18, v38
	v_cmp_ne_u16_sdwa s16, v40, v30 src0_sel:BYTE_3 src1_sel:DWORD
	v_cmp_ne_u16_sdwa s17, v40, v30 src0_sel:BYTE_1 src1_sel:DWORD
	v_bfe_i32 v40, v38, 0, 1
	v_bfe_i32 v41, v41, 0, 1
	v_cndmask_b32_e64 v44, 0, -1, s16
	v_cndmask_b32_e64 v42, 0, -1, s17
	v_lshlrev_b16 v44, 8, v44
	v_lshlrev_b16 v42, 8, v42
	v_or_b32_sdwa v45, v41, v44 dst_sel:WORD_1 dst_unused:UNUSED_PAD src0_sel:BYTE_0 src1_sel:DWORD
	v_or_b32_sdwa v43, v40, v42 dst_sel:DWORD dst_unused:UNUSED_PAD src0_sel:BYTE_0 src1_sel:DWORD
	v_lshlrev_b16 v40, 8, v40
	v_lshlrev_b16 v41, 8, v41
	v_or_b32_sdwa v43, v43, v45 dst_sel:DWORD dst_unused:UNUSED_PAD src0_sel:WORD_0 src1_sel:DWORD
	s_waitcnt vmcnt(0)
	v_xor_b32_e32 v36, v36, v43
	v_lshrrev_b32_e32 v43, 16, v36
	v_and_b32_e32 v45, 0xffffff00, v36
	v_lshlrev_b16 v36, 8, v36
	v_sub_nc_i16 v42, v45, v42 clamp
	v_sub_nc_i16 v36, v36, v40 clamp
	v_and_b32_e32 v40, 0xffffff00, v43
	v_perm_b32 v36, v36, v42, 0xc0c0105
	v_lshlrev_b16 v42, 8, v43
	v_sub_nc_i16 v40, v40, v44 clamp
	v_sub_nc_i16 v41, v42, v41 clamp
	v_perm_b32 v40, v41, v40, 0xc0c0105
	v_lshl_or_b32 v36, v40, 16, v36
	v_dot4c_i32_i8 v39, v36, v3
	v_and_b32_e32 v36, 0x80402010, v38
	v_lshrrev_b32_e32 v38, 22, v38
	v_cmp_ne_u16_sdwa s16, v36, v30 src0_sel:BYTE_3 src1_sel:DWORD
	v_cmp_ne_u16_sdwa s17, v36, v30 src0_sel:BYTE_1 src1_sel:DWORD
	v_lshrrev_b16 v36, 4, v36
	v_bfe_i32 v38, v38, 0, 1
	v_cndmask_b32_e64 v42, 0, -1, s16
	v_cndmask_b32_e64 v40, 0, -1, s17
	v_bfe_i32 v36, v36, 0, 1
	v_lshlrev_b16 v42, 8, v42
	v_lshlrev_b16 v40, 8, v40
	v_or_b32_sdwa v43, v38, v42 dst_sel:WORD_1 dst_unused:UNUSED_PAD src0_sel:BYTE_0 src1_sel:DWORD
	v_or_b32_sdwa v41, v36, v40 dst_sel:DWORD dst_unused:UNUSED_PAD src0_sel:BYTE_0 src1_sel:DWORD
	v_lshlrev_b16 v36, 8, v36
	v_lshlrev_b16 v38, 8, v38
	v_or_b32_sdwa v41, v41, v43 dst_sel:DWORD dst_unused:UNUSED_PAD src0_sel:WORD_0 src1_sel:DWORD
	v_xor_b32_e32 v37, v37, v41
	v_lshrrev_b32_e32 v41, 16, v37
	v_and_b32_e32 v43, 0xffffff00, v37
	v_lshlrev_b16 v37, 8, v37
	v_sub_nc_i16 v40, v43, v40 clamp
	v_sub_nc_i16 v36, v37, v36 clamp
	v_and_b32_e32 v37, 0xffffff00, v41
	v_perm_b32 v36, v36, v40, 0xc0c0105
	v_lshlrev_b16 v40, 8, v41
	v_sub_nc_i16 v37, v37, v42 clamp
	v_sub_nc_i16 v38, v40, v38 clamp
	v_perm_b32 v37, v38, v37, 0xc0c0105
	v_lshl_or_b32 v36, v37, 16, v36
	v_dot4c_i32_i8 v39, v36, v4
	global_load_dwordx2 v[36:37], v34, s[2:3]
	v_bfe_u32 v34, v35, 21, 8
	v_bcnt_u32_b32 v38, v34, 0
	v_and_b32_e32 v38, 1, v38
	v_lshlrev_b32_e32 v38, 7, v38
	v_xor_b32_e32 v34, v38, v34
	v_mul_lo_u32 v34, 0x1010101, v34
	v_and_b32_e32 v38, 0x8040201, v34
	v_lshrrev_b32_e32 v40, 18, v34
	v_cmp_ne_u16_sdwa s2, v38, v30 src0_sel:BYTE_3 src1_sel:DWORD
	v_cmp_ne_u16_sdwa s3, v38, v30 src0_sel:BYTE_1 src1_sel:DWORD
	v_bfe_i32 v38, v34, 0, 1
	v_bfe_i32 v40, v40, 0, 1
	v_cndmask_b32_e64 v43, 0, -1, s2
	v_cndmask_b32_e64 v41, 0, -1, s3
	v_lshlrev_b16 v43, 8, v43
	v_lshlrev_b16 v41, 8, v41
	v_or_b32_sdwa v44, v40, v43 dst_sel:WORD_1 dst_unused:UNUSED_PAD src0_sel:BYTE_0 src1_sel:DWORD
	v_or_b32_sdwa v42, v38, v41 dst_sel:DWORD dst_unused:UNUSED_PAD src0_sel:BYTE_0 src1_sel:DWORD
	v_lshlrev_b16 v38, 8, v38
	v_lshlrev_b16 v40, 8, v40
	v_or_b32_sdwa v42, v42, v44 dst_sel:DWORD dst_unused:UNUSED_PAD src0_sel:WORD_0 src1_sel:DWORD
	s_waitcnt vmcnt(0)
	v_xor_b32_e32 v36, v36, v42
	v_lshrrev_b32_e32 v42, 16, v36
	v_and_b32_e32 v44, 0xffffff00, v36
	v_lshlrev_b16 v36, 8, v36
	v_sub_nc_i16 v41, v44, v41 clamp
	v_sub_nc_i16 v36, v36, v38 clamp
	v_and_b32_e32 v38, 0xffffff00, v42
	v_perm_b32 v36, v36, v41, 0xc0c0105
	v_lshlrev_b16 v41, 8, v42
	v_sub_nc_i16 v38, v38, v43 clamp
	v_sub_nc_i16 v40, v41, v40 clamp
	v_perm_b32 v38, v40, v38, 0xc0c0105
	v_lshl_or_b32 v36, v38, 16, v36
	v_dot4c_i32_i8 v39, v36, v5
	v_and_b32_e32 v36, 0x80402010, v34
	v_lshrrev_b32_e32 v34, 22, v34
	v_cmp_ne_u16_sdwa s2, v36, v30 src0_sel:BYTE_3 src1_sel:DWORD
	v_cmp_ne_u16_sdwa s3, v36, v30 src0_sel:BYTE_1 src1_sel:DWORD
	v_lshrrev_b16 v36, 4, v36
	v_bfe_i32 v34, v34, 0, 1
	v_cndmask_b32_e64 v41, 0, -1, s2
	v_cndmask_b32_e64 v38, 0, -1, s3
	v_bfe_i32 v36, v36, 0, 1
	v_lshlrev_b16 v41, 8, v41
	v_lshlrev_b16 v38, 8, v38
	v_or_b32_sdwa v42, v34, v41 dst_sel:WORD_1 dst_unused:UNUSED_PAD src0_sel:BYTE_0 src1_sel:DWORD
	v_or_b32_sdwa v40, v36, v38 dst_sel:DWORD dst_unused:UNUSED_PAD src0_sel:BYTE_0 src1_sel:DWORD
	v_lshlrev_b16 v36, 8, v36
	v_lshlrev_b16 v34, 8, v34
	v_or_b32_sdwa v40, v40, v42 dst_sel:DWORD dst_unused:UNUSED_PAD src0_sel:WORD_0 src1_sel:DWORD
	v_xor_b32_e32 v37, v37, v40
	v_lshrrev_b32_e32 v40, 16, v37
	v_and_b32_e32 v42, 0xffffff00, v37
	v_lshlrev_b16 v37, 8, v37
	v_sub_nc_i16 v38, v42, v38 clamp
	v_sub_nc_i16 v36, v37, v36 clamp
	v_and_b32_e32 v37, 0xffffff00, v40
	v_perm_b32 v36, v36, v38, 0xc0c0105
	v_lshlrev_b16 v38, 8, v40
	v_sub_nc_i16 v37, v37, v41 clamp
	v_sub_nc_i16 v34, v38, v34 clamp
	v_perm_b32 v34, v34, v37, 0xc0c0105
	v_lshl_or_b32 v34, v34, 16, v36
	v_dot4c_i32_i8 v39, v34, v12
	v_lshrrev_b32_e32 v34, 27, v35
	v_or_b32_e32 v34, 1, v34
	v_mul_lo_u32 v34, v39, v34
	v_ashrrev_i32_e32 v35, 31, v34
	v_lshrrev_b32_e32 v35, 29, v35
	v_add_nc_u32_e32 v34, v34, v35
	v_ashrrev_i32_e32 v34, 3, v34
	v_cvt_f32_i32_e32 v23, v34
	v_fmac_f32_e32 v27, v22, v23
	s_branch .LBB157_13
.LBB157_16:
	s_or_b32 exec_lo, exec_lo, s14
.LBB157_17:
	s_or_b32 exec_lo, exec_lo, s11
	s_load_dword s2, s[4:5], 0x30
	s_waitcnt vmcnt(0) lgkmcnt(0)
	; wave barrier
	buffer_gl0_inv
	s_mov_b32 s3, exec_lo
	v_cmpx_eq_u32_e32 0, v1
	s_cbranch_execz .LBB157_44
; %bb.18:
	v_mbcnt_lo_u32_b32 v2, -1, 0
	v_xor_b32_e32 v1, 16, v2
	v_xor_b32_e32 v4, 8, v2
	;; [unrolled: 1-line block ×3, first 2 shown]
	v_cmp_gt_i32_e32 vcc_lo, 32, v1
	v_cndmask_b32_e32 v1, v2, v1, vcc_lo
	v_cmp_gt_i32_e32 vcc_lo, 32, v4
	v_lshlrev_b32_e32 v1, 2, v1
	v_cndmask_b32_e32 v4, v2, v4, vcc_lo
	v_cmp_gt_i32_e32 vcc_lo, 32, v5
	ds_bpermute_b32 v3, v1, v29
	v_lshlrev_b32_e32 v4, 2, v4
	v_cndmask_b32_e32 v5, v2, v5, vcc_lo
	v_lshlrev_b32_e32 v5, 2, v5
	s_waitcnt lgkmcnt(0)
	v_add_f32_e32 v3, v29, v3
	ds_bpermute_b32 v6, v4, v3
	s_waitcnt lgkmcnt(0)
	v_add_f32_e32 v3, v3, v6
	v_xor_b32_e32 v6, 2, v2
	ds_bpermute_b32 v7, v5, v3
	v_cmp_gt_i32_e32 vcc_lo, 32, v6
	v_cndmask_b32_e32 v6, v2, v6, vcc_lo
	v_lshlrev_b32_e32 v6, 2, v6
	s_waitcnt lgkmcnt(0)
	v_add_f32_e32 v3, v3, v7
	v_xor_b32_e32 v7, 1, v2
	ds_bpermute_b32 v8, v6, v3
	v_cmp_gt_i32_e32 vcc_lo, 32, v7
	v_cndmask_b32_e32 v2, v2, v7, vcc_lo
	v_cmp_ne_u32_e32 vcc_lo, 1, v26
	v_lshlrev_b32_e32 v7, 2, v2
	s_waitcnt lgkmcnt(0)
	v_add_f32_e32 v2, v3, v8
	ds_bpermute_b32 v3, v7, v2
	s_cbranch_vccnz .LBB157_20
; %bb.19:
	ds_bpermute_b32 v1, v1, v27
	s_waitcnt lgkmcnt(0)
	v_add_f32_e32 v1, v27, v1
	ds_bpermute_b32 v4, v4, v1
	s_waitcnt lgkmcnt(0)
	v_add_f32_e32 v1, v1, v4
	;; [unrolled: 3-line block ×5, first 2 shown]
.LBB157_20:
	v_cmp_eq_u32_e32 vcc_lo, 0, v0
	s_and_b32 exec_lo, exec_lo, vcc_lo
	s_cbranch_execz .LBB157_44
; %bb.21:
	s_waitcnt lgkmcnt(0)
	v_add_f32_e32 v1, v2, v3
	v_cmp_ne_u32_e32 vcc_lo, 1, v26
	v_add_f32_e32 v2, v25, v1
	v_cndmask_b32_e64 v1, v1, v2, s0
	s_cbranch_vccnz .LBB157_43
; %bb.22:
	v_add_f32_e32 v2, v24, v27
	s_cmp_lt_i32 s2, 2
	s_mov_b32 s0, 0
	v_cndmask_b32_e64 v2, v27, v2, s1
	s_cbranch_scc1 .LBB157_26
; %bb.23:
	s_cmp_gt_i32 s2, 2
	s_cbranch_scc0 .LBB157_27
; %bb.24:
	s_cmp_eq_u32 s2, 3
	s_cbranch_scc0 .LBB157_28
; %bb.25:
	v_max_f32_e32 v3, v2, v2
	s_mov_b32 s1, 0
	v_min_f32_e32 v3, 0x40e00000, v3
	v_mul_f32_e32 v4, 0xbfd9db23, v3
	v_mul_f32_e32 v5, 0x3fb8aa3b, v4
	v_cmp_ngt_f32_e32 vcc_lo, 0xc2ce8ed0, v4
	v_fma_f32 v6, 0x3fb8aa3b, v4, -v5
	v_rndne_f32_e32 v7, v5
	v_fmamk_f32 v6, v4, 0x32a5705f, v6
	v_sub_f32_e32 v5, v5, v7
	v_add_f32_e32 v5, v5, v6
	v_cvt_i32_f32_e32 v6, v7
	v_exp_f32_e32 v5, v5
	v_ldexp_f32 v5, v5, v6
	v_cndmask_b32_e32 v5, 0, v5, vcc_lo
	v_cmp_nlt_f32_e32 vcc_lo, 0x42b17218, v4
	v_cndmask_b32_e32 v4, 0x7f800000, v5, vcc_lo
	v_add_f32_e32 v4, 1.0, v4
	v_div_scale_f32 v5, null, v4, v4, v3
	v_div_scale_f32 v8, vcc_lo, v3, v4, v3
	v_rcp_f32_e32 v6, v5
	v_fma_f32 v7, -v5, v6, 1.0
	v_fmac_f32_e32 v6, v7, v6
	v_mul_f32_e32 v7, v8, v6
	v_fma_f32 v9, -v5, v7, v8
	v_fmac_f32_e32 v7, v9, v6
	v_max_f32_e32 v9, v1, v1
	v_fma_f32 v5, -v5, v7, v8
	v_min_f32_e32 v8, 0x40e00000, v9
	v_div_fmas_f32 v5, v5, v6, v7
	v_max_f32_e32 v6, 0xc0e00000, v8
	v_div_fixup_f32 v3, v5, v4, v3
	v_add_f32_e32 v4, 1.0, v6
	v_mul_f32_e32 v3, v4, v3
	s_branch .LBB157_29
.LBB157_26:
	s_mov_b32 s1, 0
                                        ; implicit-def: $vgpr3
	s_cbranch_execnz .LBB157_33
	s_branch .LBB157_34
.LBB157_27:
	s_mov_b32 s3, -1
	s_mov_b32 s1, 0
                                        ; implicit-def: $vgpr3
	s_branch .LBB157_30
.LBB157_28:
	s_mov_b32 s1, -1
                                        ; implicit-def: $vgpr3
.LBB157_29:
	s_mov_b32 s3, 0
.LBB157_30:
	s_and_b32 vcc_lo, exec_lo, s3
	s_cbranch_vccz .LBB157_32
; %bb.31:
	v_mul_f32_e32 v3, 0xbfb8aa3b, v2
	v_cmp_nlt_f32_e32 vcc_lo, 0x42ce8ed0, v2
	v_rndne_f32_e32 v4, v3
	v_fma_f32 v5, 0xbfb8aa3b, v2, -v3
	v_sub_f32_e32 v3, v3, v4
	v_fmamk_f32 v5, v2, 0xb2a5705f, v5
	v_cvt_i32_f32_e32 v4, v4
	v_add_f32_e32 v3, v3, v5
	v_exp_f32_e32 v3, v3
	v_ldexp_f32 v3, v3, v4
	v_cndmask_b32_e32 v3, 0, v3, vcc_lo
	v_cmp_ngt_f32_e32 vcc_lo, 0xc2b17218, v2
	v_cndmask_b32_e32 v3, 0x7f800000, v3, vcc_lo
	v_add_f32_e32 v3, 1.0, v3
	v_div_scale_f32 v4, null, v3, v3, v2
	v_rcp_f32_e32 v5, v4
	v_fma_f32 v6, -v4, v5, 1.0
	v_fmac_f32_e32 v5, v6, v5
	v_div_scale_f32 v6, vcc_lo, v2, v3, v2
	v_mul_f32_e32 v7, v6, v5
	v_fma_f32 v8, -v4, v7, v6
	v_fmac_f32_e32 v7, v8, v5
	v_fma_f32 v4, -v4, v7, v6
	v_div_fmas_f32 v4, v4, v5, v7
	v_div_fixup_f32 v3, v4, v3, v2
	v_mul_f32_e32 v3, v1, v3
.LBB157_32:
	s_branch .LBB157_34
.LBB157_33:
	s_cmp_lg_u32 s2, 1
	s_mov_b32 s0, -1
	s_cselect_b32 s1, -1, 0
.LBB157_34:
	s_andn2_b32 vcc_lo, exec_lo, s1
	s_cbranch_vccz .LBB157_36
; %bb.35:
	s_andn2_b32 vcc_lo, exec_lo, s0
	s_cbranch_vccz .LBB157_37
	s_branch .LBB157_42
.LBB157_36:
	v_mul_f32_e32 v3, v2, v1
	s_cbranch_execnz .LBB157_42
.LBB157_37:
	v_mul_f32_e32 v3, 0x3d372713, v2
	v_mul_f32_e32 v4, 0x3f4c422a, v2
	v_fma_f32 v3, v2, v3, 1.0
	v_mul_f32_e32 v3, v4, v3
                                        ; implicit-def: $vgpr4
	v_cmp_ngt_f32_e64 s0, 0x3f200000, |v3|
	s_and_saveexec_b32 s1, s0
	s_xor_b32 s0, exec_lo, s1
	s_cbranch_execz .LBB157_39
; %bb.38:
	v_add_f32_e64 v4, |v3|, |v3|
	v_mul_f32_e32 v5, 0x3fb8aa3b, v4
	v_cmp_ngt_f32_e32 vcc_lo, 0xc2ce8ed0, v4
	v_rndne_f32_e32 v6, v5
	v_fma_f32 v7, 0x3fb8aa3b, v4, -v5
	v_sub_f32_e32 v5, v5, v6
	v_fmamk_f32 v7, v4, 0x32a5705f, v7
	v_cvt_i32_f32_e32 v6, v6
	v_add_f32_e32 v5, v5, v7
	v_exp_f32_e32 v5, v5
	v_ldexp_f32 v5, v5, v6
	v_cndmask_b32_e32 v5, 0, v5, vcc_lo
	v_cmp_nlt_f32_e32 vcc_lo, 0x42b17218, v4
	v_cndmask_b32_e32 v4, 0x7f800000, v5, vcc_lo
	v_add_f32_e32 v4, 1.0, v4
	v_rcp_f32_e32 v4, v4
	v_fma_f32 v4, v4, -2.0, 1.0
.LBB157_39:
	s_andn2_saveexec_b32 s0, s0
	s_cbranch_execz .LBB157_41
; %bb.40:
	v_mul_f32_e32 v4, v3, v3
	s_mov_b32 s1, 0xbbbac73d
	v_fmaak_f32 v5, s1, v4, 0x3ca908c9
	v_fmaak_f32 v5, v4, v5, 0xbd5c1c4e
	;; [unrolled: 1-line block ×4, first 2 shown]
	v_mul_f32_e64 v5, |v3|, v5
	v_fma_f32 v4, v4, v5, |v3|
.LBB157_41:
	s_or_b32 exec_lo, exec_lo, s0
	v_bfi_b32 v3, 0x7fffffff, v4, v3
	v_mul_f32_e32 v2, 0.5, v2
	v_add_f32_e32 v3, 1.0, v3
	v_mul_f32_e32 v2, v2, v3
	v_mul_f32_e32 v3, v1, v2
.LBB157_42:
	v_mov_b32_e32 v1, v3
.LBB157_43:
	s_load_dwordx2 s[0:1], s[4:5], 0x38
	s_mul_i32 s2, s22, s10
	s_mul_i32 s3, s26, s8
	s_add_i32 s2, s2, s6
	v_lshlrev_b32_e32 v0, 2, v0
	s_add_i32 s2, s2, s3
	s_mov_b32 s3, 0
	s_lshl_b64 s[2:3], s[2:3], 2
	s_waitcnt lgkmcnt(0)
	s_add_u32 s0, s0, s2
	s_addc_u32 s1, s1, s3
	global_store_dword v0, v1, s[0:1]
.LBB157_44:
	s_endpgm
	.section	.rodata,"a",@progbits
	.p2align	6, 0x0
	.amdhsa_kernel _ZL13mul_mat_vec_qIL9ggml_type16ELi1ELb1ELb1EEvPKvS2_PKi31ggml_cuda_mm_fusion_args_devicePfj15HIP_vector_typeIjLj3EEjjjS8_jjjS8_jjjj
		.amdhsa_group_segment_fixed_size 0
		.amdhsa_private_segment_fixed_size 0
		.amdhsa_kernarg_size 144
		.amdhsa_user_sgpr_count 6
		.amdhsa_user_sgpr_private_segment_buffer 1
		.amdhsa_user_sgpr_dispatch_ptr 0
		.amdhsa_user_sgpr_queue_ptr 0
		.amdhsa_user_sgpr_kernarg_segment_ptr 1
		.amdhsa_user_sgpr_dispatch_id 0
		.amdhsa_user_sgpr_flat_scratch_init 0
		.amdhsa_user_sgpr_private_segment_size 0
		.amdhsa_wavefront_size32 1
		.amdhsa_uses_dynamic_stack 0
		.amdhsa_system_sgpr_private_segment_wavefront_offset 0
		.amdhsa_system_sgpr_workgroup_id_x 1
		.amdhsa_system_sgpr_workgroup_id_y 1
		.amdhsa_system_sgpr_workgroup_id_z 1
		.amdhsa_system_sgpr_workgroup_info 0
		.amdhsa_system_vgpr_workitem_id 1
		.amdhsa_next_free_vgpr 54
		.amdhsa_next_free_sgpr 40
		.amdhsa_reserve_vcc 1
		.amdhsa_reserve_flat_scratch 0
		.amdhsa_float_round_mode_32 0
		.amdhsa_float_round_mode_16_64 0
		.amdhsa_float_denorm_mode_32 3
		.amdhsa_float_denorm_mode_16_64 3
		.amdhsa_dx10_clamp 1
		.amdhsa_ieee_mode 1
		.amdhsa_fp16_overflow 0
		.amdhsa_workgroup_processor_mode 1
		.amdhsa_memory_ordered 1
		.amdhsa_forward_progress 1
		.amdhsa_shared_vgpr_count 0
		.amdhsa_exception_fp_ieee_invalid_op 0
		.amdhsa_exception_fp_denorm_src 0
		.amdhsa_exception_fp_ieee_div_zero 0
		.amdhsa_exception_fp_ieee_overflow 0
		.amdhsa_exception_fp_ieee_underflow 0
		.amdhsa_exception_fp_ieee_inexact 0
		.amdhsa_exception_int_div_zero 0
	.end_amdhsa_kernel
	.section	.text._ZL13mul_mat_vec_qIL9ggml_type16ELi1ELb1ELb1EEvPKvS2_PKi31ggml_cuda_mm_fusion_args_devicePfj15HIP_vector_typeIjLj3EEjjjS8_jjjS8_jjjj,"axG",@progbits,_ZL13mul_mat_vec_qIL9ggml_type16ELi1ELb1ELb1EEvPKvS2_PKi31ggml_cuda_mm_fusion_args_devicePfj15HIP_vector_typeIjLj3EEjjjS8_jjjS8_jjjj,comdat
.Lfunc_end157:
	.size	_ZL13mul_mat_vec_qIL9ggml_type16ELi1ELb1ELb1EEvPKvS2_PKi31ggml_cuda_mm_fusion_args_devicePfj15HIP_vector_typeIjLj3EEjjjS8_jjjS8_jjjj, .Lfunc_end157-_ZL13mul_mat_vec_qIL9ggml_type16ELi1ELb1ELb1EEvPKvS2_PKi31ggml_cuda_mm_fusion_args_devicePfj15HIP_vector_typeIjLj3EEjjjS8_jjjS8_jjjj
                                        ; -- End function
	.set _ZL13mul_mat_vec_qIL9ggml_type16ELi1ELb1ELb1EEvPKvS2_PKi31ggml_cuda_mm_fusion_args_devicePfj15HIP_vector_typeIjLj3EEjjjS8_jjjS8_jjjj.num_vgpr, 54
	.set _ZL13mul_mat_vec_qIL9ggml_type16ELi1ELb1ELb1EEvPKvS2_PKi31ggml_cuda_mm_fusion_args_devicePfj15HIP_vector_typeIjLj3EEjjjS8_jjjS8_jjjj.num_agpr, 0
	.set _ZL13mul_mat_vec_qIL9ggml_type16ELi1ELb1ELb1EEvPKvS2_PKi31ggml_cuda_mm_fusion_args_devicePfj15HIP_vector_typeIjLj3EEjjjS8_jjjS8_jjjj.numbered_sgpr, 40
	.set _ZL13mul_mat_vec_qIL9ggml_type16ELi1ELb1ELb1EEvPKvS2_PKi31ggml_cuda_mm_fusion_args_devicePfj15HIP_vector_typeIjLj3EEjjjS8_jjjS8_jjjj.num_named_barrier, 0
	.set _ZL13mul_mat_vec_qIL9ggml_type16ELi1ELb1ELb1EEvPKvS2_PKi31ggml_cuda_mm_fusion_args_devicePfj15HIP_vector_typeIjLj3EEjjjS8_jjjS8_jjjj.private_seg_size, 0
	.set _ZL13mul_mat_vec_qIL9ggml_type16ELi1ELb1ELb1EEvPKvS2_PKi31ggml_cuda_mm_fusion_args_devicePfj15HIP_vector_typeIjLj3EEjjjS8_jjjS8_jjjj.uses_vcc, 1
	.set _ZL13mul_mat_vec_qIL9ggml_type16ELi1ELb1ELb1EEvPKvS2_PKi31ggml_cuda_mm_fusion_args_devicePfj15HIP_vector_typeIjLj3EEjjjS8_jjjS8_jjjj.uses_flat_scratch, 0
	.set _ZL13mul_mat_vec_qIL9ggml_type16ELi1ELb1ELb1EEvPKvS2_PKi31ggml_cuda_mm_fusion_args_devicePfj15HIP_vector_typeIjLj3EEjjjS8_jjjS8_jjjj.has_dyn_sized_stack, 0
	.set _ZL13mul_mat_vec_qIL9ggml_type16ELi1ELb1ELb1EEvPKvS2_PKi31ggml_cuda_mm_fusion_args_devicePfj15HIP_vector_typeIjLj3EEjjjS8_jjjS8_jjjj.has_recursion, 0
	.set _ZL13mul_mat_vec_qIL9ggml_type16ELi1ELb1ELb1EEvPKvS2_PKi31ggml_cuda_mm_fusion_args_devicePfj15HIP_vector_typeIjLj3EEjjjS8_jjjS8_jjjj.has_indirect_call, 0
	.section	.AMDGPU.csdata,"",@progbits
; Kernel info:
; codeLenInByte = 6240
; TotalNumSgprs: 42
; NumVgprs: 54
; ScratchSize: 0
; MemoryBound: 0
; FloatMode: 240
; IeeeMode: 1
; LDSByteSize: 0 bytes/workgroup (compile time only)
; SGPRBlocks: 0
; VGPRBlocks: 6
; NumSGPRsForWavesPerEU: 42
; NumVGPRsForWavesPerEU: 54
; Occupancy: 16
; WaveLimiterHint : 0
; COMPUTE_PGM_RSRC2:SCRATCH_EN: 0
; COMPUTE_PGM_RSRC2:USER_SGPR: 6
; COMPUTE_PGM_RSRC2:TRAP_HANDLER: 0
; COMPUTE_PGM_RSRC2:TGID_X_EN: 1
; COMPUTE_PGM_RSRC2:TGID_Y_EN: 1
; COMPUTE_PGM_RSRC2:TGID_Z_EN: 1
; COMPUTE_PGM_RSRC2:TIDIG_COMP_CNT: 1
	.section	.text._ZL13mul_mat_vec_qIL9ggml_type16ELi1ELb0ELb1EEvPKvS2_PKi31ggml_cuda_mm_fusion_args_devicePfj15HIP_vector_typeIjLj3EEjjjS8_jjjS8_jjjj,"axG",@progbits,_ZL13mul_mat_vec_qIL9ggml_type16ELi1ELb0ELb1EEvPKvS2_PKi31ggml_cuda_mm_fusion_args_devicePfj15HIP_vector_typeIjLj3EEjjjS8_jjjS8_jjjj,comdat
	.globl	_ZL13mul_mat_vec_qIL9ggml_type16ELi1ELb0ELb1EEvPKvS2_PKi31ggml_cuda_mm_fusion_args_devicePfj15HIP_vector_typeIjLj3EEjjjS8_jjjS8_jjjj ; -- Begin function _ZL13mul_mat_vec_qIL9ggml_type16ELi1ELb0ELb1EEvPKvS2_PKi31ggml_cuda_mm_fusion_args_devicePfj15HIP_vector_typeIjLj3EEjjjS8_jjjS8_jjjj
	.p2align	8
	.type	_ZL13mul_mat_vec_qIL9ggml_type16ELi1ELb0ELb1EEvPKvS2_PKi31ggml_cuda_mm_fusion_args_devicePfj15HIP_vector_typeIjLj3EEjjjS8_jjjS8_jjjj,@function
_ZL13mul_mat_vec_qIL9ggml_type16ELi1ELb0ELb1EEvPKvS2_PKi31ggml_cuda_mm_fusion_args_devicePfj15HIP_vector_typeIjLj3EEjjjS8_jjjS8_jjjj: ; @_ZL13mul_mat_vec_qIL9ggml_type16ELi1ELb0ELb1EEvPKvS2_PKi31ggml_cuda_mm_fusion_args_devicePfj15HIP_vector_typeIjLj3EEjjjS8_jjjS8_jjjj
; %bb.0:
	s_clause 0x1
	s_load_dwordx2 s[0:1], s[4:5], 0x10
	s_load_dwordx4 s[16:19], s[4:5], 0x40
	s_mov_b32 s10, s7
	s_waitcnt lgkmcnt(0)
	s_cmp_lg_u64 s[0:1], 0
	s_cselect_b32 s7, -1, 0
	s_cmp_eq_u64 s[0:1], 0
	s_cbranch_scc1 .LBB158_5
; %bb.1:
	s_mov_b32 s11, 0
	s_lshl_b64 s[2:3], s[10:11], 2
	s_add_u32 s0, s0, s2
	s_addc_u32 s1, s1, s3
	s_load_dword s20, s[0:1], 0x0
	s_clause 0x1
	s_load_dwordx4 s[0:3], s[4:5], 0x68
	s_load_dword s21, s[4:5], 0x50
	s_cbranch_execnz .LBB158_3
.LBB158_2:
	s_load_dwordx2 s[12:13], s[4:5], 0x5c
	s_waitcnt lgkmcnt(0)
	s_mul_hi_u32 s9, s12, s10
	s_add_i32 s9, s10, s9
	s_lshr_b32 s20, s9, s13
.LBB158_3:
	s_load_dword s11, s[4:5], 0x78
	s_andn2_b32 vcc_lo, exec_lo, s7
	s_cbranch_vccnz .LBB158_6
; %bb.4:
	s_mul_hi_u32 s7, s17, s10
	s_add_i32 s7, s10, s7
	s_lshr_b32 s7, s7, s18
	s_mul_i32 s7, s7, s19
	s_sub_i32 s17, s10, s7
	s_branch .LBB158_7
.LBB158_5:
                                        ; implicit-def: $sgpr20
	s_clause 0x1
	s_load_dwordx4 s[0:3], s[4:5], 0x68
	s_load_dword s21, s[4:5], 0x50
	s_branch .LBB158_2
.LBB158_6:
	s_mov_b32 s17, s10
.LBB158_7:
	s_load_dwordx4 s[12:15], s[4:5], 0x80
	v_lshl_or_b32 v2, v1, 5, v0
	v_mov_b32_e32 v7, 0
	s_lshr_b32 s9, s16, 8
	s_mov_b32 s7, exec_lo
	v_lshrrev_b32_e32 v6, 3, v2
	v_cmpx_gt_u32_e64 s9, v6
	s_cbranch_execz .LBB158_11
; %bb.8:
	v_lshrrev_b32_e32 v2, 3, v2
	s_waitcnt lgkmcnt(0)
	s_mul_i32 s1, s17, s1
	v_and_b32_e32 v5, 7, v0
	s_mul_hi_u32 s17, s1, 36
	s_mul_i32 s16, s1, 36
	s_mul_i32 s1, s13, s8
	v_mad_u64_u32 v[2:3], null, 0x120, v2, s[16:17]
	s_load_dwordx4 s[16:19], s[4:5], 0x0
	v_lshlrev_b32_e32 v4, 1, v0
	s_mul_i32 s21, s21, s6
	v_mov_b32_e32 v8, 0
	v_mov_b32_e32 v9, 3
	;; [unrolled: 1-line block ×3, first 2 shown]
	v_mad_u64_u32 v[2:3], null, s1, 36, v[2:3]
	v_and_b32_e32 v4, 14, v4
	s_mul_hi_u32 s1, s3, s8
	s_mul_i32 s0, s20, s0
	s_add_i32 s1, s8, s1
	s_mov_b32 s3, 0
	v_lshlrev_b32_e32 v4, 1, v4
	v_mad_u64_u32 v[2:3], null, v5, 36, v[2:3]
	s_lshr_b32 s1, s1, s11
	s_mul_i32 s1, s1, s12
	v_lshlrev_b32_e32 v10, 1, v4
	s_add_i32 s1, s1, s21
	s_waitcnt lgkmcnt(0)
	v_add_co_u32 v2, vcc_lo, s18, v2
	v_add_co_ci_u32_e64 v3, null, s19, v3, vcc_lo
	s_add_i32 s11, s0, s1
	v_add_co_u32 v2, vcc_lo, v2, 32
	v_add_co_ci_u32_e64 v3, null, 0, v3, vcc_lo
.LBB158_9:                              ; =>This Inner Loop Header: Depth=1
	v_add_nc_u32_e32 v4, s11, v6
	s_getpc_b64 s[0:1]
	s_add_u32 s0, s0, _ZL11iq2xxs_grid@rel32@lo+4
	s_addc_u32 s1, s1, _ZL11iq2xxs_grid@rel32@hi+12
	v_add_nc_u32_e32 v6, 4, v6
	v_mad_i64_i32 v[11:12], null, 0x42, v4, s[16:17]
	v_add_co_u32 v4, vcc_lo, v11, v10
	v_add_co_ci_u32_e64 v5, null, 0, v12, vcc_lo
	s_clause 0x1
	global_load_ushort v21, v[11:12], off
	global_load_dwordx2 v[4:5], v[4:5], off offset:2
	s_waitcnt vmcnt(0)
	v_lshlrev_b32_sdwa v11, v9, v4 dst_sel:DWORD dst_unused:UNUSED_PAD src0_sel:DWORD src1_sel:BYTE_0
	v_lshlrev_b32_sdwa v14, v9, v4 dst_sel:DWORD dst_unused:UNUSED_PAD src0_sel:DWORD src1_sel:BYTE_1
	v_lshlrev_b32_sdwa v17, v9, v4 dst_sel:DWORD dst_unused:UNUSED_PAD src0_sel:DWORD src1_sel:BYTE_2
	v_lshlrev_b32_sdwa v4, v9, v4 dst_sel:DWORD dst_unused:UNUSED_PAD src0_sel:DWORD src1_sel:BYTE_3
	v_and_b32_e32 v13, 0xff, v5
	s_clause 0x3
	global_load_dwordx2 v[11:12], v11, s[0:1]
	global_load_dwordx2 v[15:16], v14, s[0:1]
	;; [unrolled: 1-line block ×4, first 2 shown]
	v_bfe_u32 v22, v5, 7, 8
	v_bfe_u32 v23, v5, 14, 8
	;; [unrolled: 1-line block ×3, first 2 shown]
	v_bcnt_u32_b32 v4, v13, 0
	v_lshrrev_b32_e32 v5, 27, v5
	v_bcnt_u32_b32 v14, v22, 0
	v_bcnt_u32_b32 v25, v23, 0
	;; [unrolled: 1-line block ×3, first 2 shown]
	v_and_b32_e32 v4, 1, v4
	v_and_b32_e32 v14, 1, v14
	;; [unrolled: 1-line block ×4, first 2 shown]
	v_lshlrev_b32_e32 v4, 7, v4
	v_lshlrev_b32_e32 v14, 7, v14
	;; [unrolled: 1-line block ×4, first 2 shown]
	v_xor_b32_e32 v4, v4, v13
	v_xor_b32_e32 v13, v14, v22
	;; [unrolled: 1-line block ×4, first 2 shown]
	v_mul_lo_u32 v4, 0x1010101, v4
	v_mul_lo_u32 v13, 0x1010101, v13
	;; [unrolled: 1-line block ×4, first 2 shown]
	v_and_b32_e32 v23, 0x8040201, v4
	v_and_b32_e32 v26, 0x80402010, v4
	;; [unrolled: 1-line block ×4, first 2 shown]
	v_lshrrev_b32_e32 v28, 18, v13
	v_cmp_ne_u16_sdwa s0, v23, v8 src0_sel:BYTE_1 src1_sel:DWORD
	v_lshrrev_b16 v40, 4, v26
	v_bfe_i32 v29, v13, 0, 1
	v_lshrrev_b32_e32 v13, 22, v13
	v_and_b32_e32 v31, 0x8040201, v14
	v_cndmask_b32_e64 v39, 0, -1, s0
	v_cmp_ne_u16_sdwa s0, v23, v8 src0_sel:BYTE_3 src1_sel:DWORD
	v_and_b32_e32 v34, 0x80402010, v14
	v_bfe_i32 v45, v13, 0, 1
	v_lshrrev_b16 v43, 4, v30
	v_lshrrev_b32_e32 v32, 18, v14
	v_cndmask_b32_e64 v23, 0, -1, s0
	v_cmp_ne_u16_sdwa s0, v26, v8 src0_sel:BYTE_1 src1_sel:DWORD
	v_bfe_i32 v33, v14, 0, 1
	v_lshrrev_b32_e32 v14, 22, v14
	v_and_b32_e32 v35, 0x8040201, v22
	v_and_b32_e32 v38, 0x80402010, v22
	v_cndmask_b32_e64 v41, 0, -1, s0
	v_cmp_ne_u16_sdwa s0, v26, v8 src0_sel:BYTE_3 src1_sel:DWORD
	v_bfe_i32 v48, v14, 0, 1
	v_lshrrev_b16 v46, 4, v34
	v_lshrrev_b32_e32 v24, 18, v4
	v_bfe_i32 v25, v4, 0, 1
	v_cndmask_b32_e64 v26, 0, -1, s0
	v_cmp_ne_u16_sdwa s0, v27, v8 src0_sel:BYTE_1 src1_sel:DWORD
	v_lshrrev_b32_e32 v4, 22, v4
	v_bfe_i32 v24, v24, 0, 1
	v_lshlrev_b16 v39, 8, v39
	v_lshlrev_b16 v23, 8, v23
	v_cndmask_b32_e64 v42, 0, -1, s0
	v_cmp_ne_u16_sdwa s0, v27, v8 src0_sel:BYTE_3 src1_sel:DWORD
	v_bfe_i32 v4, v4, 0, 1
	v_bfe_i32 v40, v40, 0, 1
	v_lshlrev_b16 v41, 8, v41
	v_lshlrev_b16 v26, 8, v26
	v_cndmask_b32_e64 v27, 0, -1, s0
	v_cmp_ne_u16_sdwa s0, v30, v8 src0_sel:BYTE_1 src1_sel:DWORD
	v_lshrrev_b32_e32 v36, 18, v22
	v_bfe_i32 v37, v22, 0, 1
	v_lshrrev_b32_e32 v22, 22, v22
	v_bfe_i32 v28, v28, 0, 1
	v_cndmask_b32_e64 v44, 0, -1, s0
	v_cmp_ne_u16_sdwa s0, v30, v8 src0_sel:BYTE_3 src1_sel:DWORD
	v_bfe_i32 v32, v32, 0, 1
	v_lshrrev_b16 v49, 4, v38
	v_lshlrev_b16 v42, 8, v42
	v_lshlrev_b16 v27, 8, v27
	v_cndmask_b32_e64 v13, 0, -1, s0
	v_cmp_ne_u16_sdwa s0, v31, v8 src0_sel:BYTE_1 src1_sel:DWORD
	v_bfe_i32 v43, v43, 0, 1
	v_lshlrev_b16 v44, 8, v44
	v_bfe_i32 v46, v46, 0, 1
	v_lshlrev_b16 v51, 8, v13
	v_cndmask_b32_e64 v30, 0, -1, s0
	v_cmp_ne_u16_sdwa s0, v31, v8 src0_sel:BYTE_3 src1_sel:DWORD
	v_or_b32_sdwa v13, v25, v39 dst_sel:DWORD dst_unused:UNUSED_PAD src0_sel:BYTE_0 src1_sel:DWORD
	v_or_b32_sdwa v53, v40, v41 dst_sel:DWORD dst_unused:UNUSED_PAD src0_sel:BYTE_0 src1_sel:DWORD
	v_or_b32_sdwa v54, v4, v26 dst_sel:WORD_1 dst_unused:UNUSED_PAD src0_sel:BYTE_0 src1_sel:DWORD
	v_lshlrev_b16 v30, 8, v30
	v_cndmask_b32_e64 v31, 0, -1, s0
	v_cmp_ne_u16_sdwa s0, v34, v8 src0_sel:BYTE_1 src1_sel:DWORD
	v_bfe_i32 v36, v36, 0, 1
	v_bfe_i32 v22, v22, 0, 1
	;; [unrolled: 1-line block ×3, first 2 shown]
	v_lshlrev_b16 v31, 8, v31
	v_cndmask_b32_e64 v47, 0, -1, s0
	v_cmp_ne_u16_sdwa s0, v34, v8 src0_sel:BYTE_3 src1_sel:DWORD
	v_or_b32_sdwa v55, v29, v42 dst_sel:DWORD dst_unused:UNUSED_PAD src0_sel:BYTE_0 src1_sel:DWORD
	v_or_b32_sdwa v56, v28, v27 dst_sel:WORD_1 dst_unused:UNUSED_PAD src0_sel:BYTE_0 src1_sel:DWORD
	v_or_b32_sdwa v57, v43, v44 dst_sel:DWORD dst_unused:UNUSED_PAD src0_sel:BYTE_0 src1_sel:DWORD
	v_lshlrev_b16 v47, 8, v47
	v_cndmask_b32_e64 v14, 0, -1, s0
	v_cmp_ne_u16_sdwa s0, v35, v8 src0_sel:BYTE_1 src1_sel:DWORD
	v_or_b32_sdwa v58, v45, v51 dst_sel:WORD_1 dst_unused:UNUSED_PAD src0_sel:BYTE_0 src1_sel:DWORD
	v_or_b32_sdwa v59, v33, v30 dst_sel:DWORD dst_unused:UNUSED_PAD src0_sel:BYTE_0 src1_sel:DWORD
	v_or_b32_sdwa v60, v32, v31 dst_sel:WORD_1 dst_unused:UNUSED_PAD src0_sel:BYTE_0 src1_sel:DWORD
	v_lshlrev_b16 v52, 8, v14
	v_cndmask_b32_e64 v34, 0, -1, s0
	v_cmp_ne_u16_sdwa s0, v35, v8 src0_sel:BYTE_3 src1_sel:DWORD
	v_or_b32_sdwa v14, v24, v23 dst_sel:WORD_1 dst_unused:UNUSED_PAD src0_sel:BYTE_0 src1_sel:DWORD
	v_or_b32_sdwa v53, v53, v54 dst_sel:DWORD dst_unused:UNUSED_PAD src0_sel:WORD_0 src1_sel:DWORD
	v_or_b32_sdwa v54, v48, v52 dst_sel:WORD_1 dst_unused:UNUSED_PAD src0_sel:BYTE_0 src1_sel:DWORD
	v_lshlrev_b16 v34, 8, v34
	v_cndmask_b32_e64 v35, 0, -1, s0
	v_cmp_ne_u16_sdwa s0, v38, v8 src0_sel:BYTE_1 src1_sel:DWORD
	v_or_b32_sdwa v13, v13, v14 dst_sel:DWORD dst_unused:UNUSED_PAD src0_sel:WORD_0 src1_sel:DWORD
	v_or_b32_sdwa v14, v46, v47 dst_sel:DWORD dst_unused:UNUSED_PAD src0_sel:BYTE_0 src1_sel:DWORD
	v_or_b32_sdwa v55, v55, v56 dst_sel:DWORD dst_unused:UNUSED_PAD src0_sel:WORD_0 src1_sel:DWORD
	v_lshlrev_b16 v35, 8, v35
	v_cndmask_b32_e64 v50, 0, -1, s0
	v_cmp_ne_u16_sdwa s0, v38, v8 src0_sel:BYTE_3 src1_sel:DWORD
	v_or_b32_sdwa v56, v37, v34 dst_sel:DWORD dst_unused:UNUSED_PAD src0_sel:BYTE_0 src1_sel:DWORD
	v_or_b32_sdwa v57, v57, v58 dst_sel:DWORD dst_unused:UNUSED_PAD src0_sel:WORD_0 src1_sel:DWORD
	v_or_b32_sdwa v58, v36, v35 dst_sel:WORD_1 dst_unused:UNUSED_PAD src0_sel:BYTE_0 src1_sel:DWORD
	v_lshlrev_b16 v50, 8, v50
	v_cndmask_b32_e64 v38, 0, -1, s0
	v_or_b32_sdwa v59, v59, v60 dst_sel:DWORD dst_unused:UNUSED_PAD src0_sel:WORD_0 src1_sel:DWORD
	v_or_b32_sdwa v54, v14, v54 dst_sel:DWORD dst_unused:UNUSED_PAD src0_sel:WORD_0 src1_sel:DWORD
	;; [unrolled: 1-line block ×3, first 2 shown]
	v_or_b32_sdwa v60, v49, v50 dst_sel:DWORD dst_unused:UNUSED_PAD src0_sel:BYTE_0 src1_sel:DWORD
	v_lshlrev_b16 v38, 8, v38
	v_lshlrev_b16 v25, 8, v25
	v_lshlrev_b16 v40, 8, v40
	v_lshlrev_b16 v29, 8, v29
	v_lshlrev_b16 v43, 8, v43
	v_or_b32_sdwa v14, v22, v38 dst_sel:WORD_1 dst_unused:UNUSED_PAD src0_sel:BYTE_0 src1_sel:DWORD
	v_lshlrev_b16 v33, 8, v33
	v_lshlrev_b16 v46, 8, v46
	v_lshlrev_b16 v37, 8, v37
	v_lshlrev_b16 v24, 8, v24
	v_or_b32_sdwa v58, v60, v14 dst_sel:DWORD dst_unused:UNUSED_PAD src0_sel:WORD_0 src1_sel:DWORD
	v_lshlrev_b16 v4, 8, v4
	v_lshlrev_b16 v49, 8, v49
	v_lshlrev_b16 v28, 8, v28
	v_lshlrev_b16 v45, 8, v45
	v_lshlrev_b16 v32, 8, v32
	v_lshlrev_b16 v48, 8, v48
	v_lshlrev_b16 v36, 8, v36
	v_lshlrev_b16 v22, 8, v22
	v_cmp_le_u32_e64 s0, s9, v6
	s_or_b32 s3, s0, s3
	s_waitcnt vmcnt(3)
	v_xor_b32_e32 v60, v11, v13
	v_xor_b32_e32 v53, v12, v53
	global_load_dwordx4 v[11:14], v[2:3], off offset:-32
	s_waitcnt vmcnt(3)
	v_xor_b32_e32 v55, v15, v55
	v_xor_b32_e32 v57, v16, v57
	s_waitcnt vmcnt(2)
	v_xor_b32_e32 v59, v17, v59
	v_xor_b32_e32 v54, v18, v54
	global_load_dwordx4 v[15:18], v[2:3], off offset:-16
	s_waitcnt vmcnt(2)
	v_xor_b32_e32 v19, v19, v56
	global_load_dword v56, v[2:3], off
	v_xor_b32_e32 v20, v20, v58
	v_and_b32_e32 v58, 0xffffff00, v60
	v_add_co_u32 v2, vcc_lo, 0x480, v2
	v_add_co_ci_u32_e64 v3, null, 0, v3, vcc_lo
	v_sub_nc_i16 v39, v58, v39 clamp
	v_lshlrev_b16 v58, 8, v60
	v_lshrrev_b32_e32 v60, 16, v60
	v_sub_nc_i16 v25, v58, v25 clamp
	v_and_b32_e32 v58, 0xffffff00, v53
	v_perm_b32 v25, v25, v39, 0xc0c0105
	v_sub_nc_i16 v41, v58, v41 clamp
	v_lshlrev_b16 v58, 8, v53
	v_lshrrev_b32_e32 v53, 16, v53
	v_and_b32_e32 v39, 0xffffff00, v60
	v_lshlrev_b16 v60, 8, v60
	v_sub_nc_i16 v40, v58, v40 clamp
	v_and_b32_e32 v58, 0xffffff00, v55
	v_sub_nc_i16 v23, v39, v23 clamp
	v_and_b32_e32 v39, 0xffffff00, v53
	v_lshlrev_b16 v53, 8, v53
	v_sub_nc_i16 v24, v60, v24 clamp
	v_sub_nc_i16 v42, v58, v42 clamp
	v_lshlrev_b16 v58, 8, v55
	v_lshrrev_b32_e32 v55, 16, v55
	v_sub_nc_i16 v26, v39, v26 clamp
	v_sub_nc_i16 v4, v53, v4 clamp
	v_perm_b32 v23, v24, v23, 0xc0c0105
	v_sub_nc_i16 v29, v58, v29 clamp
	v_and_b32_e32 v58, 0xffffff00, v57
	v_and_b32_e32 v60, 0xffffff00, v55
	v_lshlrev_b16 v55, 8, v55
	v_perm_b32 v40, v40, v41, 0xc0c0105
	v_perm_b32 v4, v4, v26, 0xc0c0105
	v_sub_nc_i16 v44, v58, v44 clamp
	v_lshlrev_b16 v58, 8, v57
	v_lshrrev_b32_e32 v57, 16, v57
	v_sub_nc_i16 v27, v60, v27 clamp
	v_sub_nc_i16 v28, v55, v28 clamp
	v_lshl_or_b32 v23, v23, 16, v25
	v_sub_nc_i16 v43, v58, v43 clamp
	v_and_b32_e32 v58, 0xffffff00, v59
	v_and_b32_e32 v41, 0xffffff00, v57
	v_lshlrev_b16 v57, 8, v57
	v_perm_b32 v29, v29, v42, 0xc0c0105
	v_perm_b32 v43, v43, v44, 0xc0c0105
	v_sub_nc_i16 v30, v58, v30 clamp
	v_lshlrev_b16 v58, 8, v59
	v_lshrrev_b32_e32 v59, 16, v59
	v_sub_nc_i16 v41, v41, v51 clamp
	v_sub_nc_i16 v44, v57, v45 clamp
	v_perm_b32 v26, v28, v27, 0xc0c0105
	v_sub_nc_i16 v33, v58, v33 clamp
	v_and_b32_e32 v58, 0xffffff00, v54
	v_and_b32_e32 v39, 0xffffff00, v59
	v_lshlrev_b16 v59, 8, v59
	v_lshl_or_b32 v4, v4, 16, v40
	v_lshl_or_b32 v26, v26, 16, v29
	v_sub_nc_i16 v47, v58, v47 clamp
	v_lshlrev_b16 v58, 8, v54
	v_lshrrev_b32_e32 v54, 16, v54
	v_sub_nc_i16 v31, v39, v31 clamp
	v_sub_nc_i16 v32, v59, v32 clamp
	v_perm_b32 v30, v33, v30, 0xc0c0105
	v_sub_nc_i16 v46, v58, v46 clamp
	v_and_b32_e32 v58, 0xffffff00, v19
	v_and_b32_e32 v53, 0xffffff00, v54
	v_lshlrev_b16 v54, 8, v54
	v_perm_b32 v33, v46, v47, 0xc0c0105
	v_sub_nc_i16 v34, v58, v34 clamp
	v_lshlrev_b16 v58, 8, v19
	v_lshrrev_b32_e32 v19, 16, v19
	v_sub_nc_i16 v24, v53, v52 clamp
	v_sub_nc_i16 v39, v54, v48 clamp
	;; [unrolled: 1-line block ×3, first 2 shown]
	v_and_b32_e32 v58, 0xffffff00, v20
	v_and_b32_e32 v42, 0xffffff00, v19
	v_lshlrev_b16 v19, 8, v19
	v_perm_b32 v25, v37, v34, 0xc0c0105
	v_sub_nc_i16 v50, v58, v50 clamp
	v_lshlrev_b16 v58, 8, v20
	v_lshrrev_b32_e32 v20, 16, v20
	v_sub_nc_i16 v49, v58, v49 clamp
	v_mov_b32_e32 v58, 0
	v_and_b32_e32 v60, 0xffffff00, v20
	v_lshlrev_b16 v20, 8, v20
	s_waitcnt vmcnt(2)
	v_dot4c_i32_i8 v58, v23, v12
	v_perm_b32 v23, v44, v41, 0xc0c0105
	v_sub_nc_i16 v12, v42, v35 clamp
	v_dot4c_i32_i8 v58, v4, v13
	v_sub_nc_i16 v4, v19, v36 clamp
	v_perm_b32 v13, v32, v31, 0xc0c0105
	v_lshl_or_b32 v19, v23, 16, v43
	v_perm_b32 v23, v39, v24, 0xc0c0105
	v_dot4c_i32_i8 v58, v26, v14
	v_sub_nc_i16 v14, v60, v38 clamp
	v_lshl_or_b32 v13, v13, 16, v30
	v_perm_b32 v4, v4, v12, 0xc0c0105
	v_lshl_or_b32 v12, v23, 16, v33
	s_waitcnt vmcnt(1)
	v_dot4c_i32_i8 v58, v19, v15
	v_sub_nc_i16 v15, v20, v22 clamp
	v_lshl_or_b32 v4, v4, 16, v25
	v_dot4c_i32_i8 v58, v13, v16
	v_perm_b32 v13, v49, v50, 0xc0c0105
	v_perm_b32 v14, v15, v14, 0xc0c0105
	v_dot4c_i32_i8 v58, v12, v17
	v_lshl_or_b32 v12, v14, 16, v13
	v_dot4c_i32_i8 v58, v4, v18
	v_or_b32_e32 v4, 1, v5
	s_waitcnt vmcnt(0)
	v_dot4c_i32_i8 v58, v12, v56
	v_mul_lo_u32 v4, v58, v4
	v_ashrrev_i32_e32 v5, 31, v4
	v_lshrrev_b32_e32 v5, 29, v5
	v_add_nc_u32_e32 v4, v4, v5
	v_cvt_f32_f16_e32 v5, v11
	v_cvt_f32_f16_e32 v11, v21
	v_ashrrev_i32_e32 v4, 3, v4
	v_mul_f32_e32 v5, v11, v5
	v_cvt_f32_i32_e32 v4, v4
	v_fmac_f32_e32 v7, v5, v4
	s_andn2_b32 exec_lo, exec_lo, s3
	s_cbranch_execnz .LBB158_9
; %bb.10:
	s_or_b32 exec_lo, exec_lo, s3
.LBB158_11:
	s_or_b32 exec_lo, exec_lo, s7
	s_waitcnt lgkmcnt(0)
	; wave barrier
	buffer_gl0_inv
	s_mov_b32 s0, exec_lo
	v_cmpx_eq_u32_e32 0, v1
	s_cbranch_execz .LBB158_14
; %bb.12:
	v_mbcnt_lo_u32_b32 v1, -1, 0
	v_xor_b32_e32 v2, 16, v1
	v_xor_b32_e32 v3, 8, v1
	;; [unrolled: 1-line block ×3, first 2 shown]
	v_cmp_gt_i32_e32 vcc_lo, 32, v2
	v_cndmask_b32_e32 v2, v1, v2, vcc_lo
	v_cmp_gt_i32_e32 vcc_lo, 32, v3
	v_lshlrev_b32_e32 v2, 2, v2
	v_cndmask_b32_e32 v3, v1, v3, vcc_lo
	v_cmp_gt_i32_e32 vcc_lo, 32, v4
	ds_bpermute_b32 v2, v2, v7
	v_lshlrev_b32_e32 v3, 2, v3
	v_cndmask_b32_e32 v4, v1, v4, vcc_lo
	v_lshlrev_b32_e32 v4, 2, v4
	s_waitcnt lgkmcnt(0)
	v_add_f32_e32 v2, v7, v2
	ds_bpermute_b32 v3, v3, v2
	s_waitcnt lgkmcnt(0)
	v_add_f32_e32 v2, v2, v3
	ds_bpermute_b32 v3, v4, v2
	v_xor_b32_e32 v4, 2, v1
	v_cmp_gt_i32_e32 vcc_lo, 32, v4
	v_cndmask_b32_e32 v4, v1, v4, vcc_lo
	v_lshlrev_b32_e32 v4, 2, v4
	s_waitcnt lgkmcnt(0)
	v_add_f32_e32 v2, v2, v3
	ds_bpermute_b32 v3, v4, v2
	v_xor_b32_e32 v4, 1, v1
	v_cmp_gt_i32_e32 vcc_lo, 32, v4
	v_cndmask_b32_e32 v1, v1, v4, vcc_lo
	v_cmp_eq_u32_e32 vcc_lo, 0, v0
	v_lshlrev_b32_e32 v4, 2, v1
	s_waitcnt lgkmcnt(0)
	v_add_f32_e32 v1, v2, v3
	ds_bpermute_b32 v2, v4, v1
	s_and_b32 exec_lo, exec_lo, vcc_lo
	s_cbranch_execz .LBB158_14
; %bb.13:
	s_load_dwordx2 s[0:1], s[4:5], 0x38
	s_mul_i32 s2, s2, s10
	s_mul_i32 s3, s14, s8
	s_add_i32 s2, s2, s6
	s_waitcnt lgkmcnt(0)
	v_add_f32_e32 v0, v1, v2
	s_add_i32 s2, s2, s3
	s_mov_b32 s3, 0
	v_mov_b32_e32 v1, 0
	s_lshl_b64 s[2:3], s[2:3], 2
	s_add_u32 s0, s0, s2
	s_addc_u32 s1, s1, s3
	global_store_dword v1, v0, s[0:1]
.LBB158_14:
	s_endpgm
	.section	.rodata,"a",@progbits
	.p2align	6, 0x0
	.amdhsa_kernel _ZL13mul_mat_vec_qIL9ggml_type16ELi1ELb0ELb1EEvPKvS2_PKi31ggml_cuda_mm_fusion_args_devicePfj15HIP_vector_typeIjLj3EEjjjS8_jjjS8_jjjj
		.amdhsa_group_segment_fixed_size 0
		.amdhsa_private_segment_fixed_size 0
		.amdhsa_kernarg_size 144
		.amdhsa_user_sgpr_count 6
		.amdhsa_user_sgpr_private_segment_buffer 1
		.amdhsa_user_sgpr_dispatch_ptr 0
		.amdhsa_user_sgpr_queue_ptr 0
		.amdhsa_user_sgpr_kernarg_segment_ptr 1
		.amdhsa_user_sgpr_dispatch_id 0
		.amdhsa_user_sgpr_flat_scratch_init 0
		.amdhsa_user_sgpr_private_segment_size 0
		.amdhsa_wavefront_size32 1
		.amdhsa_uses_dynamic_stack 0
		.amdhsa_system_sgpr_private_segment_wavefront_offset 0
		.amdhsa_system_sgpr_workgroup_id_x 1
		.amdhsa_system_sgpr_workgroup_id_y 1
		.amdhsa_system_sgpr_workgroup_id_z 1
		.amdhsa_system_sgpr_workgroup_info 0
		.amdhsa_system_vgpr_workitem_id 1
		.amdhsa_next_free_vgpr 61
		.amdhsa_next_free_sgpr 22
		.amdhsa_reserve_vcc 1
		.amdhsa_reserve_flat_scratch 0
		.amdhsa_float_round_mode_32 0
		.amdhsa_float_round_mode_16_64 0
		.amdhsa_float_denorm_mode_32 3
		.amdhsa_float_denorm_mode_16_64 3
		.amdhsa_dx10_clamp 1
		.amdhsa_ieee_mode 1
		.amdhsa_fp16_overflow 0
		.amdhsa_workgroup_processor_mode 1
		.amdhsa_memory_ordered 1
		.amdhsa_forward_progress 1
		.amdhsa_shared_vgpr_count 0
		.amdhsa_exception_fp_ieee_invalid_op 0
		.amdhsa_exception_fp_denorm_src 0
		.amdhsa_exception_fp_ieee_div_zero 0
		.amdhsa_exception_fp_ieee_overflow 0
		.amdhsa_exception_fp_ieee_underflow 0
		.amdhsa_exception_fp_ieee_inexact 0
		.amdhsa_exception_int_div_zero 0
	.end_amdhsa_kernel
	.section	.text._ZL13mul_mat_vec_qIL9ggml_type16ELi1ELb0ELb1EEvPKvS2_PKi31ggml_cuda_mm_fusion_args_devicePfj15HIP_vector_typeIjLj3EEjjjS8_jjjS8_jjjj,"axG",@progbits,_ZL13mul_mat_vec_qIL9ggml_type16ELi1ELb0ELb1EEvPKvS2_PKi31ggml_cuda_mm_fusion_args_devicePfj15HIP_vector_typeIjLj3EEjjjS8_jjjS8_jjjj,comdat
.Lfunc_end158:
	.size	_ZL13mul_mat_vec_qIL9ggml_type16ELi1ELb0ELb1EEvPKvS2_PKi31ggml_cuda_mm_fusion_args_devicePfj15HIP_vector_typeIjLj3EEjjjS8_jjjS8_jjjj, .Lfunc_end158-_ZL13mul_mat_vec_qIL9ggml_type16ELi1ELb0ELb1EEvPKvS2_PKi31ggml_cuda_mm_fusion_args_devicePfj15HIP_vector_typeIjLj3EEjjjS8_jjjS8_jjjj
                                        ; -- End function
	.set _ZL13mul_mat_vec_qIL9ggml_type16ELi1ELb0ELb1EEvPKvS2_PKi31ggml_cuda_mm_fusion_args_devicePfj15HIP_vector_typeIjLj3EEjjjS8_jjjS8_jjjj.num_vgpr, 61
	.set _ZL13mul_mat_vec_qIL9ggml_type16ELi1ELb0ELb1EEvPKvS2_PKi31ggml_cuda_mm_fusion_args_devicePfj15HIP_vector_typeIjLj3EEjjjS8_jjjS8_jjjj.num_agpr, 0
	.set _ZL13mul_mat_vec_qIL9ggml_type16ELi1ELb0ELb1EEvPKvS2_PKi31ggml_cuda_mm_fusion_args_devicePfj15HIP_vector_typeIjLj3EEjjjS8_jjjS8_jjjj.numbered_sgpr, 22
	.set _ZL13mul_mat_vec_qIL9ggml_type16ELi1ELb0ELb1EEvPKvS2_PKi31ggml_cuda_mm_fusion_args_devicePfj15HIP_vector_typeIjLj3EEjjjS8_jjjS8_jjjj.num_named_barrier, 0
	.set _ZL13mul_mat_vec_qIL9ggml_type16ELi1ELb0ELb1EEvPKvS2_PKi31ggml_cuda_mm_fusion_args_devicePfj15HIP_vector_typeIjLj3EEjjjS8_jjjS8_jjjj.private_seg_size, 0
	.set _ZL13mul_mat_vec_qIL9ggml_type16ELi1ELb0ELb1EEvPKvS2_PKi31ggml_cuda_mm_fusion_args_devicePfj15HIP_vector_typeIjLj3EEjjjS8_jjjS8_jjjj.uses_vcc, 1
	.set _ZL13mul_mat_vec_qIL9ggml_type16ELi1ELb0ELb1EEvPKvS2_PKi31ggml_cuda_mm_fusion_args_devicePfj15HIP_vector_typeIjLj3EEjjjS8_jjjS8_jjjj.uses_flat_scratch, 0
	.set _ZL13mul_mat_vec_qIL9ggml_type16ELi1ELb0ELb1EEvPKvS2_PKi31ggml_cuda_mm_fusion_args_devicePfj15HIP_vector_typeIjLj3EEjjjS8_jjjS8_jjjj.has_dyn_sized_stack, 0
	.set _ZL13mul_mat_vec_qIL9ggml_type16ELi1ELb0ELb1EEvPKvS2_PKi31ggml_cuda_mm_fusion_args_devicePfj15HIP_vector_typeIjLj3EEjjjS8_jjjS8_jjjj.has_recursion, 0
	.set _ZL13mul_mat_vec_qIL9ggml_type16ELi1ELb0ELb1EEvPKvS2_PKi31ggml_cuda_mm_fusion_args_devicePfj15HIP_vector_typeIjLj3EEjjjS8_jjjS8_jjjj.has_indirect_call, 0
	.section	.AMDGPU.csdata,"",@progbits
; Kernel info:
; codeLenInByte = 2940
; TotalNumSgprs: 24
; NumVgprs: 61
; ScratchSize: 0
; MemoryBound: 0
; FloatMode: 240
; IeeeMode: 1
; LDSByteSize: 0 bytes/workgroup (compile time only)
; SGPRBlocks: 0
; VGPRBlocks: 7
; NumSGPRsForWavesPerEU: 24
; NumVGPRsForWavesPerEU: 61
; Occupancy: 16
; WaveLimiterHint : 0
; COMPUTE_PGM_RSRC2:SCRATCH_EN: 0
; COMPUTE_PGM_RSRC2:USER_SGPR: 6
; COMPUTE_PGM_RSRC2:TRAP_HANDLER: 0
; COMPUTE_PGM_RSRC2:TGID_X_EN: 1
; COMPUTE_PGM_RSRC2:TGID_Y_EN: 1
; COMPUTE_PGM_RSRC2:TGID_Z_EN: 1
; COMPUTE_PGM_RSRC2:TIDIG_COMP_CNT: 1
	.section	.text._ZL13mul_mat_vec_qIL9ggml_type16ELi1ELb1ELb0EEvPKvS2_PKi31ggml_cuda_mm_fusion_args_devicePfj15HIP_vector_typeIjLj3EEjjjS8_jjjS8_jjjj,"axG",@progbits,_ZL13mul_mat_vec_qIL9ggml_type16ELi1ELb1ELb0EEvPKvS2_PKi31ggml_cuda_mm_fusion_args_devicePfj15HIP_vector_typeIjLj3EEjjjS8_jjjS8_jjjj,comdat
	.globl	_ZL13mul_mat_vec_qIL9ggml_type16ELi1ELb1ELb0EEvPKvS2_PKi31ggml_cuda_mm_fusion_args_devicePfj15HIP_vector_typeIjLj3EEjjjS8_jjjS8_jjjj ; -- Begin function _ZL13mul_mat_vec_qIL9ggml_type16ELi1ELb1ELb0EEvPKvS2_PKi31ggml_cuda_mm_fusion_args_devicePfj15HIP_vector_typeIjLj3EEjjjS8_jjjS8_jjjj
	.p2align	8
	.type	_ZL13mul_mat_vec_qIL9ggml_type16ELi1ELb1ELb0EEvPKvS2_PKi31ggml_cuda_mm_fusion_args_devicePfj15HIP_vector_typeIjLj3EEjjjS8_jjjS8_jjjj,@function
_ZL13mul_mat_vec_qIL9ggml_type16ELi1ELb1ELb0EEvPKvS2_PKi31ggml_cuda_mm_fusion_args_devicePfj15HIP_vector_typeIjLj3EEjjjS8_jjjS8_jjjj: ; @_ZL13mul_mat_vec_qIL9ggml_type16ELi1ELb1ELb0EEvPKvS2_PKi31ggml_cuda_mm_fusion_args_devicePfj15HIP_vector_typeIjLj3EEjjjS8_jjjS8_jjjj
; %bb.0:
	s_clause 0x3
	s_load_dwordx8 s[12:19], s[4:5], 0x0
	s_load_dwordx4 s[28:31], s[4:5], 0x20
	s_load_dwordx4 s[36:39], s[4:5], 0x40
	;; [unrolled: 1-line block ×3, first 2 shown]
	s_mov_b32 s10, s7
	s_waitcnt lgkmcnt(0)
	s_cmp_lg_u64 s[16:17], 0
	s_cselect_b32 s0, -1, 0
	s_cmp_eq_u64 s[16:17], 0
	s_cbranch_scc1 .LBB159_5
; %bb.1:
	s_mov_b32 s11, 0
	s_lshl_b64 s[2:3], s[10:11], 2
	s_add_u32 s2, s16, s2
	s_addc_u32 s3, s17, s3
	s_load_dword s33, s[2:3], 0x0
	s_clause 0x1
	s_load_dword s35, s[4:5], 0x50
	s_load_dword s34, s[4:5], 0x78
	s_cbranch_execnz .LBB159_3
.LBB159_2:
	s_load_dwordx2 s[2:3], s[4:5], 0x5c
	s_waitcnt lgkmcnt(0)
	s_mul_hi_u32 s1, s2, s10
	s_add_i32 s1, s10, s1
	s_lshr_b32 s33, s1, s3
.LBB159_3:
	s_andn2_b32 vcc_lo, exec_lo, s0
	s_cbranch_vccnz .LBB159_6
; %bb.4:
	s_mul_hi_u32 s0, s37, s10
	s_waitcnt lgkmcnt(0)
	s_mov_b32 s1, s33
	s_add_i32 s0, s10, s0
	s_lshr_b32 s0, s0, s38
	s_mul_i32 s0, s0, s39
	s_sub_i32 s37, s10, s0
	s_branch .LBB159_7
.LBB159_5:
                                        ; implicit-def: $sgpr33
	s_clause 0x1
	s_load_dword s35, s[4:5], 0x50
	s_load_dword s34, s[4:5], 0x78
	s_branch .LBB159_2
.LBB159_6:
	s_mov_b32 s1, s10
	s_mov_b32 s37, s10
.LBB159_7:
	s_load_dwordx4 s[24:27], s[4:5], 0x80
	v_or_b32_e32 v2, v0, v1
	s_cmp_lg_u64 s[18:19], 0
	v_mov_b32_e32 v24, 0
	v_mov_b32_e32 v25, 0
	s_cselect_b32 s0, -1, 0
	v_cmp_eq_u32_e32 vcc_lo, 0, v2
	s_mov_b32 s17, 0
	s_mul_i32 s2, s1, s22
	s_and_b32 s3, s0, vcc_lo
	s_and_saveexec_b32 s1, s3
	s_cbranch_execz .LBB159_9
; %bb.8:
	s_waitcnt lgkmcnt(0)
	s_mul_i32 s16, s26, s8
	s_mov_b32 s3, s17
	s_lshl_b64 s[38:39], s[16:17], 2
	v_lshlrev_b32_e32 v2, 2, v0
	s_add_u32 s7, s18, s38
	s_addc_u32 s9, s19, s39
	s_lshl_b64 s[16:17], s[2:3], 2
	s_add_u32 s3, s7, s16
	s_addc_u32 s9, s9, s17
	s_ashr_i32 s7, s6, 31
	s_lshl_b64 s[16:17], s[6:7], 2
	s_add_u32 s16, s3, s16
	s_addc_u32 s17, s9, s17
	global_load_dword v25, v2, s[16:17]
.LBB159_9:
	s_or_b32 exec_lo, exec_lo, s1
	s_cmp_lg_u64 s[28:29], 0
	s_cselect_b32 s9, -1, 0
	s_cmp_lg_u64 s[30:31], 0
	s_cselect_b32 s1, -1, 0
	s_and_b32 s3, s1, s9
	s_and_b32 s3, s3, vcc_lo
	s_and_saveexec_b32 s11, s3
	s_cbranch_execz .LBB159_11
; %bb.10:
	s_waitcnt lgkmcnt(0)
	s_mul_i32 s16, s26, s8
	s_mov_b32 s17, 0
	v_lshlrev_b32_e32 v2, 2, v0
	s_lshl_b64 s[18:19], s[16:17], 2
	s_mov_b32 s3, s17
	s_add_u32 s7, s30, s18
	s_addc_u32 s16, s31, s19
	s_lshl_b64 s[2:3], s[2:3], 2
	s_add_u32 s17, s7, s2
	s_addc_u32 s16, s16, s3
	s_ashr_i32 s7, s6, 31
	s_lshl_b64 s[2:3], s[6:7], 2
	s_add_u32 s2, s17, s2
	s_addc_u32 s3, s16, s3
	global_load_dword v24, v2, s[2:3]
.LBB159_11:
	s_or_b32 exec_lo, exec_lo, s11
	v_lshl_or_b32 v2, v1, 5, v0
	v_mov_b32_e32 v29, 0
	v_cndmask_b32_e64 v26, 0, 1, s9
	v_mov_b32_e32 v27, 0
	s_lshr_b32 s7, s36, 8
	v_lshrrev_b32_e32 v28, 3, v2
	s_mov_b32 s11, exec_lo
	v_cmpx_gt_u32_e64 s7, v28
	s_cbranch_execz .LBB159_17
; %bb.12:
	v_lshrrev_b32_e32 v2, 3, v2
	s_mul_i32 s2, s37, s21
	v_and_b32_e32 v5, 7, v0
	s_mul_hi_u32 s3, s2, 36
	s_mul_i32 s2, s2, 36
	v_lshlrev_b32_e32 v4, 1, v0
	v_mad_u64_u32 v[2:3], null, 0x120, v2, s[2:3]
	s_waitcnt lgkmcnt(0)
	s_mul_i32 s3, s25, s8
	s_mul_hi_u32 s2, s23, s8
	v_and_b32_e32 v4, 14, v4
	s_add_i32 s2, s8, s2
	s_mul_i32 s35, s35, s6
	s_lshr_b32 s2, s2, s34
	v_mad_u64_u32 v[2:3], null, s3, 36, v[2:3]
	v_lshlrev_b32_e32 v4, 1, v4
	s_mul_i32 s2, s2, s24
	v_mov_b32_e32 v30, 0
	v_mov_b32_e32 v31, 3
	;; [unrolled: 1-line block ×3, first 2 shown]
	v_lshlrev_b32_e32 v32, 1, v4
	v_mad_u64_u32 v[2:3], null, v5, 36, v[2:3]
	v_mov_b32_e32 v27, 0
	s_mul_i32 s3, s33, s20
	s_add_i32 s2, s2, s35
	v_add_co_u32 v2, vcc_lo, s14, v2
	v_add_co_ci_u32_e64 v3, null, s15, v3, vcc_lo
	s_add_i32 s15, s3, s2
	v_add_co_u32 v10, vcc_lo, v2, 32
	v_add_co_ci_u32_e64 v11, null, 0, v3, vcc_lo
	s_mov_b32 s14, 0
	s_branch .LBB159_14
.LBB159_13:                             ;   in Loop: Header=BB159_14 Depth=1
	v_and_b32_e32 v22, 0xff, v13
	v_bfe_u32 v23, v13, 7, 8
	v_add_nc_u32_e32 v28, 4, v28
	v_bcnt_u32_b32 v34, v22, 0
	v_bcnt_u32_b32 v35, v23, 0
	v_cmp_le_u32_e32 vcc_lo, s7, v28
	v_and_b32_e32 v34, 1, v34
	v_and_b32_e32 v35, 1, v35
	s_or_b32 s14, vcc_lo, s14
	v_lshlrev_b32_e32 v34, 7, v34
	v_lshlrev_b32_e32 v35, 7, v35
	v_xor_b32_e32 v22, v34, v22
	v_xor_b32_e32 v23, v35, v23
	v_bfe_u32 v34, v13, 14, 8
	v_mov_b32_e32 v35, 0
	v_mul_lo_u32 v22, 0x1010101, v22
	v_mul_lo_u32 v23, 0x1010101, v23
	v_bcnt_u32_b32 v36, v34, 0
	v_and_b32_e32 v37, 0x8040201, v22
	v_and_b32_e32 v40, 0x80402010, v22
	v_lshrrev_b32_e32 v38, 18, v22
	v_and_b32_e32 v41, 0x8040201, v23
	v_bfe_i32 v39, v22, 0, 1
	v_cmp_ne_u16_sdwa s2, v37, v30 src0_sel:BYTE_1 src1_sel:DWORD
	v_lshrrev_b16 v45, 4, v40
	v_bfe_i32 v38, v38, 0, 1
	v_lshrrev_b32_e32 v22, 22, v22
	v_lshrrev_b32_e32 v42, 18, v23
	v_cndmask_b32_e64 v44, 0, -1, s2
	v_cmp_ne_u16_sdwa s2, v37, v30 src0_sel:BYTE_3 src1_sel:DWORD
	v_bfe_i32 v45, v45, 0, 1
	v_bfe_i32 v22, v22, 0, 1
	;; [unrolled: 1-line block ×3, first 2 shown]
	v_lshlrev_b16 v44, 8, v44
	v_cndmask_b32_e64 v37, 0, -1, s2
	v_cmp_ne_u16_sdwa s2, v40, v30 src0_sel:BYTE_1 src1_sel:DWORD
	v_bfe_i32 v42, v42, 0, 1
	v_or_b32_sdwa v48, v39, v44 dst_sel:DWORD dst_unused:UNUSED_PAD src0_sel:BYTE_0 src1_sel:DWORD
	v_lshlrev_b16 v37, 8, v37
	v_cndmask_b32_e64 v46, 0, -1, s2
	v_cmp_ne_u16_sdwa s2, v40, v30 src0_sel:BYTE_3 src1_sel:DWORD
	v_lshlrev_b16 v39, 8, v39
	v_or_b32_sdwa v49, v38, v37 dst_sel:WORD_1 dst_unused:UNUSED_PAD src0_sel:BYTE_0 src1_sel:DWORD
	v_lshlrev_b16 v46, 8, v46
	v_cndmask_b32_e64 v40, 0, -1, s2
	v_cmp_ne_u16_sdwa s2, v41, v30 src0_sel:BYTE_1 src1_sel:DWORD
	v_lshlrev_b16 v38, 8, v38
	v_or_b32_sdwa v48, v48, v49 dst_sel:DWORD dst_unused:UNUSED_PAD src0_sel:WORD_0 src1_sel:DWORD
	v_or_b32_sdwa v50, v45, v46 dst_sel:DWORD dst_unused:UNUSED_PAD src0_sel:BYTE_0 src1_sel:DWORD
	v_lshlrev_b16 v40, 8, v40
	v_cndmask_b32_e64 v47, 0, -1, s2
	v_cmp_ne_u16_sdwa s2, v41, v30 src0_sel:BYTE_3 src1_sel:DWORD
	s_waitcnt vmcnt(3)
	v_xor_b32_e32 v20, v20, v48
	v_lshlrev_b16 v45, 8, v45
	v_or_b32_sdwa v51, v22, v40 dst_sel:WORD_1 dst_unused:UNUSED_PAD src0_sel:BYTE_0 src1_sel:DWORD
	v_lshlrev_b16 v47, 8, v47
	v_cndmask_b32_e64 v41, 0, -1, s2
	v_lshrrev_b32_e32 v48, 16, v20
	v_lshlrev_b16 v22, 8, v22
	v_or_b32_sdwa v49, v50, v51 dst_sel:DWORD dst_unused:UNUSED_PAD src0_sel:WORD_0 src1_sel:DWORD
	v_or_b32_sdwa v52, v43, v47 dst_sel:DWORD dst_unused:UNUSED_PAD src0_sel:BYTE_0 src1_sel:DWORD
	v_lshlrev_b16 v41, 8, v41
	v_xor_b32_e32 v21, v21, v49
	v_and_b32_e32 v49, 0xffffff00, v20
	v_or_b32_sdwa v53, v42, v41 dst_sel:WORD_1 dst_unused:UNUSED_PAD src0_sel:BYTE_0 src1_sel:DWORD
	v_lshlrev_b16 v20, 8, v20
	v_and_b32_e32 v51, 0xffffff00, v21
	v_sub_nc_i16 v44, v49, v44 clamp
	v_or_b32_sdwa v50, v52, v53 dst_sel:DWORD dst_unused:UNUSED_PAD src0_sel:WORD_0 src1_sel:DWORD
	v_and_b32_e32 v52, 0xffffff00, v48
	v_lshlrev_b16 v48, 8, v48
	v_sub_nc_i16 v20, v20, v39 clamp
	s_waitcnt vmcnt(2)
	v_xor_b32_e32 v18, v18, v50
	v_sub_nc_i16 v37, v52, v37 clamp
	v_sub_nc_i16 v38, v48, v38 clamp
	v_perm_b32 v20, v20, v44, 0xc0c0105
	v_lshrrev_b32_e32 v50, 16, v21
	v_lshlrev_b16 v21, 8, v21
	v_and_b32_e32 v39, 0xffffff00, v18
	v_perm_b32 v37, v38, v37, 0xc0c0105
	v_sub_nc_i16 v38, v51, v46 clamp
	v_and_b32_e32 v48, 0xffffff00, v50
	v_sub_nc_i16 v21, v21, v45 clamp
	v_lshlrev_b16 v49, 8, v50
	v_lshl_or_b32 v20, v37, 16, v20
	v_lshrrev_b32_e32 v37, 16, v18
	v_sub_nc_i16 v40, v48, v40 clamp
	v_perm_b32 v21, v21, v38, 0xc0c0105
	v_and_b32_e32 v38, 0x80402010, v23
	v_dot4c_i32_i8 v35, v20, v7
	v_and_b32_e32 v20, 1, v36
	v_sub_nc_i16 v22, v49, v22 clamp
	v_lshlrev_b16 v7, 8, v18
	v_cmp_ne_u16_sdwa s2, v38, v30 src0_sel:BYTE_1 src1_sel:DWORD
	v_lshlrev_b16 v18, 8, v43
	v_lshlrev_b32_e32 v20, 7, v20
	v_perm_b32 v22, v22, v40, 0xc0c0105
	v_lshlrev_b16 v40, 8, v42
	v_cndmask_b32_e64 v43, 0, -1, s2
	v_cmp_ne_u16_sdwa s2, v38, v30 src0_sel:BYTE_3 src1_sel:DWORD
	v_xor_b32_e32 v20, v20, v34
	v_lshrrev_b32_e32 v23, 22, v23
	v_lshrrev_b16 v42, 4, v38
	v_lshl_or_b32 v21, v22, 16, v21
	v_cndmask_b32_e64 v34, 0, -1, s2
	v_mul_lo_u32 v20, 0x1010101, v20
	v_sub_nc_i16 v39, v39, v47 clamp
	v_and_b32_e32 v36, 0xffffff00, v37
	v_lshlrev_b16 v37, 8, v37
	v_bfe_i32 v38, v42, 0, 1
	v_lshlrev_b16 v42, 8, v43
	v_bfe_i32 v23, v23, 0, 1
	v_lshlrev_b16 v34, 8, v34
	v_and_b32_e32 v22, 0x8040201, v20
	v_sub_nc_i16 v7, v7, v18 clamp
	v_sub_nc_i16 v18, v36, v41 clamp
	;; [unrolled: 1-line block ×3, first 2 shown]
	v_or_b32_sdwa v37, v38, v42 dst_sel:DWORD dst_unused:UNUSED_PAD src0_sel:BYTE_0 src1_sel:DWORD
	v_cmp_ne_u16_sdwa s2, v22, v30 src0_sel:BYTE_1 src1_sel:DWORD
	v_or_b32_sdwa v40, v23, v34 dst_sel:WORD_1 dst_unused:UNUSED_PAD src0_sel:BYTE_0 src1_sel:DWORD
	v_perm_b32 v7, v7, v39, 0xc0c0105
	v_perm_b32 v18, v36, v18, 0xc0c0105
	v_dot4c_i32_i8 v35, v21, v8
	v_cndmask_b32_e64 v39, 0, -1, s2
	v_cmp_ne_u16_sdwa s2, v22, v30 src0_sel:BYTE_3 src1_sel:DWORD
	v_or_b32_sdwa v36, v37, v40 dst_sel:DWORD dst_unused:UNUSED_PAD src0_sel:WORD_0 src1_sel:DWORD
	v_lshrrev_b32_e32 v37, 18, v20
	v_lshl_or_b32 v7, v18, 16, v7
	v_lshlrev_b16 v39, 8, v39
	v_cndmask_b32_e64 v22, 0, -1, s2
	v_xor_b32_e32 v19, v19, v36
	v_bfe_i32 v36, v20, 0, 1
	v_bfe_i32 v37, v37, 0, 1
	v_lshlrev_b16 v38, 8, v38
	v_lshlrev_b16 v22, 8, v22
	v_lshrrev_b32_e32 v8, 16, v19
	v_or_b32_sdwa v18, v36, v39 dst_sel:DWORD dst_unused:UNUSED_PAD src0_sel:BYTE_0 src1_sel:DWORD
	v_and_b32_e32 v40, 0xffffff00, v19
	v_lshlrev_b16 v19, 8, v19
	v_or_b32_sdwa v21, v37, v22 dst_sel:WORD_1 dst_unused:UNUSED_PAD src0_sel:BYTE_0 src1_sel:DWORD
	v_and_b32_e32 v41, 0xffffff00, v8
	v_lshlrev_b16 v8, 8, v8
	v_dot4c_i32_i8 v35, v7, v9
	v_sub_nc_i16 v19, v19, v38 clamp
	v_or_b32_sdwa v18, v18, v21 dst_sel:DWORD dst_unused:UNUSED_PAD src0_sel:WORD_0 src1_sel:DWORD
	v_lshlrev_b16 v21, 8, v23
	v_sub_nc_i16 v23, v40, v42 clamp
	v_lshlrev_b16 v36, 8, v36
	v_lshlrev_b16 v37, 8, v37
	s_waitcnt vmcnt(1)
	v_xor_b32_e32 v16, v16, v18
	v_sub_nc_i16 v18, v41, v34 clamp
	v_sub_nc_i16 v8, v8, v21 clamp
	v_perm_b32 v9, v19, v23, 0xc0c0105
	v_bfe_u32 v23, v13, 21, 8
	v_and_b32_e32 v7, 0xffffff00, v16
	v_lshrrev_b32_e32 v19, 16, v16
	v_perm_b32 v8, v8, v18, 0xc0c0105
	v_and_b32_e32 v18, 0x80402010, v20
	v_lshrrev_b32_e32 v20, 22, v20
	v_bcnt_u32_b32 v38, v23, 0
	v_lshlrev_b16 v16, 8, v16
	v_sub_nc_i16 v7, v7, v39 clamp
	v_cmp_ne_u16_sdwa s2, v18, v30 src0_sel:BYTE_1 src1_sel:DWORD
	v_lshrrev_b16 v21, 4, v18
	v_bfe_i32 v20, v20, 0, 1
	v_and_b32_e32 v38, 1, v38
	v_and_b32_e32 v39, 0xffffff00, v19
	v_cndmask_b32_e64 v34, 0, -1, s2
	v_cmp_ne_u16_sdwa s2, v18, v30 src0_sel:BYTE_3 src1_sel:DWORD
	v_bfe_i32 v21, v21, 0, 1
	v_lshlrev_b32_e32 v38, 7, v38
	v_lshlrev_b16 v19, 8, v19
	v_lshlrev_b16 v34, 8, v34
	v_cndmask_b32_e64 v18, 0, -1, s2
	v_sub_nc_i16 v16, v16, v36 clamp
	v_xor_b32_e32 v23, v38, v23
	v_sub_nc_i16 v22, v39, v22 clamp
	v_or_b32_sdwa v40, v21, v34 dst_sel:DWORD dst_unused:UNUSED_PAD src0_sel:BYTE_0 src1_sel:DWORD
	v_lshlrev_b16 v18, 8, v18
	v_sub_nc_i16 v19, v19, v37 clamp
	v_lshl_or_b32 v8, v8, 16, v9
	v_perm_b32 v7, v16, v7, 0xc0c0105
	v_or_b32_sdwa v41, v20, v18 dst_sel:WORD_1 dst_unused:UNUSED_PAD src0_sel:BYTE_0 src1_sel:DWORD
	v_perm_b32 v16, v19, v22, 0xc0c0105
	v_dot4c_i32_i8 v35, v8, v2
	v_lshlrev_b16 v20, 8, v20
	v_or_b32_sdwa v36, v40, v41 dst_sel:DWORD dst_unused:UNUSED_PAD src0_sel:WORD_0 src1_sel:DWORD
	v_lshl_or_b32 v2, v16, 16, v7
	v_xor_b32_e32 v9, v17, v36
	v_mul_lo_u32 v17, 0x1010101, v23
	v_dot4c_i32_i8 v35, v2, v3
	v_and_b32_e32 v19, 0xffffff00, v9
	v_lshlrev_b16 v16, 8, v9
	v_lshrrev_b32_e32 v9, 16, v9
	v_and_b32_e32 v7, 0x8040201, v17
	v_sub_nc_i16 v8, v19, v34 clamp
	v_lshlrev_b16 v19, 8, v21
	v_lshrrev_b32_e32 v21, 18, v17
	v_and_b32_e32 v23, 0x80402010, v17
	v_cmp_ne_u16_sdwa s2, v7, v30 src0_sel:BYTE_1 src1_sel:DWORD
	v_sub_nc_i16 v16, v16, v19 clamp
	v_bfe_i32 v19, v17, 0, 1
	v_bfe_i32 v21, v21, 0, 1
	v_cndmask_b32_e64 v22, 0, -1, s2
	v_cmp_ne_u16_sdwa s2, v7, v30 src0_sel:BYTE_3 src1_sel:DWORD
	v_perm_b32 v2, v16, v8, 0xc0c0105
	v_and_b32_e32 v16, 0xffffff00, v9
	v_lshlrev_b16 v9, 8, v9
	v_lshlrev_b16 v22, 8, v22
	v_cndmask_b32_e64 v7, 0, -1, s2
	v_cmp_ne_u16_sdwa s2, v23, v30 src0_sel:BYTE_1 src1_sel:DWORD
	v_sub_nc_i16 v16, v16, v18 clamp
	v_sub_nc_i16 v9, v9, v20 clamp
	v_or_b32_sdwa v3, v19, v22 dst_sel:DWORD dst_unused:UNUSED_PAD src0_sel:BYTE_0 src1_sel:DWORD
	v_lshlrev_b16 v7, 8, v7
	v_cndmask_b32_e64 v34, 0, -1, s2
	v_cmp_ne_u16_sdwa s2, v23, v30 src0_sel:BYTE_3 src1_sel:DWORD
	v_lshlrev_b16 v19, 8, v19
	v_perm_b32 v9, v9, v16, 0xc0c0105
	v_or_b32_sdwa v8, v21, v7 dst_sel:WORD_1 dst_unused:UNUSED_PAD src0_sel:BYTE_0 src1_sel:DWORD
	v_lshl_or_b32 v2, v9, 16, v2
	v_or_b32_sdwa v3, v3, v8 dst_sel:DWORD dst_unused:UNUSED_PAD src0_sel:WORD_0 src1_sel:DWORD
	v_lshrrev_b32_e32 v8, 22, v17
	v_lshrrev_b16 v17, 4, v23
	v_cndmask_b32_e64 v23, 0, -1, s2
	v_dot4c_i32_i8 v35, v2, v4
	s_waitcnt vmcnt(0)
	v_xor_b32_e32 v3, v14, v3
	v_bfe_i32 v8, v8, 0, 1
	v_bfe_i32 v14, v17, 0, 1
	v_lshlrev_b16 v17, 8, v34
	v_lshlrev_b16 v23, 8, v23
	v_and_b32_e32 v18, 0xffffff00, v3
	v_lshlrev_b16 v36, 8, v3
	v_lshrrev_b32_e32 v3, 16, v3
	v_or_b32_sdwa v20, v14, v17 dst_sel:DWORD dst_unused:UNUSED_PAD src0_sel:BYTE_0 src1_sel:DWORD
	v_or_b32_sdwa v34, v8, v23 dst_sel:WORD_1 dst_unused:UNUSED_PAD src0_sel:BYTE_0 src1_sel:DWORD
	v_sub_nc_i16 v18, v18, v22 clamp
	v_sub_nc_i16 v19, v36, v19 clamp
	v_lshlrev_b16 v14, 8, v14
	v_lshlrev_b16 v8, 8, v8
	v_or_b32_sdwa v16, v20, v34 dst_sel:DWORD dst_unused:UNUSED_PAD src0_sel:WORD_0 src1_sel:DWORD
	v_and_b32_e32 v20, 0xffffff00, v3
	v_lshlrev_b16 v3, 8, v3
	v_perm_b32 v9, v19, v18, 0xc0c0105
	v_add_co_u32 v10, s2, 0x480, v10
	v_xor_b32_e32 v15, v15, v16
	v_lshlrev_b16 v16, 8, v21
	v_sub_nc_i16 v7, v20, v7 clamp
	v_add_co_ci_u32_e64 v11, null, 0, v11, s2
	v_lshrrev_b32_e32 v18, 16, v15
	v_sub_nc_i16 v3, v3, v16 clamp
	v_and_b32_e32 v16, 0xffffff00, v15
	v_lshlrev_b16 v15, 8, v15
	v_and_b32_e32 v19, 0xffffff00, v18
	v_lshlrev_b16 v18, 8, v18
	v_perm_b32 v3, v3, v7, 0xc0c0105
	v_sub_nc_i16 v7, v16, v17 clamp
	v_sub_nc_i16 v14, v15, v14 clamp
	v_sub_nc_i16 v15, v19, v23 clamp
	v_sub_nc_i16 v8, v18, v8 clamp
	v_lshl_or_b32 v2, v3, 16, v9
	v_perm_b32 v3, v14, v7, 0xc0c0105
	v_perm_b32 v4, v8, v15, 0xc0c0105
	v_dot4c_i32_i8 v35, v2, v5
	v_lshl_or_b32 v2, v4, 16, v3
	v_lshrrev_b32_e32 v3, 27, v13
	v_dot4c_i32_i8 v35, v2, v12
	v_or_b32_e32 v2, 1, v3
	v_mul_lo_u32 v2, v35, v2
	v_ashrrev_i32_e32 v3, 31, v2
	v_lshrrev_b32_e32 v3, 29, v3
	v_add_nc_u32_e32 v2, v2, v3
	v_cvt_f32_f16_e32 v3, v33
	v_ashrrev_i32_e32 v2, 3, v2
	v_mul_f32_e32 v3, v3, v6
	v_cvt_f32_i32_e32 v2, v2
	v_fmac_f32_e32 v29, v3, v2
	s_andn2_b32 exec_lo, exec_lo, s14
	s_cbranch_execz .LBB159_16
.LBB159_14:                             ; =>This Inner Loop Header: Depth=1
	v_add_nc_u32_e32 v22, s15, v28
	s_getpc_b64 s[2:3]
	s_add_u32 s2, s2, _ZL11iq2xxs_grid@rel32@lo+4
	s_addc_u32 s3, s3, _ZL11iq2xxs_grid@rel32@hi+12
	v_mad_i64_i32 v[14:15], null, 0x42, v22, s[12:13]
	v_add_co_u32 v2, vcc_lo, v14, v32
	v_add_co_ci_u32_e64 v3, null, 0, v15, vcc_lo
	s_andn2_b32 vcc_lo, exec_lo, s9
	global_load_dwordx2 v[12:13], v[2:3], off offset:2
	s_clause 0x1
	global_load_dwordx4 v[6:9], v[10:11], off offset:-32
	global_load_dwordx4 v[2:5], v[10:11], off offset:-16
	global_load_ushort v33, v[14:15], off
	s_waitcnt vmcnt(2)
	v_cvt_f32_f16_e32 v6, v6
	v_lshlrev_b32_sdwa v14, v31, v12 dst_sel:DWORD dst_unused:UNUSED_PAD src0_sel:DWORD src1_sel:BYTE_0
	v_lshlrev_b32_sdwa v15, v31, v12 dst_sel:DWORD dst_unused:UNUSED_PAD src0_sel:DWORD src1_sel:BYTE_1
	v_lshlrev_b32_sdwa v16, v31, v12 dst_sel:DWORD dst_unused:UNUSED_PAD src0_sel:DWORD src1_sel:BYTE_2
	v_lshlrev_b32_sdwa v23, v31, v12 dst_sel:DWORD dst_unused:UNUSED_PAD src0_sel:DWORD src1_sel:BYTE_3
	global_load_dword v12, v[10:11], off
	s_clause 0x3
	global_load_dwordx2 v[20:21], v14, s[2:3]
	global_load_dwordx2 v[18:19], v15, s[2:3]
	;; [unrolled: 1-line block ×4, first 2 shown]
	s_cbranch_vccnz .LBB159_13
; %bb.15:                               ;   in Loop: Header=BB159_14 Depth=1
	v_mad_i64_i32 v[22:23], null, 0x42, v22, s[28:29]
	v_add_co_u32 v34, vcc_lo, v22, v32
	v_add_co_ci_u32_e64 v35, null, 0, v23, vcc_lo
	s_clause 0x1
	global_load_ushort v22, v[22:23], off
	global_load_dwordx2 v[34:35], v[34:35], off offset:2
	s_waitcnt vmcnt(1)
	v_cvt_f32_f16_e32 v22, v22
	s_waitcnt vmcnt(0)
	v_lshlrev_b32_sdwa v36, v31, v34 dst_sel:DWORD dst_unused:UNUSED_PAD src0_sel:DWORD src1_sel:BYTE_0
	v_and_b32_e32 v38, 0xff, v35
	v_mul_f32_e32 v22, v6, v22
	global_load_dwordx2 v[36:37], v36, s[2:3]
	v_bcnt_u32_b32 v39, v38, 0
	v_and_b32_e32 v39, 1, v39
	v_lshlrev_b32_e32 v39, 7, v39
	v_xor_b32_e32 v38, v39, v38
	v_mul_lo_u32 v38, 0x1010101, v38
	v_and_b32_e32 v39, 0x8040201, v38
	v_lshrrev_b32_e32 v40, 18, v38
	v_cmp_ne_u16_sdwa s16, v39, v30 src0_sel:BYTE_3 src1_sel:DWORD
	v_cmp_ne_u16_sdwa s17, v39, v30 src0_sel:BYTE_1 src1_sel:DWORD
	v_bfe_i32 v39, v38, 0, 1
	v_bfe_i32 v40, v40, 0, 1
	v_cndmask_b32_e64 v43, 0, -1, s16
	v_cndmask_b32_e64 v41, 0, -1, s17
	v_lshlrev_b16 v43, 8, v43
	v_lshlrev_b16 v41, 8, v41
	v_or_b32_sdwa v44, v40, v43 dst_sel:WORD_1 dst_unused:UNUSED_PAD src0_sel:BYTE_0 src1_sel:DWORD
	v_or_b32_sdwa v42, v39, v41 dst_sel:DWORD dst_unused:UNUSED_PAD src0_sel:BYTE_0 src1_sel:DWORD
	v_lshlrev_b16 v39, 8, v39
	v_lshlrev_b16 v40, 8, v40
	v_or_b32_sdwa v42, v42, v44 dst_sel:DWORD dst_unused:UNUSED_PAD src0_sel:WORD_0 src1_sel:DWORD
	s_waitcnt vmcnt(0)
	v_xor_b32_e32 v36, v36, v42
	v_lshrrev_b32_e32 v42, 16, v36
	v_and_b32_e32 v44, 0xffffff00, v36
	v_lshlrev_b16 v36, 8, v36
	v_sub_nc_i16 v41, v44, v41 clamp
	v_sub_nc_i16 v36, v36, v39 clamp
	v_and_b32_e32 v39, 0xffffff00, v42
	v_perm_b32 v36, v36, v41, 0xc0c0105
	v_lshlrev_b16 v41, 8, v42
	v_sub_nc_i16 v39, v39, v43 clamp
	v_sub_nc_i16 v40, v41, v40 clamp
	v_perm_b32 v39, v40, v39, 0xc0c0105
	v_lshl_or_b32 v36, v39, 16, v36
	v_mov_b32_e32 v39, 0
	v_dot4c_i32_i8 v39, v36, v7
	v_and_b32_e32 v36, 0x80402010, v38
	v_lshrrev_b32_e32 v38, 22, v38
	v_cmp_ne_u16_sdwa s16, v36, v30 src0_sel:BYTE_3 src1_sel:DWORD
	v_cmp_ne_u16_sdwa s17, v36, v30 src0_sel:BYTE_1 src1_sel:DWORD
	v_lshrrev_b16 v36, 4, v36
	v_bfe_i32 v38, v38, 0, 1
	v_cndmask_b32_e64 v42, 0, -1, s16
	v_cndmask_b32_e64 v40, 0, -1, s17
	v_bfe_i32 v36, v36, 0, 1
	v_lshlrev_b16 v42, 8, v42
	v_lshlrev_b16 v40, 8, v40
	v_or_b32_sdwa v43, v38, v42 dst_sel:WORD_1 dst_unused:UNUSED_PAD src0_sel:BYTE_0 src1_sel:DWORD
	v_or_b32_sdwa v41, v36, v40 dst_sel:DWORD dst_unused:UNUSED_PAD src0_sel:BYTE_0 src1_sel:DWORD
	v_lshlrev_b16 v36, 8, v36
	v_lshlrev_b16 v38, 8, v38
	v_or_b32_sdwa v41, v41, v43 dst_sel:DWORD dst_unused:UNUSED_PAD src0_sel:WORD_0 src1_sel:DWORD
	v_xor_b32_e32 v37, v37, v41
	v_lshrrev_b32_e32 v41, 16, v37
	v_and_b32_e32 v43, 0xffffff00, v37
	v_lshlrev_b16 v37, 8, v37
	v_sub_nc_i16 v40, v43, v40 clamp
	v_sub_nc_i16 v36, v37, v36 clamp
	v_and_b32_e32 v37, 0xffffff00, v41
	v_perm_b32 v36, v36, v40, 0xc0c0105
	v_lshlrev_b16 v40, 8, v41
	v_sub_nc_i16 v37, v37, v42 clamp
	v_sub_nc_i16 v38, v40, v38 clamp
	v_perm_b32 v37, v38, v37, 0xc0c0105
	v_bfe_u32 v38, v35, 7, 8
	v_lshl_or_b32 v36, v37, 16, v36
	v_bcnt_u32_b32 v40, v38, 0
	v_dot4c_i32_i8 v39, v36, v8
	v_lshlrev_b32_sdwa v36, v31, v34 dst_sel:DWORD dst_unused:UNUSED_PAD src0_sel:DWORD src1_sel:BYTE_1
	v_and_b32_e32 v40, 1, v40
	global_load_dwordx2 v[36:37], v36, s[2:3]
	v_lshlrev_b32_e32 v40, 7, v40
	v_xor_b32_e32 v38, v40, v38
	v_mul_lo_u32 v38, 0x1010101, v38
	v_and_b32_e32 v40, 0x8040201, v38
	v_lshrrev_b32_e32 v41, 18, v38
	v_cmp_ne_u16_sdwa s16, v40, v30 src0_sel:BYTE_3 src1_sel:DWORD
	v_cmp_ne_u16_sdwa s17, v40, v30 src0_sel:BYTE_1 src1_sel:DWORD
	v_bfe_i32 v40, v38, 0, 1
	v_bfe_i32 v41, v41, 0, 1
	v_cndmask_b32_e64 v44, 0, -1, s16
	v_cndmask_b32_e64 v42, 0, -1, s17
	v_lshlrev_b16 v44, 8, v44
	v_lshlrev_b16 v42, 8, v42
	v_or_b32_sdwa v45, v41, v44 dst_sel:WORD_1 dst_unused:UNUSED_PAD src0_sel:BYTE_0 src1_sel:DWORD
	v_or_b32_sdwa v43, v40, v42 dst_sel:DWORD dst_unused:UNUSED_PAD src0_sel:BYTE_0 src1_sel:DWORD
	v_lshlrev_b16 v40, 8, v40
	v_lshlrev_b16 v41, 8, v41
	v_or_b32_sdwa v43, v43, v45 dst_sel:DWORD dst_unused:UNUSED_PAD src0_sel:WORD_0 src1_sel:DWORD
	s_waitcnt vmcnt(0)
	v_xor_b32_e32 v36, v36, v43
	v_lshrrev_b32_e32 v43, 16, v36
	v_and_b32_e32 v45, 0xffffff00, v36
	v_lshlrev_b16 v36, 8, v36
	v_sub_nc_i16 v42, v45, v42 clamp
	v_sub_nc_i16 v36, v36, v40 clamp
	v_and_b32_e32 v40, 0xffffff00, v43
	v_perm_b32 v36, v36, v42, 0xc0c0105
	v_lshlrev_b16 v42, 8, v43
	v_sub_nc_i16 v40, v40, v44 clamp
	v_sub_nc_i16 v41, v42, v41 clamp
	v_perm_b32 v40, v41, v40, 0xc0c0105
	v_lshl_or_b32 v36, v40, 16, v36
	v_dot4c_i32_i8 v39, v36, v9
	v_and_b32_e32 v36, 0x80402010, v38
	v_lshrrev_b32_e32 v38, 22, v38
	v_cmp_ne_u16_sdwa s16, v36, v30 src0_sel:BYTE_3 src1_sel:DWORD
	v_cmp_ne_u16_sdwa s17, v36, v30 src0_sel:BYTE_1 src1_sel:DWORD
	v_lshrrev_b16 v36, 4, v36
	v_bfe_i32 v38, v38, 0, 1
	v_cndmask_b32_e64 v42, 0, -1, s16
	v_cndmask_b32_e64 v40, 0, -1, s17
	v_bfe_i32 v36, v36, 0, 1
	v_lshlrev_b16 v42, 8, v42
	v_lshlrev_b16 v40, 8, v40
	v_or_b32_sdwa v43, v38, v42 dst_sel:WORD_1 dst_unused:UNUSED_PAD src0_sel:BYTE_0 src1_sel:DWORD
	v_or_b32_sdwa v41, v36, v40 dst_sel:DWORD dst_unused:UNUSED_PAD src0_sel:BYTE_0 src1_sel:DWORD
	v_lshlrev_b16 v36, 8, v36
	v_lshlrev_b16 v38, 8, v38
	v_or_b32_sdwa v41, v41, v43 dst_sel:DWORD dst_unused:UNUSED_PAD src0_sel:WORD_0 src1_sel:DWORD
	v_xor_b32_e32 v37, v37, v41
	v_lshrrev_b32_e32 v41, 16, v37
	v_and_b32_e32 v43, 0xffffff00, v37
	v_lshlrev_b16 v37, 8, v37
	v_sub_nc_i16 v40, v43, v40 clamp
	v_sub_nc_i16 v36, v37, v36 clamp
	v_and_b32_e32 v37, 0xffffff00, v41
	v_perm_b32 v36, v36, v40, 0xc0c0105
	v_lshlrev_b16 v40, 8, v41
	v_sub_nc_i16 v37, v37, v42 clamp
	v_sub_nc_i16 v38, v40, v38 clamp
	v_perm_b32 v37, v38, v37, 0xc0c0105
	v_bfe_u32 v38, v35, 14, 8
	v_lshl_or_b32 v36, v37, 16, v36
	v_bcnt_u32_b32 v40, v38, 0
	v_dot4c_i32_i8 v39, v36, v2
	v_lshlrev_b32_sdwa v36, v31, v34 dst_sel:DWORD dst_unused:UNUSED_PAD src0_sel:DWORD src1_sel:BYTE_2
	v_and_b32_e32 v40, 1, v40
	v_lshlrev_b32_sdwa v34, v31, v34 dst_sel:DWORD dst_unused:UNUSED_PAD src0_sel:DWORD src1_sel:BYTE_3
	global_load_dwordx2 v[36:37], v36, s[2:3]
	v_lshlrev_b32_e32 v40, 7, v40
	v_xor_b32_e32 v38, v40, v38
	v_mul_lo_u32 v38, 0x1010101, v38
	v_and_b32_e32 v40, 0x8040201, v38
	v_lshrrev_b32_e32 v41, 18, v38
	v_cmp_ne_u16_sdwa s16, v40, v30 src0_sel:BYTE_3 src1_sel:DWORD
	v_cmp_ne_u16_sdwa s17, v40, v30 src0_sel:BYTE_1 src1_sel:DWORD
	v_bfe_i32 v40, v38, 0, 1
	v_bfe_i32 v41, v41, 0, 1
	v_cndmask_b32_e64 v44, 0, -1, s16
	v_cndmask_b32_e64 v42, 0, -1, s17
	v_lshlrev_b16 v44, 8, v44
	v_lshlrev_b16 v42, 8, v42
	v_or_b32_sdwa v45, v41, v44 dst_sel:WORD_1 dst_unused:UNUSED_PAD src0_sel:BYTE_0 src1_sel:DWORD
	v_or_b32_sdwa v43, v40, v42 dst_sel:DWORD dst_unused:UNUSED_PAD src0_sel:BYTE_0 src1_sel:DWORD
	v_lshlrev_b16 v40, 8, v40
	v_lshlrev_b16 v41, 8, v41
	v_or_b32_sdwa v43, v43, v45 dst_sel:DWORD dst_unused:UNUSED_PAD src0_sel:WORD_0 src1_sel:DWORD
	s_waitcnt vmcnt(0)
	v_xor_b32_e32 v36, v36, v43
	v_lshrrev_b32_e32 v43, 16, v36
	v_and_b32_e32 v45, 0xffffff00, v36
	v_lshlrev_b16 v36, 8, v36
	v_sub_nc_i16 v42, v45, v42 clamp
	v_sub_nc_i16 v36, v36, v40 clamp
	v_and_b32_e32 v40, 0xffffff00, v43
	v_perm_b32 v36, v36, v42, 0xc0c0105
	v_lshlrev_b16 v42, 8, v43
	v_sub_nc_i16 v40, v40, v44 clamp
	v_sub_nc_i16 v41, v42, v41 clamp
	v_perm_b32 v40, v41, v40, 0xc0c0105
	v_lshl_or_b32 v36, v40, 16, v36
	v_dot4c_i32_i8 v39, v36, v3
	v_and_b32_e32 v36, 0x80402010, v38
	v_lshrrev_b32_e32 v38, 22, v38
	v_cmp_ne_u16_sdwa s16, v36, v30 src0_sel:BYTE_3 src1_sel:DWORD
	v_cmp_ne_u16_sdwa s17, v36, v30 src0_sel:BYTE_1 src1_sel:DWORD
	v_lshrrev_b16 v36, 4, v36
	v_bfe_i32 v38, v38, 0, 1
	v_cndmask_b32_e64 v42, 0, -1, s16
	v_cndmask_b32_e64 v40, 0, -1, s17
	v_bfe_i32 v36, v36, 0, 1
	v_lshlrev_b16 v42, 8, v42
	v_lshlrev_b16 v40, 8, v40
	v_or_b32_sdwa v43, v38, v42 dst_sel:WORD_1 dst_unused:UNUSED_PAD src0_sel:BYTE_0 src1_sel:DWORD
	v_or_b32_sdwa v41, v36, v40 dst_sel:DWORD dst_unused:UNUSED_PAD src0_sel:BYTE_0 src1_sel:DWORD
	v_lshlrev_b16 v36, 8, v36
	v_lshlrev_b16 v38, 8, v38
	v_or_b32_sdwa v41, v41, v43 dst_sel:DWORD dst_unused:UNUSED_PAD src0_sel:WORD_0 src1_sel:DWORD
	v_xor_b32_e32 v37, v37, v41
	v_lshrrev_b32_e32 v41, 16, v37
	v_and_b32_e32 v43, 0xffffff00, v37
	v_lshlrev_b16 v37, 8, v37
	v_sub_nc_i16 v40, v43, v40 clamp
	v_sub_nc_i16 v36, v37, v36 clamp
	v_and_b32_e32 v37, 0xffffff00, v41
	v_perm_b32 v36, v36, v40, 0xc0c0105
	v_lshlrev_b16 v40, 8, v41
	v_sub_nc_i16 v37, v37, v42 clamp
	v_sub_nc_i16 v38, v40, v38 clamp
	v_perm_b32 v37, v38, v37, 0xc0c0105
	v_lshl_or_b32 v36, v37, 16, v36
	v_dot4c_i32_i8 v39, v36, v4
	global_load_dwordx2 v[36:37], v34, s[2:3]
	v_bfe_u32 v34, v35, 21, 8
	v_bcnt_u32_b32 v38, v34, 0
	v_and_b32_e32 v38, 1, v38
	v_lshlrev_b32_e32 v38, 7, v38
	v_xor_b32_e32 v34, v38, v34
	v_mul_lo_u32 v34, 0x1010101, v34
	v_and_b32_e32 v38, 0x8040201, v34
	v_lshrrev_b32_e32 v40, 18, v34
	v_cmp_ne_u16_sdwa s2, v38, v30 src0_sel:BYTE_3 src1_sel:DWORD
	v_cmp_ne_u16_sdwa s3, v38, v30 src0_sel:BYTE_1 src1_sel:DWORD
	v_bfe_i32 v38, v34, 0, 1
	v_bfe_i32 v40, v40, 0, 1
	v_cndmask_b32_e64 v43, 0, -1, s2
	v_cndmask_b32_e64 v41, 0, -1, s3
	v_lshlrev_b16 v43, 8, v43
	v_lshlrev_b16 v41, 8, v41
	v_or_b32_sdwa v44, v40, v43 dst_sel:WORD_1 dst_unused:UNUSED_PAD src0_sel:BYTE_0 src1_sel:DWORD
	v_or_b32_sdwa v42, v38, v41 dst_sel:DWORD dst_unused:UNUSED_PAD src0_sel:BYTE_0 src1_sel:DWORD
	v_lshlrev_b16 v38, 8, v38
	v_lshlrev_b16 v40, 8, v40
	v_or_b32_sdwa v42, v42, v44 dst_sel:DWORD dst_unused:UNUSED_PAD src0_sel:WORD_0 src1_sel:DWORD
	s_waitcnt vmcnt(0)
	v_xor_b32_e32 v36, v36, v42
	v_lshrrev_b32_e32 v42, 16, v36
	v_and_b32_e32 v44, 0xffffff00, v36
	v_lshlrev_b16 v36, 8, v36
	v_sub_nc_i16 v41, v44, v41 clamp
	v_sub_nc_i16 v36, v36, v38 clamp
	v_and_b32_e32 v38, 0xffffff00, v42
	v_perm_b32 v36, v36, v41, 0xc0c0105
	v_lshlrev_b16 v41, 8, v42
	v_sub_nc_i16 v38, v38, v43 clamp
	v_sub_nc_i16 v40, v41, v40 clamp
	v_perm_b32 v38, v40, v38, 0xc0c0105
	v_lshl_or_b32 v36, v38, 16, v36
	v_dot4c_i32_i8 v39, v36, v5
	v_and_b32_e32 v36, 0x80402010, v34
	v_lshrrev_b32_e32 v34, 22, v34
	v_cmp_ne_u16_sdwa s2, v36, v30 src0_sel:BYTE_3 src1_sel:DWORD
	v_cmp_ne_u16_sdwa s3, v36, v30 src0_sel:BYTE_1 src1_sel:DWORD
	v_lshrrev_b16 v36, 4, v36
	v_bfe_i32 v34, v34, 0, 1
	v_cndmask_b32_e64 v41, 0, -1, s2
	v_cndmask_b32_e64 v38, 0, -1, s3
	v_bfe_i32 v36, v36, 0, 1
	v_lshlrev_b16 v41, 8, v41
	v_lshlrev_b16 v38, 8, v38
	v_or_b32_sdwa v42, v34, v41 dst_sel:WORD_1 dst_unused:UNUSED_PAD src0_sel:BYTE_0 src1_sel:DWORD
	v_or_b32_sdwa v40, v36, v38 dst_sel:DWORD dst_unused:UNUSED_PAD src0_sel:BYTE_0 src1_sel:DWORD
	v_lshlrev_b16 v36, 8, v36
	v_lshlrev_b16 v34, 8, v34
	v_or_b32_sdwa v40, v40, v42 dst_sel:DWORD dst_unused:UNUSED_PAD src0_sel:WORD_0 src1_sel:DWORD
	v_xor_b32_e32 v37, v37, v40
	v_lshrrev_b32_e32 v40, 16, v37
	v_and_b32_e32 v42, 0xffffff00, v37
	v_lshlrev_b16 v37, 8, v37
	v_sub_nc_i16 v38, v42, v38 clamp
	v_sub_nc_i16 v36, v37, v36 clamp
	v_and_b32_e32 v37, 0xffffff00, v40
	v_perm_b32 v36, v36, v38, 0xc0c0105
	v_lshlrev_b16 v38, 8, v40
	v_sub_nc_i16 v37, v37, v41 clamp
	v_sub_nc_i16 v34, v38, v34 clamp
	v_perm_b32 v34, v34, v37, 0xc0c0105
	v_lshl_or_b32 v34, v34, 16, v36
	v_dot4c_i32_i8 v39, v34, v12
	v_lshrrev_b32_e32 v34, 27, v35
	v_or_b32_e32 v34, 1, v34
	v_mul_lo_u32 v34, v39, v34
	v_ashrrev_i32_e32 v35, 31, v34
	v_lshrrev_b32_e32 v35, 29, v35
	v_add_nc_u32_e32 v34, v34, v35
	v_ashrrev_i32_e32 v34, 3, v34
	v_cvt_f32_i32_e32 v23, v34
	v_fmac_f32_e32 v27, v22, v23
	s_branch .LBB159_13
.LBB159_16:
	s_or_b32 exec_lo, exec_lo, s14
.LBB159_17:
	s_or_b32 exec_lo, exec_lo, s11
	s_load_dword s2, s[4:5], 0x30
	s_waitcnt vmcnt(0) lgkmcnt(0)
	; wave barrier
	buffer_gl0_inv
	s_mov_b32 s3, exec_lo
	v_cmpx_eq_u32_e32 0, v1
	s_cbranch_execz .LBB159_44
; %bb.18:
	v_mbcnt_lo_u32_b32 v2, -1, 0
	v_xor_b32_e32 v1, 16, v2
	v_xor_b32_e32 v4, 8, v2
	;; [unrolled: 1-line block ×3, first 2 shown]
	v_cmp_gt_i32_e32 vcc_lo, 32, v1
	v_cndmask_b32_e32 v1, v2, v1, vcc_lo
	v_cmp_gt_i32_e32 vcc_lo, 32, v4
	v_lshlrev_b32_e32 v1, 2, v1
	v_cndmask_b32_e32 v4, v2, v4, vcc_lo
	v_cmp_gt_i32_e32 vcc_lo, 32, v5
	ds_bpermute_b32 v3, v1, v29
	v_lshlrev_b32_e32 v4, 2, v4
	v_cndmask_b32_e32 v5, v2, v5, vcc_lo
	v_lshlrev_b32_e32 v5, 2, v5
	s_waitcnt lgkmcnt(0)
	v_add_f32_e32 v3, v29, v3
	ds_bpermute_b32 v6, v4, v3
	s_waitcnt lgkmcnt(0)
	v_add_f32_e32 v3, v3, v6
	v_xor_b32_e32 v6, 2, v2
	ds_bpermute_b32 v7, v5, v3
	v_cmp_gt_i32_e32 vcc_lo, 32, v6
	v_cndmask_b32_e32 v6, v2, v6, vcc_lo
	v_lshlrev_b32_e32 v6, 2, v6
	s_waitcnt lgkmcnt(0)
	v_add_f32_e32 v3, v3, v7
	v_xor_b32_e32 v7, 1, v2
	ds_bpermute_b32 v8, v6, v3
	v_cmp_gt_i32_e32 vcc_lo, 32, v7
	v_cndmask_b32_e32 v2, v2, v7, vcc_lo
	v_cmp_ne_u32_e32 vcc_lo, 1, v26
	v_lshlrev_b32_e32 v7, 2, v2
	s_waitcnt lgkmcnt(0)
	v_add_f32_e32 v2, v3, v8
	ds_bpermute_b32 v3, v7, v2
	s_cbranch_vccnz .LBB159_20
; %bb.19:
	ds_bpermute_b32 v1, v1, v27
	s_waitcnt lgkmcnt(0)
	v_add_f32_e32 v1, v27, v1
	ds_bpermute_b32 v4, v4, v1
	s_waitcnt lgkmcnt(0)
	v_add_f32_e32 v1, v1, v4
	;; [unrolled: 3-line block ×5, first 2 shown]
.LBB159_20:
	v_cmp_eq_u32_e32 vcc_lo, 0, v0
	s_and_b32 exec_lo, exec_lo, vcc_lo
	s_cbranch_execz .LBB159_44
; %bb.21:
	s_waitcnt lgkmcnt(0)
	v_add_f32_e32 v1, v2, v3
	v_cmp_ne_u32_e32 vcc_lo, 1, v26
	v_add_f32_e32 v2, v25, v1
	v_cndmask_b32_e64 v1, v1, v2, s0
	s_cbranch_vccnz .LBB159_43
; %bb.22:
	v_add_f32_e32 v2, v24, v27
	s_cmp_lt_i32 s2, 2
	s_mov_b32 s0, 0
	v_cndmask_b32_e64 v2, v27, v2, s1
	s_cbranch_scc1 .LBB159_26
; %bb.23:
	s_cmp_gt_i32 s2, 2
	s_cbranch_scc0 .LBB159_27
; %bb.24:
	s_cmp_eq_u32 s2, 3
	s_cbranch_scc0 .LBB159_28
; %bb.25:
	v_max_f32_e32 v3, v2, v2
	s_mov_b32 s1, 0
	v_min_f32_e32 v3, 0x40e00000, v3
	v_mul_f32_e32 v4, 0xbfd9db23, v3
	v_mul_f32_e32 v5, 0x3fb8aa3b, v4
	v_cmp_ngt_f32_e32 vcc_lo, 0xc2ce8ed0, v4
	v_fma_f32 v6, 0x3fb8aa3b, v4, -v5
	v_rndne_f32_e32 v7, v5
	v_fmamk_f32 v6, v4, 0x32a5705f, v6
	v_sub_f32_e32 v5, v5, v7
	v_add_f32_e32 v5, v5, v6
	v_cvt_i32_f32_e32 v6, v7
	v_exp_f32_e32 v5, v5
	v_ldexp_f32 v5, v5, v6
	v_cndmask_b32_e32 v5, 0, v5, vcc_lo
	v_cmp_nlt_f32_e32 vcc_lo, 0x42b17218, v4
	v_cndmask_b32_e32 v4, 0x7f800000, v5, vcc_lo
	v_add_f32_e32 v4, 1.0, v4
	v_div_scale_f32 v5, null, v4, v4, v3
	v_div_scale_f32 v8, vcc_lo, v3, v4, v3
	v_rcp_f32_e32 v6, v5
	v_fma_f32 v7, -v5, v6, 1.0
	v_fmac_f32_e32 v6, v7, v6
	v_mul_f32_e32 v7, v8, v6
	v_fma_f32 v9, -v5, v7, v8
	v_fmac_f32_e32 v7, v9, v6
	v_max_f32_e32 v9, v1, v1
	v_fma_f32 v5, -v5, v7, v8
	v_min_f32_e32 v8, 0x40e00000, v9
	v_div_fmas_f32 v5, v5, v6, v7
	v_max_f32_e32 v6, 0xc0e00000, v8
	v_div_fixup_f32 v3, v5, v4, v3
	v_add_f32_e32 v4, 1.0, v6
	v_mul_f32_e32 v3, v4, v3
	s_branch .LBB159_29
.LBB159_26:
	s_mov_b32 s1, 0
                                        ; implicit-def: $vgpr3
	s_cbranch_execnz .LBB159_33
	s_branch .LBB159_34
.LBB159_27:
	s_mov_b32 s3, -1
	s_mov_b32 s1, 0
                                        ; implicit-def: $vgpr3
	s_branch .LBB159_30
.LBB159_28:
	s_mov_b32 s1, -1
                                        ; implicit-def: $vgpr3
.LBB159_29:
	s_mov_b32 s3, 0
.LBB159_30:
	s_and_b32 vcc_lo, exec_lo, s3
	s_cbranch_vccz .LBB159_32
; %bb.31:
	v_mul_f32_e32 v3, 0xbfb8aa3b, v2
	v_cmp_nlt_f32_e32 vcc_lo, 0x42ce8ed0, v2
	v_rndne_f32_e32 v4, v3
	v_fma_f32 v5, 0xbfb8aa3b, v2, -v3
	v_sub_f32_e32 v3, v3, v4
	v_fmamk_f32 v5, v2, 0xb2a5705f, v5
	v_cvt_i32_f32_e32 v4, v4
	v_add_f32_e32 v3, v3, v5
	v_exp_f32_e32 v3, v3
	v_ldexp_f32 v3, v3, v4
	v_cndmask_b32_e32 v3, 0, v3, vcc_lo
	v_cmp_ngt_f32_e32 vcc_lo, 0xc2b17218, v2
	v_cndmask_b32_e32 v3, 0x7f800000, v3, vcc_lo
	v_add_f32_e32 v3, 1.0, v3
	v_div_scale_f32 v4, null, v3, v3, v2
	v_rcp_f32_e32 v5, v4
	v_fma_f32 v6, -v4, v5, 1.0
	v_fmac_f32_e32 v5, v6, v5
	v_div_scale_f32 v6, vcc_lo, v2, v3, v2
	v_mul_f32_e32 v7, v6, v5
	v_fma_f32 v8, -v4, v7, v6
	v_fmac_f32_e32 v7, v8, v5
	v_fma_f32 v4, -v4, v7, v6
	v_div_fmas_f32 v4, v4, v5, v7
	v_div_fixup_f32 v3, v4, v3, v2
	v_mul_f32_e32 v3, v1, v3
.LBB159_32:
	s_branch .LBB159_34
.LBB159_33:
	s_cmp_lg_u32 s2, 1
	s_mov_b32 s0, -1
	s_cselect_b32 s1, -1, 0
.LBB159_34:
	s_andn2_b32 vcc_lo, exec_lo, s1
	s_cbranch_vccz .LBB159_36
; %bb.35:
	s_andn2_b32 vcc_lo, exec_lo, s0
	s_cbranch_vccz .LBB159_37
	s_branch .LBB159_42
.LBB159_36:
	v_mul_f32_e32 v3, v2, v1
	s_cbranch_execnz .LBB159_42
.LBB159_37:
	v_mul_f32_e32 v3, 0x3d372713, v2
	v_mul_f32_e32 v4, 0x3f4c422a, v2
	v_fma_f32 v3, v2, v3, 1.0
	v_mul_f32_e32 v3, v4, v3
                                        ; implicit-def: $vgpr4
	v_cmp_ngt_f32_e64 s0, 0x3f200000, |v3|
	s_and_saveexec_b32 s1, s0
	s_xor_b32 s0, exec_lo, s1
	s_cbranch_execz .LBB159_39
; %bb.38:
	v_add_f32_e64 v4, |v3|, |v3|
	v_mul_f32_e32 v5, 0x3fb8aa3b, v4
	v_cmp_ngt_f32_e32 vcc_lo, 0xc2ce8ed0, v4
	v_rndne_f32_e32 v6, v5
	v_fma_f32 v7, 0x3fb8aa3b, v4, -v5
	v_sub_f32_e32 v5, v5, v6
	v_fmamk_f32 v7, v4, 0x32a5705f, v7
	v_cvt_i32_f32_e32 v6, v6
	v_add_f32_e32 v5, v5, v7
	v_exp_f32_e32 v5, v5
	v_ldexp_f32 v5, v5, v6
	v_cndmask_b32_e32 v5, 0, v5, vcc_lo
	v_cmp_nlt_f32_e32 vcc_lo, 0x42b17218, v4
	v_cndmask_b32_e32 v4, 0x7f800000, v5, vcc_lo
	v_add_f32_e32 v4, 1.0, v4
	v_rcp_f32_e32 v4, v4
	v_fma_f32 v4, v4, -2.0, 1.0
.LBB159_39:
	s_andn2_saveexec_b32 s0, s0
	s_cbranch_execz .LBB159_41
; %bb.40:
	v_mul_f32_e32 v4, v3, v3
	s_mov_b32 s1, 0xbbbac73d
	v_fmaak_f32 v5, s1, v4, 0x3ca908c9
	v_fmaak_f32 v5, v4, v5, 0xbd5c1c4e
	;; [unrolled: 1-line block ×4, first 2 shown]
	v_mul_f32_e64 v5, |v3|, v5
	v_fma_f32 v4, v4, v5, |v3|
.LBB159_41:
	s_or_b32 exec_lo, exec_lo, s0
	v_bfi_b32 v3, 0x7fffffff, v4, v3
	v_mul_f32_e32 v2, 0.5, v2
	v_add_f32_e32 v3, 1.0, v3
	v_mul_f32_e32 v2, v2, v3
	v_mul_f32_e32 v3, v1, v2
.LBB159_42:
	v_mov_b32_e32 v1, v3
.LBB159_43:
	s_load_dwordx2 s[0:1], s[4:5], 0x38
	s_mul_i32 s2, s22, s10
	s_mul_i32 s3, s26, s8
	s_add_i32 s2, s2, s6
	v_lshlrev_b32_e32 v0, 2, v0
	s_add_i32 s2, s2, s3
	s_mov_b32 s3, 0
	s_lshl_b64 s[2:3], s[2:3], 2
	s_waitcnt lgkmcnt(0)
	s_add_u32 s0, s0, s2
	s_addc_u32 s1, s1, s3
	global_store_dword v0, v1, s[0:1]
.LBB159_44:
	s_endpgm
	.section	.rodata,"a",@progbits
	.p2align	6, 0x0
	.amdhsa_kernel _ZL13mul_mat_vec_qIL9ggml_type16ELi1ELb1ELb0EEvPKvS2_PKi31ggml_cuda_mm_fusion_args_devicePfj15HIP_vector_typeIjLj3EEjjjS8_jjjS8_jjjj
		.amdhsa_group_segment_fixed_size 0
		.amdhsa_private_segment_fixed_size 0
		.amdhsa_kernarg_size 144
		.amdhsa_user_sgpr_count 6
		.amdhsa_user_sgpr_private_segment_buffer 1
		.amdhsa_user_sgpr_dispatch_ptr 0
		.amdhsa_user_sgpr_queue_ptr 0
		.amdhsa_user_sgpr_kernarg_segment_ptr 1
		.amdhsa_user_sgpr_dispatch_id 0
		.amdhsa_user_sgpr_flat_scratch_init 0
		.amdhsa_user_sgpr_private_segment_size 0
		.amdhsa_wavefront_size32 1
		.amdhsa_uses_dynamic_stack 0
		.amdhsa_system_sgpr_private_segment_wavefront_offset 0
		.amdhsa_system_sgpr_workgroup_id_x 1
		.amdhsa_system_sgpr_workgroup_id_y 1
		.amdhsa_system_sgpr_workgroup_id_z 1
		.amdhsa_system_sgpr_workgroup_info 0
		.amdhsa_system_vgpr_workitem_id 1
		.amdhsa_next_free_vgpr 54
		.amdhsa_next_free_sgpr 40
		.amdhsa_reserve_vcc 1
		.amdhsa_reserve_flat_scratch 0
		.amdhsa_float_round_mode_32 0
		.amdhsa_float_round_mode_16_64 0
		.amdhsa_float_denorm_mode_32 3
		.amdhsa_float_denorm_mode_16_64 3
		.amdhsa_dx10_clamp 1
		.amdhsa_ieee_mode 1
		.amdhsa_fp16_overflow 0
		.amdhsa_workgroup_processor_mode 1
		.amdhsa_memory_ordered 1
		.amdhsa_forward_progress 1
		.amdhsa_shared_vgpr_count 0
		.amdhsa_exception_fp_ieee_invalid_op 0
		.amdhsa_exception_fp_denorm_src 0
		.amdhsa_exception_fp_ieee_div_zero 0
		.amdhsa_exception_fp_ieee_overflow 0
		.amdhsa_exception_fp_ieee_underflow 0
		.amdhsa_exception_fp_ieee_inexact 0
		.amdhsa_exception_int_div_zero 0
	.end_amdhsa_kernel
	.section	.text._ZL13mul_mat_vec_qIL9ggml_type16ELi1ELb1ELb0EEvPKvS2_PKi31ggml_cuda_mm_fusion_args_devicePfj15HIP_vector_typeIjLj3EEjjjS8_jjjS8_jjjj,"axG",@progbits,_ZL13mul_mat_vec_qIL9ggml_type16ELi1ELb1ELb0EEvPKvS2_PKi31ggml_cuda_mm_fusion_args_devicePfj15HIP_vector_typeIjLj3EEjjjS8_jjjS8_jjjj,comdat
.Lfunc_end159:
	.size	_ZL13mul_mat_vec_qIL9ggml_type16ELi1ELb1ELb0EEvPKvS2_PKi31ggml_cuda_mm_fusion_args_devicePfj15HIP_vector_typeIjLj3EEjjjS8_jjjS8_jjjj, .Lfunc_end159-_ZL13mul_mat_vec_qIL9ggml_type16ELi1ELb1ELb0EEvPKvS2_PKi31ggml_cuda_mm_fusion_args_devicePfj15HIP_vector_typeIjLj3EEjjjS8_jjjS8_jjjj
                                        ; -- End function
	.set _ZL13mul_mat_vec_qIL9ggml_type16ELi1ELb1ELb0EEvPKvS2_PKi31ggml_cuda_mm_fusion_args_devicePfj15HIP_vector_typeIjLj3EEjjjS8_jjjS8_jjjj.num_vgpr, 54
	.set _ZL13mul_mat_vec_qIL9ggml_type16ELi1ELb1ELb0EEvPKvS2_PKi31ggml_cuda_mm_fusion_args_devicePfj15HIP_vector_typeIjLj3EEjjjS8_jjjS8_jjjj.num_agpr, 0
	.set _ZL13mul_mat_vec_qIL9ggml_type16ELi1ELb1ELb0EEvPKvS2_PKi31ggml_cuda_mm_fusion_args_devicePfj15HIP_vector_typeIjLj3EEjjjS8_jjjS8_jjjj.numbered_sgpr, 40
	.set _ZL13mul_mat_vec_qIL9ggml_type16ELi1ELb1ELb0EEvPKvS2_PKi31ggml_cuda_mm_fusion_args_devicePfj15HIP_vector_typeIjLj3EEjjjS8_jjjS8_jjjj.num_named_barrier, 0
	.set _ZL13mul_mat_vec_qIL9ggml_type16ELi1ELb1ELb0EEvPKvS2_PKi31ggml_cuda_mm_fusion_args_devicePfj15HIP_vector_typeIjLj3EEjjjS8_jjjS8_jjjj.private_seg_size, 0
	.set _ZL13mul_mat_vec_qIL9ggml_type16ELi1ELb1ELb0EEvPKvS2_PKi31ggml_cuda_mm_fusion_args_devicePfj15HIP_vector_typeIjLj3EEjjjS8_jjjS8_jjjj.uses_vcc, 1
	.set _ZL13mul_mat_vec_qIL9ggml_type16ELi1ELb1ELb0EEvPKvS2_PKi31ggml_cuda_mm_fusion_args_devicePfj15HIP_vector_typeIjLj3EEjjjS8_jjjS8_jjjj.uses_flat_scratch, 0
	.set _ZL13mul_mat_vec_qIL9ggml_type16ELi1ELb1ELb0EEvPKvS2_PKi31ggml_cuda_mm_fusion_args_devicePfj15HIP_vector_typeIjLj3EEjjjS8_jjjS8_jjjj.has_dyn_sized_stack, 0
	.set _ZL13mul_mat_vec_qIL9ggml_type16ELi1ELb1ELb0EEvPKvS2_PKi31ggml_cuda_mm_fusion_args_devicePfj15HIP_vector_typeIjLj3EEjjjS8_jjjS8_jjjj.has_recursion, 0
	.set _ZL13mul_mat_vec_qIL9ggml_type16ELi1ELb1ELb0EEvPKvS2_PKi31ggml_cuda_mm_fusion_args_devicePfj15HIP_vector_typeIjLj3EEjjjS8_jjjS8_jjjj.has_indirect_call, 0
	.section	.AMDGPU.csdata,"",@progbits
; Kernel info:
; codeLenInByte = 6240
; TotalNumSgprs: 42
; NumVgprs: 54
; ScratchSize: 0
; MemoryBound: 0
; FloatMode: 240
; IeeeMode: 1
; LDSByteSize: 0 bytes/workgroup (compile time only)
; SGPRBlocks: 0
; VGPRBlocks: 6
; NumSGPRsForWavesPerEU: 42
; NumVGPRsForWavesPerEU: 54
; Occupancy: 16
; WaveLimiterHint : 0
; COMPUTE_PGM_RSRC2:SCRATCH_EN: 0
; COMPUTE_PGM_RSRC2:USER_SGPR: 6
; COMPUTE_PGM_RSRC2:TRAP_HANDLER: 0
; COMPUTE_PGM_RSRC2:TGID_X_EN: 1
; COMPUTE_PGM_RSRC2:TGID_Y_EN: 1
; COMPUTE_PGM_RSRC2:TGID_Z_EN: 1
; COMPUTE_PGM_RSRC2:TIDIG_COMP_CNT: 1
	.section	.text._ZL13mul_mat_vec_qIL9ggml_type16ELi1ELb0ELb0EEvPKvS2_PKi31ggml_cuda_mm_fusion_args_devicePfj15HIP_vector_typeIjLj3EEjjjS8_jjjS8_jjjj,"axG",@progbits,_ZL13mul_mat_vec_qIL9ggml_type16ELi1ELb0ELb0EEvPKvS2_PKi31ggml_cuda_mm_fusion_args_devicePfj15HIP_vector_typeIjLj3EEjjjS8_jjjS8_jjjj,comdat
	.globl	_ZL13mul_mat_vec_qIL9ggml_type16ELi1ELb0ELb0EEvPKvS2_PKi31ggml_cuda_mm_fusion_args_devicePfj15HIP_vector_typeIjLj3EEjjjS8_jjjS8_jjjj ; -- Begin function _ZL13mul_mat_vec_qIL9ggml_type16ELi1ELb0ELb0EEvPKvS2_PKi31ggml_cuda_mm_fusion_args_devicePfj15HIP_vector_typeIjLj3EEjjjS8_jjjS8_jjjj
	.p2align	8
	.type	_ZL13mul_mat_vec_qIL9ggml_type16ELi1ELb0ELb0EEvPKvS2_PKi31ggml_cuda_mm_fusion_args_devicePfj15HIP_vector_typeIjLj3EEjjjS8_jjjS8_jjjj,@function
_ZL13mul_mat_vec_qIL9ggml_type16ELi1ELb0ELb0EEvPKvS2_PKi31ggml_cuda_mm_fusion_args_devicePfj15HIP_vector_typeIjLj3EEjjjS8_jjjS8_jjjj: ; @_ZL13mul_mat_vec_qIL9ggml_type16ELi1ELb0ELb0EEvPKvS2_PKi31ggml_cuda_mm_fusion_args_devicePfj15HIP_vector_typeIjLj3EEjjjS8_jjjS8_jjjj
; %bb.0:
	s_clause 0x1
	s_load_dwordx2 s[0:1], s[4:5], 0x10
	s_load_dwordx4 s[16:19], s[4:5], 0x40
	s_mov_b32 s10, s7
	s_waitcnt lgkmcnt(0)
	s_cmp_lg_u64 s[0:1], 0
	s_cselect_b32 s7, -1, 0
	s_cmp_eq_u64 s[0:1], 0
	s_cbranch_scc1 .LBB160_5
; %bb.1:
	s_mov_b32 s11, 0
	s_lshl_b64 s[2:3], s[10:11], 2
	s_add_u32 s0, s0, s2
	s_addc_u32 s1, s1, s3
	s_load_dword s20, s[0:1], 0x0
	s_clause 0x1
	s_load_dwordx4 s[0:3], s[4:5], 0x68
	s_load_dword s21, s[4:5], 0x50
	s_cbranch_execnz .LBB160_3
.LBB160_2:
	s_load_dwordx2 s[12:13], s[4:5], 0x5c
	s_waitcnt lgkmcnt(0)
	s_mul_hi_u32 s9, s12, s10
	s_add_i32 s9, s10, s9
	s_lshr_b32 s20, s9, s13
.LBB160_3:
	s_load_dword s11, s[4:5], 0x78
	s_andn2_b32 vcc_lo, exec_lo, s7
	s_cbranch_vccnz .LBB160_6
; %bb.4:
	s_mul_hi_u32 s7, s17, s10
	s_add_i32 s7, s10, s7
	s_lshr_b32 s7, s7, s18
	s_mul_i32 s7, s7, s19
	s_sub_i32 s17, s10, s7
	s_branch .LBB160_7
.LBB160_5:
                                        ; implicit-def: $sgpr20
	s_clause 0x1
	s_load_dwordx4 s[0:3], s[4:5], 0x68
	s_load_dword s21, s[4:5], 0x50
	s_branch .LBB160_2
.LBB160_6:
	s_mov_b32 s17, s10
.LBB160_7:
	s_load_dwordx4 s[12:15], s[4:5], 0x80
	v_lshl_or_b32 v2, v1, 5, v0
	v_mov_b32_e32 v7, 0
	s_lshr_b32 s9, s16, 8
	s_mov_b32 s7, exec_lo
	v_lshrrev_b32_e32 v6, 3, v2
	v_cmpx_gt_u32_e64 s9, v6
	s_cbranch_execz .LBB160_11
; %bb.8:
	v_lshrrev_b32_e32 v2, 3, v2
	s_waitcnt lgkmcnt(0)
	s_mul_i32 s1, s17, s1
	v_and_b32_e32 v5, 7, v0
	s_mul_hi_u32 s17, s1, 36
	s_mul_i32 s16, s1, 36
	s_mul_i32 s1, s13, s8
	v_mad_u64_u32 v[2:3], null, 0x120, v2, s[16:17]
	s_load_dwordx4 s[16:19], s[4:5], 0x0
	v_lshlrev_b32_e32 v4, 1, v0
	s_mul_i32 s21, s21, s6
	v_mov_b32_e32 v8, 0
	v_mov_b32_e32 v9, 3
	;; [unrolled: 1-line block ×3, first 2 shown]
	v_mad_u64_u32 v[2:3], null, s1, 36, v[2:3]
	v_and_b32_e32 v4, 14, v4
	s_mul_hi_u32 s1, s3, s8
	s_mul_i32 s0, s20, s0
	s_add_i32 s1, s8, s1
	s_mov_b32 s3, 0
	v_lshlrev_b32_e32 v4, 1, v4
	v_mad_u64_u32 v[2:3], null, v5, 36, v[2:3]
	s_lshr_b32 s1, s1, s11
	s_mul_i32 s1, s1, s12
	v_lshlrev_b32_e32 v10, 1, v4
	s_add_i32 s1, s1, s21
	s_waitcnt lgkmcnt(0)
	v_add_co_u32 v2, vcc_lo, s18, v2
	v_add_co_ci_u32_e64 v3, null, s19, v3, vcc_lo
	s_add_i32 s11, s0, s1
	v_add_co_u32 v2, vcc_lo, v2, 32
	v_add_co_ci_u32_e64 v3, null, 0, v3, vcc_lo
.LBB160_9:                              ; =>This Inner Loop Header: Depth=1
	v_add_nc_u32_e32 v4, s11, v6
	s_getpc_b64 s[0:1]
	s_add_u32 s0, s0, _ZL11iq2xxs_grid@rel32@lo+4
	s_addc_u32 s1, s1, _ZL11iq2xxs_grid@rel32@hi+12
	v_add_nc_u32_e32 v6, 4, v6
	v_mad_i64_i32 v[11:12], null, 0x42, v4, s[16:17]
	v_add_co_u32 v4, vcc_lo, v11, v10
	v_add_co_ci_u32_e64 v5, null, 0, v12, vcc_lo
	s_clause 0x1
	global_load_ushort v21, v[11:12], off
	global_load_dwordx2 v[4:5], v[4:5], off offset:2
	s_waitcnt vmcnt(0)
	v_lshlrev_b32_sdwa v11, v9, v4 dst_sel:DWORD dst_unused:UNUSED_PAD src0_sel:DWORD src1_sel:BYTE_0
	v_lshlrev_b32_sdwa v14, v9, v4 dst_sel:DWORD dst_unused:UNUSED_PAD src0_sel:DWORD src1_sel:BYTE_1
	v_lshlrev_b32_sdwa v17, v9, v4 dst_sel:DWORD dst_unused:UNUSED_PAD src0_sel:DWORD src1_sel:BYTE_2
	v_lshlrev_b32_sdwa v4, v9, v4 dst_sel:DWORD dst_unused:UNUSED_PAD src0_sel:DWORD src1_sel:BYTE_3
	v_and_b32_e32 v13, 0xff, v5
	s_clause 0x3
	global_load_dwordx2 v[11:12], v11, s[0:1]
	global_load_dwordx2 v[15:16], v14, s[0:1]
	;; [unrolled: 1-line block ×4, first 2 shown]
	v_bfe_u32 v22, v5, 7, 8
	v_bfe_u32 v23, v5, 14, 8
	;; [unrolled: 1-line block ×3, first 2 shown]
	v_bcnt_u32_b32 v4, v13, 0
	v_lshrrev_b32_e32 v5, 27, v5
	v_bcnt_u32_b32 v14, v22, 0
	v_bcnt_u32_b32 v25, v23, 0
	;; [unrolled: 1-line block ×3, first 2 shown]
	v_and_b32_e32 v4, 1, v4
	v_and_b32_e32 v14, 1, v14
	;; [unrolled: 1-line block ×4, first 2 shown]
	v_lshlrev_b32_e32 v4, 7, v4
	v_lshlrev_b32_e32 v14, 7, v14
	;; [unrolled: 1-line block ×4, first 2 shown]
	v_xor_b32_e32 v4, v4, v13
	v_xor_b32_e32 v13, v14, v22
	;; [unrolled: 1-line block ×4, first 2 shown]
	v_mul_lo_u32 v4, 0x1010101, v4
	v_mul_lo_u32 v13, 0x1010101, v13
	;; [unrolled: 1-line block ×4, first 2 shown]
	v_and_b32_e32 v23, 0x8040201, v4
	v_and_b32_e32 v26, 0x80402010, v4
	;; [unrolled: 1-line block ×4, first 2 shown]
	v_lshrrev_b32_e32 v28, 18, v13
	v_cmp_ne_u16_sdwa s0, v23, v8 src0_sel:BYTE_1 src1_sel:DWORD
	v_lshrrev_b16 v40, 4, v26
	v_bfe_i32 v29, v13, 0, 1
	v_lshrrev_b32_e32 v13, 22, v13
	v_and_b32_e32 v31, 0x8040201, v14
	v_cndmask_b32_e64 v39, 0, -1, s0
	v_cmp_ne_u16_sdwa s0, v23, v8 src0_sel:BYTE_3 src1_sel:DWORD
	v_and_b32_e32 v34, 0x80402010, v14
	v_bfe_i32 v45, v13, 0, 1
	v_lshrrev_b16 v43, 4, v30
	v_lshrrev_b32_e32 v32, 18, v14
	v_cndmask_b32_e64 v23, 0, -1, s0
	v_cmp_ne_u16_sdwa s0, v26, v8 src0_sel:BYTE_1 src1_sel:DWORD
	v_bfe_i32 v33, v14, 0, 1
	v_lshrrev_b32_e32 v14, 22, v14
	v_and_b32_e32 v35, 0x8040201, v22
	v_and_b32_e32 v38, 0x80402010, v22
	v_cndmask_b32_e64 v41, 0, -1, s0
	v_cmp_ne_u16_sdwa s0, v26, v8 src0_sel:BYTE_3 src1_sel:DWORD
	v_bfe_i32 v48, v14, 0, 1
	v_lshrrev_b16 v46, 4, v34
	v_lshrrev_b32_e32 v24, 18, v4
	v_bfe_i32 v25, v4, 0, 1
	v_cndmask_b32_e64 v26, 0, -1, s0
	v_cmp_ne_u16_sdwa s0, v27, v8 src0_sel:BYTE_1 src1_sel:DWORD
	v_lshrrev_b32_e32 v4, 22, v4
	v_bfe_i32 v24, v24, 0, 1
	v_lshlrev_b16 v39, 8, v39
	v_lshlrev_b16 v23, 8, v23
	v_cndmask_b32_e64 v42, 0, -1, s0
	v_cmp_ne_u16_sdwa s0, v27, v8 src0_sel:BYTE_3 src1_sel:DWORD
	v_bfe_i32 v4, v4, 0, 1
	v_bfe_i32 v40, v40, 0, 1
	v_lshlrev_b16 v41, 8, v41
	v_lshlrev_b16 v26, 8, v26
	v_cndmask_b32_e64 v27, 0, -1, s0
	v_cmp_ne_u16_sdwa s0, v30, v8 src0_sel:BYTE_1 src1_sel:DWORD
	v_lshrrev_b32_e32 v36, 18, v22
	v_bfe_i32 v37, v22, 0, 1
	v_lshrrev_b32_e32 v22, 22, v22
	v_bfe_i32 v28, v28, 0, 1
	v_cndmask_b32_e64 v44, 0, -1, s0
	v_cmp_ne_u16_sdwa s0, v30, v8 src0_sel:BYTE_3 src1_sel:DWORD
	v_bfe_i32 v32, v32, 0, 1
	v_lshrrev_b16 v49, 4, v38
	v_lshlrev_b16 v42, 8, v42
	v_lshlrev_b16 v27, 8, v27
	v_cndmask_b32_e64 v13, 0, -1, s0
	v_cmp_ne_u16_sdwa s0, v31, v8 src0_sel:BYTE_1 src1_sel:DWORD
	v_bfe_i32 v43, v43, 0, 1
	v_lshlrev_b16 v44, 8, v44
	v_bfe_i32 v46, v46, 0, 1
	v_lshlrev_b16 v51, 8, v13
	v_cndmask_b32_e64 v30, 0, -1, s0
	v_cmp_ne_u16_sdwa s0, v31, v8 src0_sel:BYTE_3 src1_sel:DWORD
	v_or_b32_sdwa v13, v25, v39 dst_sel:DWORD dst_unused:UNUSED_PAD src0_sel:BYTE_0 src1_sel:DWORD
	v_or_b32_sdwa v53, v40, v41 dst_sel:DWORD dst_unused:UNUSED_PAD src0_sel:BYTE_0 src1_sel:DWORD
	v_or_b32_sdwa v54, v4, v26 dst_sel:WORD_1 dst_unused:UNUSED_PAD src0_sel:BYTE_0 src1_sel:DWORD
	v_lshlrev_b16 v30, 8, v30
	v_cndmask_b32_e64 v31, 0, -1, s0
	v_cmp_ne_u16_sdwa s0, v34, v8 src0_sel:BYTE_1 src1_sel:DWORD
	v_bfe_i32 v36, v36, 0, 1
	v_bfe_i32 v22, v22, 0, 1
	;; [unrolled: 1-line block ×3, first 2 shown]
	v_lshlrev_b16 v31, 8, v31
	v_cndmask_b32_e64 v47, 0, -1, s0
	v_cmp_ne_u16_sdwa s0, v34, v8 src0_sel:BYTE_3 src1_sel:DWORD
	v_or_b32_sdwa v55, v29, v42 dst_sel:DWORD dst_unused:UNUSED_PAD src0_sel:BYTE_0 src1_sel:DWORD
	v_or_b32_sdwa v56, v28, v27 dst_sel:WORD_1 dst_unused:UNUSED_PAD src0_sel:BYTE_0 src1_sel:DWORD
	v_or_b32_sdwa v57, v43, v44 dst_sel:DWORD dst_unused:UNUSED_PAD src0_sel:BYTE_0 src1_sel:DWORD
	v_lshlrev_b16 v47, 8, v47
	v_cndmask_b32_e64 v14, 0, -1, s0
	v_cmp_ne_u16_sdwa s0, v35, v8 src0_sel:BYTE_1 src1_sel:DWORD
	v_or_b32_sdwa v58, v45, v51 dst_sel:WORD_1 dst_unused:UNUSED_PAD src0_sel:BYTE_0 src1_sel:DWORD
	v_or_b32_sdwa v59, v33, v30 dst_sel:DWORD dst_unused:UNUSED_PAD src0_sel:BYTE_0 src1_sel:DWORD
	v_or_b32_sdwa v60, v32, v31 dst_sel:WORD_1 dst_unused:UNUSED_PAD src0_sel:BYTE_0 src1_sel:DWORD
	v_lshlrev_b16 v52, 8, v14
	v_cndmask_b32_e64 v34, 0, -1, s0
	v_cmp_ne_u16_sdwa s0, v35, v8 src0_sel:BYTE_3 src1_sel:DWORD
	v_or_b32_sdwa v14, v24, v23 dst_sel:WORD_1 dst_unused:UNUSED_PAD src0_sel:BYTE_0 src1_sel:DWORD
	v_or_b32_sdwa v53, v53, v54 dst_sel:DWORD dst_unused:UNUSED_PAD src0_sel:WORD_0 src1_sel:DWORD
	v_or_b32_sdwa v54, v48, v52 dst_sel:WORD_1 dst_unused:UNUSED_PAD src0_sel:BYTE_0 src1_sel:DWORD
	v_lshlrev_b16 v34, 8, v34
	v_cndmask_b32_e64 v35, 0, -1, s0
	v_cmp_ne_u16_sdwa s0, v38, v8 src0_sel:BYTE_1 src1_sel:DWORD
	v_or_b32_sdwa v13, v13, v14 dst_sel:DWORD dst_unused:UNUSED_PAD src0_sel:WORD_0 src1_sel:DWORD
	v_or_b32_sdwa v14, v46, v47 dst_sel:DWORD dst_unused:UNUSED_PAD src0_sel:BYTE_0 src1_sel:DWORD
	v_or_b32_sdwa v55, v55, v56 dst_sel:DWORD dst_unused:UNUSED_PAD src0_sel:WORD_0 src1_sel:DWORD
	v_lshlrev_b16 v35, 8, v35
	v_cndmask_b32_e64 v50, 0, -1, s0
	v_cmp_ne_u16_sdwa s0, v38, v8 src0_sel:BYTE_3 src1_sel:DWORD
	v_or_b32_sdwa v56, v37, v34 dst_sel:DWORD dst_unused:UNUSED_PAD src0_sel:BYTE_0 src1_sel:DWORD
	v_or_b32_sdwa v57, v57, v58 dst_sel:DWORD dst_unused:UNUSED_PAD src0_sel:WORD_0 src1_sel:DWORD
	v_or_b32_sdwa v58, v36, v35 dst_sel:WORD_1 dst_unused:UNUSED_PAD src0_sel:BYTE_0 src1_sel:DWORD
	v_lshlrev_b16 v50, 8, v50
	v_cndmask_b32_e64 v38, 0, -1, s0
	v_or_b32_sdwa v59, v59, v60 dst_sel:DWORD dst_unused:UNUSED_PAD src0_sel:WORD_0 src1_sel:DWORD
	v_or_b32_sdwa v54, v14, v54 dst_sel:DWORD dst_unused:UNUSED_PAD src0_sel:WORD_0 src1_sel:DWORD
	;; [unrolled: 1-line block ×3, first 2 shown]
	v_or_b32_sdwa v60, v49, v50 dst_sel:DWORD dst_unused:UNUSED_PAD src0_sel:BYTE_0 src1_sel:DWORD
	v_lshlrev_b16 v38, 8, v38
	v_lshlrev_b16 v25, 8, v25
	;; [unrolled: 1-line block ×5, first 2 shown]
	v_or_b32_sdwa v14, v22, v38 dst_sel:WORD_1 dst_unused:UNUSED_PAD src0_sel:BYTE_0 src1_sel:DWORD
	v_lshlrev_b16 v33, 8, v33
	v_lshlrev_b16 v46, 8, v46
	;; [unrolled: 1-line block ×4, first 2 shown]
	v_or_b32_sdwa v58, v60, v14 dst_sel:DWORD dst_unused:UNUSED_PAD src0_sel:WORD_0 src1_sel:DWORD
	v_lshlrev_b16 v4, 8, v4
	v_lshlrev_b16 v49, 8, v49
	;; [unrolled: 1-line block ×8, first 2 shown]
	v_cmp_le_u32_e64 s0, s9, v6
	s_or_b32 s3, s0, s3
	s_waitcnt vmcnt(3)
	v_xor_b32_e32 v60, v11, v13
	v_xor_b32_e32 v53, v12, v53
	global_load_dwordx4 v[11:14], v[2:3], off offset:-32
	s_waitcnt vmcnt(3)
	v_xor_b32_e32 v55, v15, v55
	v_xor_b32_e32 v57, v16, v57
	s_waitcnt vmcnt(2)
	v_xor_b32_e32 v59, v17, v59
	v_xor_b32_e32 v54, v18, v54
	global_load_dwordx4 v[15:18], v[2:3], off offset:-16
	s_waitcnt vmcnt(2)
	v_xor_b32_e32 v19, v19, v56
	global_load_dword v56, v[2:3], off
	v_xor_b32_e32 v20, v20, v58
	v_and_b32_e32 v58, 0xffffff00, v60
	v_add_co_u32 v2, vcc_lo, 0x480, v2
	v_add_co_ci_u32_e64 v3, null, 0, v3, vcc_lo
	v_sub_nc_i16 v39, v58, v39 clamp
	v_lshlrev_b16 v58, 8, v60
	v_lshrrev_b32_e32 v60, 16, v60
	v_sub_nc_i16 v25, v58, v25 clamp
	v_and_b32_e32 v58, 0xffffff00, v53
	v_perm_b32 v25, v25, v39, 0xc0c0105
	v_sub_nc_i16 v41, v58, v41 clamp
	v_lshlrev_b16 v58, 8, v53
	v_lshrrev_b32_e32 v53, 16, v53
	v_and_b32_e32 v39, 0xffffff00, v60
	v_lshlrev_b16 v60, 8, v60
	v_sub_nc_i16 v40, v58, v40 clamp
	v_and_b32_e32 v58, 0xffffff00, v55
	v_sub_nc_i16 v23, v39, v23 clamp
	v_and_b32_e32 v39, 0xffffff00, v53
	v_lshlrev_b16 v53, 8, v53
	v_sub_nc_i16 v24, v60, v24 clamp
	v_sub_nc_i16 v42, v58, v42 clamp
	v_lshlrev_b16 v58, 8, v55
	v_lshrrev_b32_e32 v55, 16, v55
	v_sub_nc_i16 v26, v39, v26 clamp
	v_sub_nc_i16 v4, v53, v4 clamp
	v_perm_b32 v23, v24, v23, 0xc0c0105
	v_sub_nc_i16 v29, v58, v29 clamp
	v_and_b32_e32 v58, 0xffffff00, v57
	v_and_b32_e32 v60, 0xffffff00, v55
	v_lshlrev_b16 v55, 8, v55
	v_perm_b32 v40, v40, v41, 0xc0c0105
	v_perm_b32 v4, v4, v26, 0xc0c0105
	v_sub_nc_i16 v44, v58, v44 clamp
	v_lshlrev_b16 v58, 8, v57
	v_lshrrev_b32_e32 v57, 16, v57
	v_sub_nc_i16 v27, v60, v27 clamp
	v_sub_nc_i16 v28, v55, v28 clamp
	v_lshl_or_b32 v23, v23, 16, v25
	v_sub_nc_i16 v43, v58, v43 clamp
	v_and_b32_e32 v58, 0xffffff00, v59
	v_and_b32_e32 v41, 0xffffff00, v57
	v_lshlrev_b16 v57, 8, v57
	v_perm_b32 v29, v29, v42, 0xc0c0105
	v_perm_b32 v43, v43, v44, 0xc0c0105
	v_sub_nc_i16 v30, v58, v30 clamp
	v_lshlrev_b16 v58, 8, v59
	v_lshrrev_b32_e32 v59, 16, v59
	v_sub_nc_i16 v41, v41, v51 clamp
	v_sub_nc_i16 v44, v57, v45 clamp
	v_perm_b32 v26, v28, v27, 0xc0c0105
	v_sub_nc_i16 v33, v58, v33 clamp
	v_and_b32_e32 v58, 0xffffff00, v54
	v_and_b32_e32 v39, 0xffffff00, v59
	v_lshlrev_b16 v59, 8, v59
	v_lshl_or_b32 v4, v4, 16, v40
	v_lshl_or_b32 v26, v26, 16, v29
	v_sub_nc_i16 v47, v58, v47 clamp
	v_lshlrev_b16 v58, 8, v54
	v_lshrrev_b32_e32 v54, 16, v54
	v_sub_nc_i16 v31, v39, v31 clamp
	v_sub_nc_i16 v32, v59, v32 clamp
	v_perm_b32 v30, v33, v30, 0xc0c0105
	v_sub_nc_i16 v46, v58, v46 clamp
	v_and_b32_e32 v58, 0xffffff00, v19
	v_and_b32_e32 v53, 0xffffff00, v54
	v_lshlrev_b16 v54, 8, v54
	v_perm_b32 v33, v46, v47, 0xc0c0105
	v_sub_nc_i16 v34, v58, v34 clamp
	v_lshlrev_b16 v58, 8, v19
	v_lshrrev_b32_e32 v19, 16, v19
	v_sub_nc_i16 v24, v53, v52 clamp
	v_sub_nc_i16 v39, v54, v48 clamp
	;; [unrolled: 1-line block ×3, first 2 shown]
	v_and_b32_e32 v58, 0xffffff00, v20
	v_and_b32_e32 v42, 0xffffff00, v19
	v_lshlrev_b16 v19, 8, v19
	v_perm_b32 v25, v37, v34, 0xc0c0105
	v_sub_nc_i16 v50, v58, v50 clamp
	v_lshlrev_b16 v58, 8, v20
	v_lshrrev_b32_e32 v20, 16, v20
	v_sub_nc_i16 v49, v58, v49 clamp
	v_mov_b32_e32 v58, 0
	v_and_b32_e32 v60, 0xffffff00, v20
	v_lshlrev_b16 v20, 8, v20
	s_waitcnt vmcnt(2)
	v_dot4c_i32_i8 v58, v23, v12
	v_perm_b32 v23, v44, v41, 0xc0c0105
	v_sub_nc_i16 v12, v42, v35 clamp
	v_dot4c_i32_i8 v58, v4, v13
	v_sub_nc_i16 v4, v19, v36 clamp
	v_perm_b32 v13, v32, v31, 0xc0c0105
	v_lshl_or_b32 v19, v23, 16, v43
	v_perm_b32 v23, v39, v24, 0xc0c0105
	v_dot4c_i32_i8 v58, v26, v14
	v_sub_nc_i16 v14, v60, v38 clamp
	v_lshl_or_b32 v13, v13, 16, v30
	v_perm_b32 v4, v4, v12, 0xc0c0105
	v_lshl_or_b32 v12, v23, 16, v33
	s_waitcnt vmcnt(1)
	v_dot4c_i32_i8 v58, v19, v15
	v_sub_nc_i16 v15, v20, v22 clamp
	v_lshl_or_b32 v4, v4, 16, v25
	v_dot4c_i32_i8 v58, v13, v16
	v_perm_b32 v13, v49, v50, 0xc0c0105
	v_perm_b32 v14, v15, v14, 0xc0c0105
	v_dot4c_i32_i8 v58, v12, v17
	v_lshl_or_b32 v12, v14, 16, v13
	v_dot4c_i32_i8 v58, v4, v18
	v_or_b32_e32 v4, 1, v5
	s_waitcnt vmcnt(0)
	v_dot4c_i32_i8 v58, v12, v56
	v_mul_lo_u32 v4, v58, v4
	v_ashrrev_i32_e32 v5, 31, v4
	v_lshrrev_b32_e32 v5, 29, v5
	v_add_nc_u32_e32 v4, v4, v5
	v_cvt_f32_f16_e32 v5, v11
	v_cvt_f32_f16_e32 v11, v21
	v_ashrrev_i32_e32 v4, 3, v4
	v_mul_f32_e32 v5, v11, v5
	v_cvt_f32_i32_e32 v4, v4
	v_fmac_f32_e32 v7, v5, v4
	s_andn2_b32 exec_lo, exec_lo, s3
	s_cbranch_execnz .LBB160_9
; %bb.10:
	s_or_b32 exec_lo, exec_lo, s3
.LBB160_11:
	s_or_b32 exec_lo, exec_lo, s7
	s_waitcnt lgkmcnt(0)
	; wave barrier
	buffer_gl0_inv
	s_mov_b32 s0, exec_lo
	v_cmpx_eq_u32_e32 0, v1
	s_cbranch_execz .LBB160_14
; %bb.12:
	v_mbcnt_lo_u32_b32 v1, -1, 0
	v_xor_b32_e32 v2, 16, v1
	v_xor_b32_e32 v3, 8, v1
	;; [unrolled: 1-line block ×3, first 2 shown]
	v_cmp_gt_i32_e32 vcc_lo, 32, v2
	v_cndmask_b32_e32 v2, v1, v2, vcc_lo
	v_cmp_gt_i32_e32 vcc_lo, 32, v3
	v_lshlrev_b32_e32 v2, 2, v2
	v_cndmask_b32_e32 v3, v1, v3, vcc_lo
	v_cmp_gt_i32_e32 vcc_lo, 32, v4
	ds_bpermute_b32 v2, v2, v7
	v_lshlrev_b32_e32 v3, 2, v3
	v_cndmask_b32_e32 v4, v1, v4, vcc_lo
	v_lshlrev_b32_e32 v4, 2, v4
	s_waitcnt lgkmcnt(0)
	v_add_f32_e32 v2, v7, v2
	ds_bpermute_b32 v3, v3, v2
	s_waitcnt lgkmcnt(0)
	v_add_f32_e32 v2, v2, v3
	ds_bpermute_b32 v3, v4, v2
	v_xor_b32_e32 v4, 2, v1
	v_cmp_gt_i32_e32 vcc_lo, 32, v4
	v_cndmask_b32_e32 v4, v1, v4, vcc_lo
	v_lshlrev_b32_e32 v4, 2, v4
	s_waitcnt lgkmcnt(0)
	v_add_f32_e32 v2, v2, v3
	ds_bpermute_b32 v3, v4, v2
	v_xor_b32_e32 v4, 1, v1
	v_cmp_gt_i32_e32 vcc_lo, 32, v4
	v_cndmask_b32_e32 v1, v1, v4, vcc_lo
	v_cmp_eq_u32_e32 vcc_lo, 0, v0
	v_lshlrev_b32_e32 v4, 2, v1
	s_waitcnt lgkmcnt(0)
	v_add_f32_e32 v1, v2, v3
	ds_bpermute_b32 v2, v4, v1
	s_and_b32 exec_lo, exec_lo, vcc_lo
	s_cbranch_execz .LBB160_14
; %bb.13:
	s_load_dwordx2 s[0:1], s[4:5], 0x38
	s_mul_i32 s2, s2, s10
	s_mul_i32 s3, s14, s8
	s_add_i32 s2, s2, s6
	s_waitcnt lgkmcnt(0)
	v_add_f32_e32 v0, v1, v2
	s_add_i32 s2, s2, s3
	s_mov_b32 s3, 0
	v_mov_b32_e32 v1, 0
	s_lshl_b64 s[2:3], s[2:3], 2
	s_add_u32 s0, s0, s2
	s_addc_u32 s1, s1, s3
	global_store_dword v1, v0, s[0:1]
.LBB160_14:
	s_endpgm
	.section	.rodata,"a",@progbits
	.p2align	6, 0x0
	.amdhsa_kernel _ZL13mul_mat_vec_qIL9ggml_type16ELi1ELb0ELb0EEvPKvS2_PKi31ggml_cuda_mm_fusion_args_devicePfj15HIP_vector_typeIjLj3EEjjjS8_jjjS8_jjjj
		.amdhsa_group_segment_fixed_size 0
		.amdhsa_private_segment_fixed_size 0
		.amdhsa_kernarg_size 144
		.amdhsa_user_sgpr_count 6
		.amdhsa_user_sgpr_private_segment_buffer 1
		.amdhsa_user_sgpr_dispatch_ptr 0
		.amdhsa_user_sgpr_queue_ptr 0
		.amdhsa_user_sgpr_kernarg_segment_ptr 1
		.amdhsa_user_sgpr_dispatch_id 0
		.amdhsa_user_sgpr_flat_scratch_init 0
		.amdhsa_user_sgpr_private_segment_size 0
		.amdhsa_wavefront_size32 1
		.amdhsa_uses_dynamic_stack 0
		.amdhsa_system_sgpr_private_segment_wavefront_offset 0
		.amdhsa_system_sgpr_workgroup_id_x 1
		.amdhsa_system_sgpr_workgroup_id_y 1
		.amdhsa_system_sgpr_workgroup_id_z 1
		.amdhsa_system_sgpr_workgroup_info 0
		.amdhsa_system_vgpr_workitem_id 1
		.amdhsa_next_free_vgpr 61
		.amdhsa_next_free_sgpr 22
		.amdhsa_reserve_vcc 1
		.amdhsa_reserve_flat_scratch 0
		.amdhsa_float_round_mode_32 0
		.amdhsa_float_round_mode_16_64 0
		.amdhsa_float_denorm_mode_32 3
		.amdhsa_float_denorm_mode_16_64 3
		.amdhsa_dx10_clamp 1
		.amdhsa_ieee_mode 1
		.amdhsa_fp16_overflow 0
		.amdhsa_workgroup_processor_mode 1
		.amdhsa_memory_ordered 1
		.amdhsa_forward_progress 1
		.amdhsa_shared_vgpr_count 0
		.amdhsa_exception_fp_ieee_invalid_op 0
		.amdhsa_exception_fp_denorm_src 0
		.amdhsa_exception_fp_ieee_div_zero 0
		.amdhsa_exception_fp_ieee_overflow 0
		.amdhsa_exception_fp_ieee_underflow 0
		.amdhsa_exception_fp_ieee_inexact 0
		.amdhsa_exception_int_div_zero 0
	.end_amdhsa_kernel
	.section	.text._ZL13mul_mat_vec_qIL9ggml_type16ELi1ELb0ELb0EEvPKvS2_PKi31ggml_cuda_mm_fusion_args_devicePfj15HIP_vector_typeIjLj3EEjjjS8_jjjS8_jjjj,"axG",@progbits,_ZL13mul_mat_vec_qIL9ggml_type16ELi1ELb0ELb0EEvPKvS2_PKi31ggml_cuda_mm_fusion_args_devicePfj15HIP_vector_typeIjLj3EEjjjS8_jjjS8_jjjj,comdat
.Lfunc_end160:
	.size	_ZL13mul_mat_vec_qIL9ggml_type16ELi1ELb0ELb0EEvPKvS2_PKi31ggml_cuda_mm_fusion_args_devicePfj15HIP_vector_typeIjLj3EEjjjS8_jjjS8_jjjj, .Lfunc_end160-_ZL13mul_mat_vec_qIL9ggml_type16ELi1ELb0ELb0EEvPKvS2_PKi31ggml_cuda_mm_fusion_args_devicePfj15HIP_vector_typeIjLj3EEjjjS8_jjjS8_jjjj
                                        ; -- End function
	.set _ZL13mul_mat_vec_qIL9ggml_type16ELi1ELb0ELb0EEvPKvS2_PKi31ggml_cuda_mm_fusion_args_devicePfj15HIP_vector_typeIjLj3EEjjjS8_jjjS8_jjjj.num_vgpr, 61
	.set _ZL13mul_mat_vec_qIL9ggml_type16ELi1ELb0ELb0EEvPKvS2_PKi31ggml_cuda_mm_fusion_args_devicePfj15HIP_vector_typeIjLj3EEjjjS8_jjjS8_jjjj.num_agpr, 0
	.set _ZL13mul_mat_vec_qIL9ggml_type16ELi1ELb0ELb0EEvPKvS2_PKi31ggml_cuda_mm_fusion_args_devicePfj15HIP_vector_typeIjLj3EEjjjS8_jjjS8_jjjj.numbered_sgpr, 22
	.set _ZL13mul_mat_vec_qIL9ggml_type16ELi1ELb0ELb0EEvPKvS2_PKi31ggml_cuda_mm_fusion_args_devicePfj15HIP_vector_typeIjLj3EEjjjS8_jjjS8_jjjj.num_named_barrier, 0
	.set _ZL13mul_mat_vec_qIL9ggml_type16ELi1ELb0ELb0EEvPKvS2_PKi31ggml_cuda_mm_fusion_args_devicePfj15HIP_vector_typeIjLj3EEjjjS8_jjjS8_jjjj.private_seg_size, 0
	.set _ZL13mul_mat_vec_qIL9ggml_type16ELi1ELb0ELb0EEvPKvS2_PKi31ggml_cuda_mm_fusion_args_devicePfj15HIP_vector_typeIjLj3EEjjjS8_jjjS8_jjjj.uses_vcc, 1
	.set _ZL13mul_mat_vec_qIL9ggml_type16ELi1ELb0ELb0EEvPKvS2_PKi31ggml_cuda_mm_fusion_args_devicePfj15HIP_vector_typeIjLj3EEjjjS8_jjjS8_jjjj.uses_flat_scratch, 0
	.set _ZL13mul_mat_vec_qIL9ggml_type16ELi1ELb0ELb0EEvPKvS2_PKi31ggml_cuda_mm_fusion_args_devicePfj15HIP_vector_typeIjLj3EEjjjS8_jjjS8_jjjj.has_dyn_sized_stack, 0
	.set _ZL13mul_mat_vec_qIL9ggml_type16ELi1ELb0ELb0EEvPKvS2_PKi31ggml_cuda_mm_fusion_args_devicePfj15HIP_vector_typeIjLj3EEjjjS8_jjjS8_jjjj.has_recursion, 0
	.set _ZL13mul_mat_vec_qIL9ggml_type16ELi1ELb0ELb0EEvPKvS2_PKi31ggml_cuda_mm_fusion_args_devicePfj15HIP_vector_typeIjLj3EEjjjS8_jjjS8_jjjj.has_indirect_call, 0
	.section	.AMDGPU.csdata,"",@progbits
; Kernel info:
; codeLenInByte = 2940
; TotalNumSgprs: 24
; NumVgprs: 61
; ScratchSize: 0
; MemoryBound: 0
; FloatMode: 240
; IeeeMode: 1
; LDSByteSize: 0 bytes/workgroup (compile time only)
; SGPRBlocks: 0
; VGPRBlocks: 7
; NumSGPRsForWavesPerEU: 24
; NumVGPRsForWavesPerEU: 61
; Occupancy: 16
; WaveLimiterHint : 0
; COMPUTE_PGM_RSRC2:SCRATCH_EN: 0
; COMPUTE_PGM_RSRC2:USER_SGPR: 6
; COMPUTE_PGM_RSRC2:TRAP_HANDLER: 0
; COMPUTE_PGM_RSRC2:TGID_X_EN: 1
; COMPUTE_PGM_RSRC2:TGID_Y_EN: 1
; COMPUTE_PGM_RSRC2:TGID_Z_EN: 1
; COMPUTE_PGM_RSRC2:TIDIG_COMP_CNT: 1
	.section	.text._ZL13mul_mat_vec_qIL9ggml_type16ELi2ELb0ELb0EEvPKvS2_PKi31ggml_cuda_mm_fusion_args_devicePfj15HIP_vector_typeIjLj3EEjjjS8_jjjS8_jjjj,"axG",@progbits,_ZL13mul_mat_vec_qIL9ggml_type16ELi2ELb0ELb0EEvPKvS2_PKi31ggml_cuda_mm_fusion_args_devicePfj15HIP_vector_typeIjLj3EEjjjS8_jjjS8_jjjj,comdat
	.globl	_ZL13mul_mat_vec_qIL9ggml_type16ELi2ELb0ELb0EEvPKvS2_PKi31ggml_cuda_mm_fusion_args_devicePfj15HIP_vector_typeIjLj3EEjjjS8_jjjS8_jjjj ; -- Begin function _ZL13mul_mat_vec_qIL9ggml_type16ELi2ELb0ELb0EEvPKvS2_PKi31ggml_cuda_mm_fusion_args_devicePfj15HIP_vector_typeIjLj3EEjjjS8_jjjS8_jjjj
	.p2align	8
	.type	_ZL13mul_mat_vec_qIL9ggml_type16ELi2ELb0ELb0EEvPKvS2_PKi31ggml_cuda_mm_fusion_args_devicePfj15HIP_vector_typeIjLj3EEjjjS8_jjjS8_jjjj,@function
_ZL13mul_mat_vec_qIL9ggml_type16ELi2ELb0ELb0EEvPKvS2_PKi31ggml_cuda_mm_fusion_args_devicePfj15HIP_vector_typeIjLj3EEjjjS8_jjjS8_jjjj: ; @_ZL13mul_mat_vec_qIL9ggml_type16ELi2ELb0ELb0EEvPKvS2_PKi31ggml_cuda_mm_fusion_args_devicePfj15HIP_vector_typeIjLj3EEjjjS8_jjjS8_jjjj
; %bb.0:
	s_clause 0x5
	s_load_dword s9, s[4:5], 0x40
	s_load_dwordx4 s[0:3], s[4:5], 0x50
	s_load_dword s24, s[4:5], 0x60
	s_load_dwordx4 s[12:15], s[4:5], 0x68
	s_load_dword s11, s[4:5], 0x78
	s_load_dwordx4 s[16:19], s[4:5], 0x80
	v_lshl_or_b32 v2, v1, 5, v0
	v_mov_b32_e32 v8, 0
	v_mov_b32_e32 v10, 0
	v_lshrrev_b32_e32 v9, 3, v2
	s_waitcnt lgkmcnt(0)
	s_lshr_b32 s10, s9, 8
	s_mov_b32 s9, exec_lo
	v_cmpx_gt_u32_e64 s10, v9
	s_cbranch_execz .LBB161_4
; %bb.1:
	s_mul_hi_u32 s3, s3, s7
	s_mul_i32 s13, s13, s7
	s_add_i32 s3, s7, s3
	s_mul_hi_u32 s25, s13, 36
	s_lshr_b32 s3, s3, s24
	s_mul_i32 s24, s13, 36
	s_load_dwordx4 s[20:23], s[4:5], 0x0
	v_mad_u64_u32 v[2:3], null, 0x120, v9, s[24:25]
	s_mul_i32 s3, s3, s12
	s_mul_i32 s12, s17, s8
	v_lshlrev_b32_e32 v4, 1, v0
	v_and_b32_e32 v6, 7, v0
	s_mul_hi_u32 s15, s15, s8
	s_mul_hi_u32 s13, s12, 36
	v_mad_u64_u32 v[2:3], null, s12, 36, v[2:3]
	v_and_b32_e32 v7, 14, v4
	s_add_i32 s15, s8, s15
	s_mul_i32 s0, s0, s6
	s_lshr_b32 s11, s15, s11
	s_mul_i32 s15, s12, 36
	v_lshlrev_b32_e32 v7, 1, v7
	v_mad_u64_u32 v[4:5], null, v6, 36, v[2:3]
	v_mov_b32_e32 v11, 0
	s_waitcnt lgkmcnt(0)
	s_add_u32 s12, s22, s15
	s_addc_u32 s13, s23, s13
	s_add_u32 s12, s12, s24
	s_addc_u32 s13, s13, s25
	v_lshl_add_u32 v12, v9, 3, s1
	v_add_co_u32 v4, vcc_lo, s22, v4
	v_add_co_ci_u32_e64 v5, null, s23, v5, vcc_lo
	v_mad_u64_u32 v[2:3], null, v6, 36, s[12:13]
	v_add_co_u32 v4, vcc_lo, v4, 32
	v_add_co_ci_u32_e64 v5, null, 0, v5, vcc_lo
	v_lshlrev_b32_e32 v13, 1, v7
	v_mov_b32_e32 v14, 3
	v_mov_b32_e32 v8, 0
	;; [unrolled: 1-line block ×3, first 2 shown]
	s_mul_i32 s11, s11, s16
	s_add_i32 s3, s3, s0
	s_add_i32 s11, s11, s3
	s_mov_b32 s3, 0
.LBB161_2:                              ; =>This Inner Loop Header: Depth=1
	v_add_nc_u32_e32 v6, s11, v9
	s_getpc_b64 s[0:1]
	s_add_u32 s0, s0, _ZL11iq2xxs_grid@rel32@lo+4
	s_addc_u32 s1, s1, _ZL11iq2xxs_grid@rel32@hi+12
	v_add_nc_u32_e32 v9, 4, v9
	v_mad_i64_i32 v[15:16], null, 0x42, v6, s[20:21]
	v_add_co_u32 v6, vcc_lo, v15, v13
	v_add_co_ci_u32_e64 v7, null, 0, v16, vcc_lo
	s_clause 0x1
	global_load_dwordx2 v[6:7], v[6:7], off offset:2
	global_load_ushort v31, v[15:16], off
	s_waitcnt vmcnt(1)
	v_lshlrev_b32_sdwa v15, v14, v6 dst_sel:DWORD dst_unused:UNUSED_PAD src0_sel:DWORD src1_sel:BYTE_0
	v_lshlrev_b32_sdwa v17, v14, v6 dst_sel:DWORD dst_unused:UNUSED_PAD src0_sel:DWORD src1_sel:BYTE_1
	v_lshlrev_b32_sdwa v19, v14, v6 dst_sel:DWORD dst_unused:UNUSED_PAD src0_sel:DWORD src1_sel:BYTE_2
	v_lshlrev_b32_sdwa v6, v14, v6 dst_sel:DWORD dst_unused:UNUSED_PAD src0_sel:DWORD src1_sel:BYTE_3
	v_and_b32_e32 v23, 0xff, v7
	s_clause 0x3
	global_load_dwordx2 v[15:16], v15, s[0:1]
	global_load_dwordx2 v[17:18], v17, s[0:1]
	;; [unrolled: 1-line block ×4, first 2 shown]
	v_bfe_u32 v24, v7, 7, 8
	v_bfe_u32 v25, v7, 14, 8
	;; [unrolled: 1-line block ×3, first 2 shown]
	v_bcnt_u32_b32 v6, v23, 0
	v_lshrrev_b32_e32 v7, 27, v7
	v_bcnt_u32_b32 v27, v24, 0
	v_bcnt_u32_b32 v28, v25, 0
	;; [unrolled: 1-line block ×3, first 2 shown]
	v_and_b32_e32 v6, 1, v6
	v_or_b32_e32 v7, 1, v7
	v_and_b32_e32 v27, 1, v27
	v_and_b32_e32 v28, 1, v28
	;; [unrolled: 1-line block ×3, first 2 shown]
	v_lshlrev_b32_e32 v6, 7, v6
	v_lshlrev_b32_e32 v27, 7, v27
	;; [unrolled: 1-line block ×4, first 2 shown]
	v_xor_b32_e32 v6, v6, v23
	v_xor_b32_e32 v23, v27, v24
	v_xor_b32_e32 v24, v28, v25
	v_xor_b32_e32 v25, v29, v26
	v_mul_lo_u32 v6, 0x1010101, v6
	v_mul_lo_u32 v23, 0x1010101, v23
	;; [unrolled: 1-line block ×4, first 2 shown]
	v_and_b32_e32 v26, 0x8040201, v6
	v_and_b32_e32 v29, 0x80402010, v6
	;; [unrolled: 1-line block ×5, first 2 shown]
	v_cmp_ne_u16_sdwa s0, v26, v11 src0_sel:BYTE_1 src1_sel:DWORD
	v_lshrrev_b16 v44, 4, v29
	v_and_b32_e32 v38, 0x80402010, v24
	v_lshrrev_b16 v47, 4, v34
	v_lshrrev_b32_e32 v36, 18, v24
	v_cndmask_b32_e64 v43, 0, -1, s0
	v_cmp_ne_u16_sdwa s0, v26, v11 src0_sel:BYTE_3 src1_sel:DWORD
	v_bfe_i32 v37, v24, 0, 1
	v_lshrrev_b32_e32 v24, 22, v24
	v_and_b32_e32 v39, 0x8040201, v25
	v_and_b32_e32 v42, 0x80402010, v25
	v_cndmask_b32_e64 v26, 0, -1, s0
	v_cmp_ne_u16_sdwa s0, v29, v11 src0_sel:BYTE_1 src1_sel:DWORD
	v_bfe_i32 v52, v24, 0, 1
	v_lshrrev_b16 v50, 4, v38
	v_lshrrev_b32_e32 v27, 18, v6
	v_bfe_i32 v28, v6, 0, 1
	v_cndmask_b32_e64 v45, 0, -1, s0
	v_cmp_ne_u16_sdwa s0, v29, v11 src0_sel:BYTE_3 src1_sel:DWORD
	v_lshrrev_b32_e32 v6, 22, v6
	v_lshrrev_b32_e32 v40, 18, v25
	v_bfe_i32 v41, v25, 0, 1
	v_lshrrev_b32_e32 v25, 22, v25
	v_cndmask_b32_e64 v29, 0, -1, s0
	v_cmp_ne_u16_sdwa s0, v30, v11 src0_sel:BYTE_1 src1_sel:DWORD
	v_lshrrev_b32_e32 v32, 18, v23
	v_bfe_i32 v33, v23, 0, 1
	v_lshrrev_b32_e32 v23, 22, v23
	v_bfe_i32 v27, v27, 0, 1
	v_cndmask_b32_e64 v46, 0, -1, s0
	v_cmp_ne_u16_sdwa s0, v30, v11 src0_sel:BYTE_3 src1_sel:DWORD
	v_bfe_i32 v6, v6, 0, 1
	v_lshrrev_b16 v53, 4, v42
	v_bfe_i32 v55, v25, 0, 1
	v_lshlrev_b16 v26, 8, v26
	v_cndmask_b32_e64 v30, 0, -1, s0
	v_cmp_ne_u16_sdwa s0, v34, v11 src0_sel:BYTE_1 src1_sel:DWORD
	v_lshlrev_b16 v29, 8, v29
	v_bfe_i32 v32, v32, 0, 1
	v_bfe_i32 v23, v23, 0, 1
	v_lshlrev_b16 v30, 8, v30
	v_cndmask_b32_e64 v48, 0, -1, s0
	v_cmp_ne_u16_sdwa s0, v34, v11 src0_sel:BYTE_3 src1_sel:DWORD
	v_or_b32_sdwa v56, v27, v26 dst_sel:WORD_1 dst_unused:UNUSED_PAD src0_sel:BYTE_0 src1_sel:DWORD
	v_or_b32_sdwa v58, v6, v29 dst_sel:WORD_1 dst_unused:UNUSED_PAD src0_sel:BYTE_0 src1_sel:DWORD
	v_bfe_i32 v36, v36, 0, 1
	v_or_b32_sdwa v60, v32, v30 dst_sel:WORD_1 dst_unused:UNUSED_PAD src0_sel:BYTE_0 src1_sel:DWORD
	v_cndmask_b32_e64 v34, 0, -1, s0
	v_cmp_ne_u16_sdwa s0, v35, v11 src0_sel:BYTE_1 src1_sel:DWORD
	v_bfe_i32 v40, v40, 0, 1
	v_lshlrev_b16 v27, 8, v27
	v_lshlrev_b16 v6, 8, v6
	;; [unrolled: 1-line block ×3, first 2 shown]
	v_cndmask_b32_e64 v49, 0, -1, s0
	v_cmp_ne_u16_sdwa s0, v35, v11 src0_sel:BYTE_3 src1_sel:DWORD
	v_cndmask_b32_e64 v35, 0, -1, s0
	v_cmp_ne_u16_sdwa s0, v38, v11 src0_sel:BYTE_1 src1_sel:DWORD
	v_lshlrev_b16 v35, 8, v35
	v_cndmask_b32_e64 v51, 0, -1, s0
	v_cmp_ne_u16_sdwa s0, v38, v11 src0_sel:BYTE_3 src1_sel:DWORD
	v_cndmask_b32_e64 v24, 0, -1, s0
	v_cmp_ne_u16_sdwa s0, v39, v11 src0_sel:BYTE_1 src1_sel:DWORD
	v_cndmask_b32_e64 v38, 0, -1, s0
	v_cmp_ne_u16_sdwa s0, v39, v11 src0_sel:BYTE_3 src1_sel:DWORD
	v_cndmask_b32_e64 v39, 0, -1, s0
	v_cmp_ne_u16_sdwa s0, v42, v11 src0_sel:BYTE_1 src1_sel:DWORD
	v_cndmask_b32_e64 v54, 0, -1, s0
	v_cmp_ne_u16_sdwa s0, v42, v11 src0_sel:BYTE_3 src1_sel:DWORD
	v_lshlrev_b16 v42, 8, v43
	v_bfe_i32 v43, v44, 0, 1
	v_lshlrev_b16 v44, 8, v45
	v_lshlrev_b16 v45, 8, v46
	v_cndmask_b32_e64 v25, 0, -1, s0
	v_bfe_i32 v46, v47, 0, 1
	v_lshlrev_b16 v47, 8, v48
	v_lshlrev_b16 v48, 8, v49
	v_bfe_i32 v49, v50, 0, 1
	v_lshlrev_b16 v50, 8, v51
	v_lshlrev_b16 v51, 8, v24
	;; [unrolled: 1-line block ×4, first 2 shown]
	v_bfe_i32 v39, v53, 0, 1
	v_lshlrev_b16 v53, 8, v54
	v_lshlrev_b16 v54, 8, v25
	v_or_b32_sdwa v25, v28, v42 dst_sel:DWORD dst_unused:UNUSED_PAD src0_sel:BYTE_0 src1_sel:DWORD
	v_or_b32_sdwa v57, v43, v44 dst_sel:DWORD dst_unused:UNUSED_PAD src0_sel:BYTE_0 src1_sel:DWORD
	;; [unrolled: 1-line block ×3, first 2 shown]
	v_cmp_le_u32_e64 s0, s10, v9
	v_or_b32_sdwa v61, v55, v54 dst_sel:WORD_1 dst_unused:UNUSED_PAD src0_sel:BYTE_0 src1_sel:DWORD
	v_or_b32_sdwa v25, v25, v56 dst_sel:DWORD dst_unused:UNUSED_PAD src0_sel:WORD_0 src1_sel:DWORD
	v_or_b32_sdwa v56, v46, v47 dst_sel:DWORD dst_unused:UNUSED_PAD src0_sel:BYTE_0 src1_sel:DWORD
	v_or_b32_sdwa v57, v57, v58 dst_sel:DWORD dst_unused:UNUSED_PAD src0_sel:WORD_0 src1_sel:DWORD
	v_or_b32_sdwa v58, v23, v34 dst_sel:WORD_1 dst_unused:UNUSED_PAD src0_sel:BYTE_0 src1_sel:DWORD
	v_or_b32_sdwa v59, v59, v60 dst_sel:DWORD dst_unused:UNUSED_PAD src0_sel:WORD_0 src1_sel:DWORD
	v_or_b32_sdwa v60, v49, v50 dst_sel:DWORD dst_unused:UNUSED_PAD src0_sel:BYTE_0 src1_sel:DWORD
	v_lshlrev_b16 v23, 8, v23
	v_lshlrev_b16 v55, 8, v55
	v_or_b32_sdwa v56, v56, v58 dst_sel:DWORD dst_unused:UNUSED_PAD src0_sel:WORD_0 src1_sel:DWORD
	v_or_b32_sdwa v58, v52, v51 dst_sel:WORD_1 dst_unused:UNUSED_PAD src0_sel:BYTE_0 src1_sel:DWORD
	s_or_b32 s3, s0, s3
	v_or_b32_sdwa v58, v60, v58 dst_sel:DWORD dst_unused:UNUSED_PAD src0_sel:WORD_0 src1_sel:DWORD
	v_or_b32_sdwa v60, v40, v38 dst_sel:WORD_1 dst_unused:UNUSED_PAD src0_sel:BYTE_0 src1_sel:DWORD
	v_lshlrev_b16 v40, 8, v40
	s_waitcnt vmcnt(3)
	v_xor_b32_e32 v25, v15, v25
	v_xor_b32_e32 v57, v16, v57
	v_or_b32_sdwa v15, v37, v48 dst_sel:DWORD dst_unused:UNUSED_PAD src0_sel:BYTE_0 src1_sel:DWORD
	v_or_b32_sdwa v16, v36, v35 dst_sel:WORD_1 dst_unused:UNUSED_PAD src0_sel:BYTE_0 src1_sel:DWORD
	s_waitcnt vmcnt(1)
	v_xor_b32_e32 v58, v20, v58
	v_lshlrev_b16 v20, 8, v33
	v_lshlrev_b16 v33, 8, v41
	v_xor_b32_e32 v59, v17, v59
	v_or_b32_sdwa v15, v15, v16 dst_sel:DWORD dst_unused:UNUSED_PAD src0_sel:WORD_0 src1_sel:DWORD
	v_or_b32_sdwa v16, v41, v24 dst_sel:DWORD dst_unused:UNUSED_PAD src0_sel:BYTE_0 src1_sel:DWORD
	v_lshlrev_b16 v41, 8, v46
	v_xor_b32_e32 v56, v18, v56
	v_xor_b32_e32 v62, v19, v15
	v_or_b32_sdwa v60, v16, v60 dst_sel:DWORD dst_unused:UNUSED_PAD src0_sel:WORD_0 src1_sel:DWORD
	v_or_b32_sdwa v16, v39, v53 dst_sel:DWORD dst_unused:UNUSED_PAD src0_sel:BYTE_0 src1_sel:DWORD
	v_lshlrev_b16 v19, 8, v28
	v_lshlrev_b16 v28, 8, v37
	;; [unrolled: 1-line block ×4, first 2 shown]
	v_or_b32_sdwa v61, v16, v61 dst_sel:DWORD dst_unused:UNUSED_PAD src0_sel:WORD_0 src1_sel:DWORD
	s_waitcnt vmcnt(0)
	v_xor_b32_e32 v46, v21, v60
	v_and_b32_e32 v21, 0xffffff00, v25
	global_load_dwordx4 v[15:18], v[4:5], off offset:-32
	v_lshlrev_b16 v39, 8, v39
	v_xor_b32_e32 v49, v22, v61
	v_lshlrev_b16 v22, 8, v25
	v_sub_nc_i16 v21, v21, v42 clamp
	v_and_b32_e32 v42, 0xffffff00, v57
	v_sub_nc_i16 v19, v22, v19 clamp
	v_lshlrev_b16 v22, 8, v57
	v_sub_nc_i16 v42, v42, v44 clamp
	v_and_b32_e32 v44, 0xffffff00, v59
	v_perm_b32 v63, v19, v21, 0xc0c0105
	v_sub_nc_i16 v37, v22, v37 clamp
	v_lshlrev_b16 v22, 8, v59
	v_sub_nc_i16 v44, v44, v45 clamp
	v_and_b32_e32 v45, 0xffffff00, v56
	v_perm_b32 v37, v37, v42, 0xc0c0105
	v_sub_nc_i16 v60, v22, v20 clamp
	v_and_b32_e32 v22, 0xffffff00, v62
	v_sub_nc_i16 v45, v45, v47 clamp
	v_lshlrev_b16 v20, 8, v56
	v_sub_nc_i16 v47, v22, v48 clamp
	v_and_b32_e32 v22, 0xffffff00, v58
	v_sub_nc_i16 v41, v20, v41 clamp
	v_lshlrev_b16 v20, 8, v62
	v_sub_nc_i16 v50, v22, v50 clamp
	v_and_b32_e32 v22, 0xffffff00, v46
	v_sub_nc_i16 v48, v20, v28 clamp
	v_lshlrev_b16 v20, 8, v58
	v_perm_b32 v41, v41, v45, 0xc0c0105
	v_sub_nc_i16 v61, v22, v24 clamp
	v_and_b32_e32 v22, 0xffffff00, v49
	v_lshrrev_b32_e32 v24, 16, v25
	v_sub_nc_i16 v43, v20, v43 clamp
	v_lshlrev_b16 v20, 8, v46
	v_perm_b32 v47, v48, v47, 0xc0c0105
	v_sub_nc_i16 v53, v22, v53 clamp
	v_and_b32_e32 v22, 0xffffff00, v24
	v_lshlrev_b16 v24, 8, v24
	v_sub_nc_i16 v33, v20, v33 clamp
	v_lshlrev_b16 v20, 8, v49
	v_perm_b32 v43, v43, v50, 0xc0c0105
	v_sub_nc_i16 v64, v22, v26 clamp
	v_sub_nc_i16 v65, v24, v27 clamp
	v_lshrrev_b32_e32 v24, 16, v57
	v_lshrrev_b32_e32 v26, 16, v56
	v_mad_u64_u32 v[27:28], null, v12, 36, v[2:3]
	v_sub_nc_i16 v39, v20, v39 clamp
	v_and_b32_e32 v25, 0xffffff00, v24
	v_lshlrev_b16 v24, 8, v24
	global_load_dwordx4 v[19:22], v[4:5], off offset:-16
	v_lshrrev_b32_e32 v49, 16, v49
	v_lshrrev_b32_e32 v46, 16, v46
	v_sub_nc_i16 v42, v25, v29 clamp
	v_lshrrev_b32_e32 v25, 16, v59
	v_sub_nc_i16 v6, v24, v6 clamp
	v_lshlrev_b16 v24, 8, v32
	v_perm_b32 v32, v60, v44, 0xc0c0105
	global_load_dword v48, v[27:28], off offset:32
	v_and_b32_e32 v29, 0xffffff00, v25
	v_lshlrev_b16 v25, 8, v25
	v_perm_b32 v39, v39, v53, 0xc0c0105
	v_and_b32_e32 v53, 0xffffff00, v49
	v_perm_b32 v6, v6, v42, 0xc0c0105
	v_sub_nc_i16 v44, v29, v30 clamp
	v_and_b32_e32 v29, 0xffffff00, v26
	v_lshlrev_b16 v26, 8, v26
	v_sub_nc_i16 v56, v25, v24 clamp
	v_sub_nc_i16 v53, v53, v54 clamp
	v_perm_b32 v54, v65, v64, 0xc0c0105
	v_sub_nc_i16 v34, v29, v34 clamp
	v_lshrrev_b32_e32 v29, 16, v62
	v_sub_nc_i16 v45, v26, v23 clamp
	global_load_dwordx4 v[23:26], v[27:28], off
	v_lshl_or_b32 v42, v54, 16, v63
	v_perm_b32 v44, v56, v44, 0xc0c0105
	v_and_b32_e32 v30, 0xffffff00, v29
	v_lshlrev_b16 v29, 8, v29
	v_lshl_or_b32 v6, v6, 16, v37
	v_lshlrev_b16 v49, 8, v49
	v_perm_b32 v33, v33, v61, 0xc0c0105
	v_sub_nc_i16 v35, v30, v35 clamp
	v_lshlrev_b16 v30, 8, v36
	v_lshrrev_b32_e32 v36, 16, v58
	v_sub_nc_i16 v49, v49, v55 clamp
	v_add_nc_u32_e32 v12, 32, v12
	v_sub_nc_i16 v57, v29, v30 clamp
	v_and_b32_e32 v29, 0xffffff00, v36
	v_lshlrev_b16 v36, 8, v36
	v_sub_nc_i16 v50, v29, v51 clamp
	global_load_dwordx4 v[27:30], v[27:28], off offset:16
	v_lshlrev_b16 v51, 8, v52
	v_and_b32_e32 v52, 0xffffff00, v46
	v_lshlrev_b16 v46, 8, v46
	v_sub_nc_i16 v36, v36, v51 clamp
	global_load_dword v51, v[4:5], off
	v_sub_nc_i16 v38, v52, v38 clamp
	v_mov_b32_e32 v52, 0
	v_sub_nc_i16 v40, v46, v40 clamp
	v_mov_b32_e32 v46, 0
	v_add_co_u32 v4, vcc_lo, 0x480, v4
	v_add_co_ci_u32_e64 v5, null, 0, v5, vcc_lo
	s_waitcnt vmcnt(5)
	v_dot4c_i32_i8 v52, v42, v16
	v_perm_b32 v16, v45, v34, 0xc0c0105
	v_cvt_f32_f16_e32 v15, v15
	v_dot4c_i32_i8 v52, v6, v17
	v_lshl_or_b32 v16, v16, 16, v41
	v_perm_b32 v17, v36, v50, 0xc0c0105
	v_lshl_or_b32 v17, v17, 16, v43
	s_waitcnt vmcnt(2)
	v_dot4c_i32_i8 v46, v42, v24
	v_lshl_or_b32 v24, v44, 16, v32
	v_dot4c_i32_i8 v46, v6, v25
	v_perm_b32 v6, v57, v35, 0xc0c0105
	v_dot4c_i32_i8 v52, v24, v18
	v_dot4c_i32_i8 v46, v24, v26
	v_lshl_or_b32 v6, v6, 16, v47
	v_dot4c_i32_i8 v52, v16, v19
	v_dot4c_i32_i8 v52, v6, v20
	s_waitcnt vmcnt(1)
	v_dot4c_i32_i8 v46, v16, v27
	v_perm_b32 v16, v40, v38, 0xc0c0105
	v_dot4c_i32_i8 v52, v17, v21
	v_dot4c_i32_i8 v46, v6, v28
	v_perm_b32 v6, v49, v53, 0xc0c0105
	v_lshl_or_b32 v16, v16, 16, v33
	v_dot4c_i32_i8 v46, v17, v29
	v_lshl_or_b32 v6, v6, 16, v39
	v_dot4c_i32_i8 v52, v16, v22
	v_dot4c_i32_i8 v46, v16, v30
	s_waitcnt vmcnt(0)
	v_dot4c_i32_i8 v52, v6, v51
	v_dot4c_i32_i8 v46, v6, v48
	v_mul_lo_u32 v6, v52, v7
	v_mul_lo_u32 v7, v46, v7
	v_ashrrev_i32_e32 v16, 31, v6
	v_ashrrev_i32_e32 v17, 31, v7
	v_lshrrev_b32_e32 v16, 29, v16
	v_lshrrev_b32_e32 v17, 29, v17
	v_add_nc_u32_e32 v6, v6, v16
	v_cvt_f32_f16_e32 v16, v23
	v_add_nc_u32_e32 v7, v7, v17
	v_cvt_f32_f16_e32 v17, v31
	v_ashrrev_i32_e32 v6, 3, v6
	v_ashrrev_i32_e32 v7, 3, v7
	v_mul_f32_e32 v15, v17, v15
	v_mul_f32_e32 v16, v17, v16
	v_cvt_f32_i32_e32 v6, v6
	v_cvt_f32_i32_e32 v7, v7
	v_fmac_f32_e32 v10, v15, v6
	v_fmac_f32_e32 v8, v16, v7
	s_andn2_b32 exec_lo, exec_lo, s3
	s_cbranch_execnz .LBB161_2
; %bb.3:
	s_or_b32 exec_lo, exec_lo, s3
.LBB161_4:
	s_or_b32 exec_lo, exec_lo, s9
	s_mov_b32 s1, 0
	; wave barrier
	buffer_gl0_inv
	s_mov_b32 s0, exec_lo
	v_cmpx_eq_u32_e32 0, v1
	s_cbranch_execz .LBB161_9
; %bb.5:
	v_mbcnt_lo_u32_b32 v5, -1, 0
	s_load_dwordx2 s[4:5], s[4:5], 0x38
	s_mul_i32 s0, s14, s7
	s_mul_i32 s3, s18, s8
	s_add_i32 s0, s0, s6
	v_xor_b32_e32 v1, 16, v5
	v_xor_b32_e32 v2, 8, v5
	;; [unrolled: 1-line block ×3, first 2 shown]
	s_add_i32 s0, s0, s3
	s_lshl_b64 s[0:1], s[0:1], 2
	v_cmp_gt_i32_e32 vcc_lo, 32, v1
	v_cndmask_b32_e32 v1, v5, v1, vcc_lo
	v_cmp_gt_i32_e32 vcc_lo, 32, v2
	v_lshlrev_b32_e32 v1, 2, v1
	v_cndmask_b32_e32 v2, v5, v2, vcc_lo
	s_waitcnt lgkmcnt(0)
	s_add_u32 s0, s4, s0
	s_addc_u32 s1, s5, s1
	ds_bpermute_b32 v3, v1, v10
	v_lshlrev_b32_e32 v2, 2, v2
	s_waitcnt lgkmcnt(0)
	v_add_f32_e32 v4, v10, v3
	v_xor_b32_e32 v3, 4, v5
	ds_bpermute_b32 v6, v2, v4
	v_cmp_gt_i32_e32 vcc_lo, 32, v3
	v_cndmask_b32_e32 v3, v5, v3, vcc_lo
	v_lshlrev_b32_e32 v3, 2, v3
	s_waitcnt lgkmcnt(0)
	v_add_f32_e32 v6, v4, v6
	v_xor_b32_e32 v4, 2, v5
	ds_bpermute_b32 v7, v3, v6
	v_cmp_gt_i32_e32 vcc_lo, 32, v4
	v_cndmask_b32_e32 v4, v5, v4, vcc_lo
	v_cmp_gt_i32_e32 vcc_lo, 32, v9
	v_lshlrev_b32_e32 v4, 2, v4
	v_cndmask_b32_e32 v5, v5, v9, vcc_lo
	v_cmp_eq_u32_e32 vcc_lo, 0, v0
	v_lshlrev_b32_e32 v5, 2, v5
	s_waitcnt lgkmcnt(0)
	v_add_f32_e32 v6, v6, v7
	ds_bpermute_b32 v7, v4, v6
	s_waitcnt lgkmcnt(0)
	v_add_f32_e32 v6, v6, v7
	ds_bpermute_b32 v7, v5, v6
	s_and_saveexec_b32 s3, vcc_lo
	s_cbranch_execz .LBB161_7
; %bb.6:
	s_waitcnt lgkmcnt(0)
	v_add_f32_e32 v0, v6, v7
	v_mov_b32_e32 v6, 0
	global_store_dword v6, v0, s[0:1]
.LBB161_7:
	s_or_b32 exec_lo, exec_lo, s3
	ds_bpermute_b32 v0, v1, v8
	s_waitcnt lgkmcnt(0)
	v_add_f32_e32 v0, v8, v0
	ds_bpermute_b32 v1, v2, v0
	s_waitcnt lgkmcnt(0)
	v_add_f32_e32 v0, v0, v1
	;; [unrolled: 3-line block ×4, first 2 shown]
	ds_bpermute_b32 v1, v5, v0
	s_and_b32 exec_lo, exec_lo, vcc_lo
	s_cbranch_execz .LBB161_9
; %bb.8:
	s_mov_b32 s3, 0
	s_waitcnt lgkmcnt(0)
	v_add_f32_e32 v0, v0, v1
	s_lshl_b64 s[2:3], s[2:3], 2
	v_mov_b32_e32 v1, 0
	s_add_u32 s0, s0, s2
	s_addc_u32 s1, s1, s3
	global_store_dword v1, v0, s[0:1]
.LBB161_9:
	s_endpgm
	.section	.rodata,"a",@progbits
	.p2align	6, 0x0
	.amdhsa_kernel _ZL13mul_mat_vec_qIL9ggml_type16ELi2ELb0ELb0EEvPKvS2_PKi31ggml_cuda_mm_fusion_args_devicePfj15HIP_vector_typeIjLj3EEjjjS8_jjjS8_jjjj
		.amdhsa_group_segment_fixed_size 0
		.amdhsa_private_segment_fixed_size 0
		.amdhsa_kernarg_size 144
		.amdhsa_user_sgpr_count 6
		.amdhsa_user_sgpr_private_segment_buffer 1
		.amdhsa_user_sgpr_dispatch_ptr 0
		.amdhsa_user_sgpr_queue_ptr 0
		.amdhsa_user_sgpr_kernarg_segment_ptr 1
		.amdhsa_user_sgpr_dispatch_id 0
		.amdhsa_user_sgpr_flat_scratch_init 0
		.amdhsa_user_sgpr_private_segment_size 0
		.amdhsa_wavefront_size32 1
		.amdhsa_uses_dynamic_stack 0
		.amdhsa_system_sgpr_private_segment_wavefront_offset 0
		.amdhsa_system_sgpr_workgroup_id_x 1
		.amdhsa_system_sgpr_workgroup_id_y 1
		.amdhsa_system_sgpr_workgroup_id_z 1
		.amdhsa_system_sgpr_workgroup_info 0
		.amdhsa_system_vgpr_workitem_id 1
		.amdhsa_next_free_vgpr 66
		.amdhsa_next_free_sgpr 26
		.amdhsa_reserve_vcc 1
		.amdhsa_reserve_flat_scratch 0
		.amdhsa_float_round_mode_32 0
		.amdhsa_float_round_mode_16_64 0
		.amdhsa_float_denorm_mode_32 3
		.amdhsa_float_denorm_mode_16_64 3
		.amdhsa_dx10_clamp 1
		.amdhsa_ieee_mode 1
		.amdhsa_fp16_overflow 0
		.amdhsa_workgroup_processor_mode 1
		.amdhsa_memory_ordered 1
		.amdhsa_forward_progress 1
		.amdhsa_shared_vgpr_count 0
		.amdhsa_exception_fp_ieee_invalid_op 0
		.amdhsa_exception_fp_denorm_src 0
		.amdhsa_exception_fp_ieee_div_zero 0
		.amdhsa_exception_fp_ieee_overflow 0
		.amdhsa_exception_fp_ieee_underflow 0
		.amdhsa_exception_fp_ieee_inexact 0
		.amdhsa_exception_int_div_zero 0
	.end_amdhsa_kernel
	.section	.text._ZL13mul_mat_vec_qIL9ggml_type16ELi2ELb0ELb0EEvPKvS2_PKi31ggml_cuda_mm_fusion_args_devicePfj15HIP_vector_typeIjLj3EEjjjS8_jjjS8_jjjj,"axG",@progbits,_ZL13mul_mat_vec_qIL9ggml_type16ELi2ELb0ELb0EEvPKvS2_PKi31ggml_cuda_mm_fusion_args_devicePfj15HIP_vector_typeIjLj3EEjjjS8_jjjS8_jjjj,comdat
.Lfunc_end161:
	.size	_ZL13mul_mat_vec_qIL9ggml_type16ELi2ELb0ELb0EEvPKvS2_PKi31ggml_cuda_mm_fusion_args_devicePfj15HIP_vector_typeIjLj3EEjjjS8_jjjS8_jjjj, .Lfunc_end161-_ZL13mul_mat_vec_qIL9ggml_type16ELi2ELb0ELb0EEvPKvS2_PKi31ggml_cuda_mm_fusion_args_devicePfj15HIP_vector_typeIjLj3EEjjjS8_jjjS8_jjjj
                                        ; -- End function
	.set _ZL13mul_mat_vec_qIL9ggml_type16ELi2ELb0ELb0EEvPKvS2_PKi31ggml_cuda_mm_fusion_args_devicePfj15HIP_vector_typeIjLj3EEjjjS8_jjjS8_jjjj.num_vgpr, 66
	.set _ZL13mul_mat_vec_qIL9ggml_type16ELi2ELb0ELb0EEvPKvS2_PKi31ggml_cuda_mm_fusion_args_devicePfj15HIP_vector_typeIjLj3EEjjjS8_jjjS8_jjjj.num_agpr, 0
	.set _ZL13mul_mat_vec_qIL9ggml_type16ELi2ELb0ELb0EEvPKvS2_PKi31ggml_cuda_mm_fusion_args_devicePfj15HIP_vector_typeIjLj3EEjjjS8_jjjS8_jjjj.numbered_sgpr, 26
	.set _ZL13mul_mat_vec_qIL9ggml_type16ELi2ELb0ELb0EEvPKvS2_PKi31ggml_cuda_mm_fusion_args_devicePfj15HIP_vector_typeIjLj3EEjjjS8_jjjS8_jjjj.num_named_barrier, 0
	.set _ZL13mul_mat_vec_qIL9ggml_type16ELi2ELb0ELb0EEvPKvS2_PKi31ggml_cuda_mm_fusion_args_devicePfj15HIP_vector_typeIjLj3EEjjjS8_jjjS8_jjjj.private_seg_size, 0
	.set _ZL13mul_mat_vec_qIL9ggml_type16ELi2ELb0ELb0EEvPKvS2_PKi31ggml_cuda_mm_fusion_args_devicePfj15HIP_vector_typeIjLj3EEjjjS8_jjjS8_jjjj.uses_vcc, 1
	.set _ZL13mul_mat_vec_qIL9ggml_type16ELi2ELb0ELb0EEvPKvS2_PKi31ggml_cuda_mm_fusion_args_devicePfj15HIP_vector_typeIjLj3EEjjjS8_jjjS8_jjjj.uses_flat_scratch, 0
	.set _ZL13mul_mat_vec_qIL9ggml_type16ELi2ELb0ELb0EEvPKvS2_PKi31ggml_cuda_mm_fusion_args_devicePfj15HIP_vector_typeIjLj3EEjjjS8_jjjS8_jjjj.has_dyn_sized_stack, 0
	.set _ZL13mul_mat_vec_qIL9ggml_type16ELi2ELb0ELb0EEvPKvS2_PKi31ggml_cuda_mm_fusion_args_devicePfj15HIP_vector_typeIjLj3EEjjjS8_jjjS8_jjjj.has_recursion, 0
	.set _ZL13mul_mat_vec_qIL9ggml_type16ELi2ELb0ELb0EEvPKvS2_PKi31ggml_cuda_mm_fusion_args_devicePfj15HIP_vector_typeIjLj3EEjjjS8_jjjS8_jjjj.has_indirect_call, 0
	.section	.AMDGPU.csdata,"",@progbits
; Kernel info:
; codeLenInByte = 3088
; TotalNumSgprs: 28
; NumVgprs: 66
; ScratchSize: 0
; MemoryBound: 0
; FloatMode: 240
; IeeeMode: 1
; LDSByteSize: 0 bytes/workgroup (compile time only)
; SGPRBlocks: 0
; VGPRBlocks: 8
; NumSGPRsForWavesPerEU: 28
; NumVGPRsForWavesPerEU: 66
; Occupancy: 12
; WaveLimiterHint : 0
; COMPUTE_PGM_RSRC2:SCRATCH_EN: 0
; COMPUTE_PGM_RSRC2:USER_SGPR: 6
; COMPUTE_PGM_RSRC2:TRAP_HANDLER: 0
; COMPUTE_PGM_RSRC2:TGID_X_EN: 1
; COMPUTE_PGM_RSRC2:TGID_Y_EN: 1
; COMPUTE_PGM_RSRC2:TGID_Z_EN: 1
; COMPUTE_PGM_RSRC2:TIDIG_COMP_CNT: 1
	.section	.text._ZL13mul_mat_vec_qIL9ggml_type16ELi3ELb0ELb0EEvPKvS2_PKi31ggml_cuda_mm_fusion_args_devicePfj15HIP_vector_typeIjLj3EEjjjS8_jjjS8_jjjj,"axG",@progbits,_ZL13mul_mat_vec_qIL9ggml_type16ELi3ELb0ELb0EEvPKvS2_PKi31ggml_cuda_mm_fusion_args_devicePfj15HIP_vector_typeIjLj3EEjjjS8_jjjS8_jjjj,comdat
	.globl	_ZL13mul_mat_vec_qIL9ggml_type16ELi3ELb0ELb0EEvPKvS2_PKi31ggml_cuda_mm_fusion_args_devicePfj15HIP_vector_typeIjLj3EEjjjS8_jjjS8_jjjj ; -- Begin function _ZL13mul_mat_vec_qIL9ggml_type16ELi3ELb0ELb0EEvPKvS2_PKi31ggml_cuda_mm_fusion_args_devicePfj15HIP_vector_typeIjLj3EEjjjS8_jjjS8_jjjj
	.p2align	8
	.type	_ZL13mul_mat_vec_qIL9ggml_type16ELi3ELb0ELb0EEvPKvS2_PKi31ggml_cuda_mm_fusion_args_devicePfj15HIP_vector_typeIjLj3EEjjjS8_jjjS8_jjjj,@function
_ZL13mul_mat_vec_qIL9ggml_type16ELi3ELb0ELb0EEvPKvS2_PKi31ggml_cuda_mm_fusion_args_devicePfj15HIP_vector_typeIjLj3EEjjjS8_jjjS8_jjjj: ; @_ZL13mul_mat_vec_qIL9ggml_type16ELi3ELb0ELb0EEvPKvS2_PKi31ggml_cuda_mm_fusion_args_devicePfj15HIP_vector_typeIjLj3EEjjjS8_jjjS8_jjjj
; %bb.0:
	s_clause 0x5
	s_load_dword s9, s[4:5], 0x40
	s_load_dwordx4 s[0:3], s[4:5], 0x50
	s_load_dword s11, s[4:5], 0x60
	s_load_dwordx4 s[12:15], s[4:5], 0x68
	s_load_dword s24, s[4:5], 0x78
	s_load_dwordx4 s[16:19], s[4:5], 0x80
	v_lshl_or_b32 v2, v1, 5, v0
	v_mov_b32_e32 v6, 0
	v_mov_b32_e32 v7, 0
	;; [unrolled: 1-line block ×3, first 2 shown]
	v_lshrrev_b32_e32 v8, 3, v2
	s_waitcnt lgkmcnt(0)
	s_lshr_b32 s10, s9, 8
	s_mov_b32 s9, exec_lo
	v_cmpx_gt_u32_e64 s10, v8
	s_cbranch_execz .LBB162_4
; %bb.1:
	s_mul_i32 s13, s13, s7
	s_load_dwordx4 s[20:23], s[4:5], 0x0
	s_mul_hi_u32 s27, s13, 36
	s_mul_i32 s26, s13, 36
	s_mul_i32 s17, s17, s8
	v_mad_u64_u32 v[2:3], null, 0x120, v8, s[26:27]
	v_lshlrev_b32_e32 v4, 1, v0
	v_and_b32_e32 v6, 7, v0
	s_mul_hi_u32 s3, s3, s7
	s_mul_hi_u32 s15, s15, s8
	s_add_i32 s3, s7, s3
	v_and_b32_e32 v7, 14, v4
	v_mad_u64_u32 v[2:3], null, s17, 36, v[2:3]
	s_add_i32 s15, s8, s15
	s_mul_i32 s13, s17, 36
	s_lshr_b32 s3, s3, s11
	s_mul_hi_u32 s19, s17, 36
	s_lshr_b32 s11, s15, s24
	s_mul_i32 s3, s3, s12
	v_mad_u64_u32 v[4:5], null, v6, 36, v[2:3]
	s_waitcnt lgkmcnt(0)
	s_add_u32 s12, s22, s13
	s_addc_u32 s13, s23, s19
	s_add_u32 s12, s12, s26
	s_addc_u32 s13, s13, s27
	v_lshlrev_b32_e32 v9, 3, v8
	v_lshlrev_b32_e32 v7, 1, v7
	v_add_co_u32 v4, vcc_lo, s22, v4
	v_add_co_ci_u32_e64 v5, null, s23, v5, vcc_lo
	v_mad_u64_u32 v[2:3], null, v6, 36, s[12:13]
	v_add_co_u32 v4, vcc_lo, v4, 16
	s_mul_i32 s0, s0, s6
	v_mov_b32_e32 v10, 0
	v_add_nc_u32_e32 v11, s1, v9
	v_lshl_add_u32 v12, s1, 1, v9
	v_add_co_ci_u32_e64 v5, null, 0, v5, vcc_lo
	v_lshlrev_b32_e32 v13, 1, v7
	v_mov_b32_e32 v14, 3
	v_mov_b32_e32 v6, 0
	;; [unrolled: 1-line block ×4, first 2 shown]
	s_mul_i32 s11, s11, s16
	s_add_i32 s3, s3, s0
	s_add_i32 s11, s11, s3
	s_mov_b32 s3, 0
.LBB162_2:                              ; =>This Inner Loop Header: Depth=1
	v_add_nc_u32_e32 v15, s11, v8
	s_getpc_b64 s[0:1]
	s_add_u32 s0, s0, _ZL11iq2xxs_grid@rel32@lo+4
	s_addc_u32 s1, s1, _ZL11iq2xxs_grid@rel32@hi+12
	v_add_nc_u32_e32 v8, 4, v8
	v_mad_i64_i32 v[15:16], null, 0x42, v15, s[20:21]
	v_add_co_u32 v17, vcc_lo, v15, v13
	v_add_co_ci_u32_e64 v18, null, 0, v16, vcc_lo
	s_clause 0x1
	global_load_dwordx2 v[18:19], v[17:18], off offset:2
	global_load_ushort v39, v[15:16], off
	s_waitcnt vmcnt(1)
	v_lshlrev_b32_sdwa v15, v14, v18 dst_sel:DWORD dst_unused:UNUSED_PAD src0_sel:DWORD src1_sel:BYTE_0
	v_lshlrev_b32_sdwa v17, v14, v18 dst_sel:DWORD dst_unused:UNUSED_PAD src0_sel:DWORD src1_sel:BYTE_1
	v_lshlrev_b32_sdwa v20, v14, v18 dst_sel:DWORD dst_unused:UNUSED_PAD src0_sel:DWORD src1_sel:BYTE_2
	v_lshlrev_b32_sdwa v22, v14, v18 dst_sel:DWORD dst_unused:UNUSED_PAD src0_sel:DWORD src1_sel:BYTE_3
	v_and_b32_e32 v24, 0xff, v19
	s_clause 0x3
	global_load_dwordx2 v[15:16], v15, s[0:1]
	global_load_dwordx2 v[17:18], v17, s[0:1]
	;; [unrolled: 1-line block ×4, first 2 shown]
	v_bfe_u32 v25, v19, 7, 8
	v_bfe_u32 v27, v19, 21, 8
	;; [unrolled: 1-line block ×3, first 2 shown]
	v_bcnt_u32_b32 v28, v24, 0
	v_lshrrev_b32_e32 v65, 27, v19
	v_bcnt_u32_b32 v29, v25, 0
	v_bcnt_u32_b32 v31, v27, 0
	;; [unrolled: 1-line block ×3, first 2 shown]
	v_and_b32_e32 v28, 1, v28
	v_and_b32_e32 v29, 1, v29
	;; [unrolled: 1-line block ×4, first 2 shown]
	v_lshlrev_b32_e32 v28, 7, v28
	v_lshlrev_b32_e32 v29, 7, v29
	v_lshlrev_b32_e32 v31, 7, v31
	v_lshlrev_b32_e32 v30, 7, v30
	v_xor_b32_e32 v24, v28, v24
	v_xor_b32_e32 v25, v29, v25
	;; [unrolled: 1-line block ×4, first 2 shown]
	v_mul_lo_u32 v24, 0x1010101, v24
	v_mul_lo_u32 v25, 0x1010101, v25
	;; [unrolled: 1-line block ×4, first 2 shown]
	v_and_b32_e32 v28, 0x8040201, v24
	v_and_b32_e32 v31, 0x80402010, v24
	v_and_b32_e32 v32, 0x8040201, v25
	v_and_b32_e32 v35, 0x80402010, v25
	v_and_b32_e32 v36, 0x8040201, v26
	v_cmp_ne_u16_sdwa s0, v28, v10 src0_sel:BYTE_1 src1_sel:DWORD
	v_lshrrev_b16 v46, 4, v31
	v_and_b32_e32 v40, 0x80402010, v26
	v_lshrrev_b16 v49, 4, v35
	v_and_b32_e32 v41, 0x8040201, v27
	v_cndmask_b32_e64 v45, 0, -1, s0
	v_cmp_ne_u16_sdwa s0, v28, v10 src0_sel:BYTE_3 src1_sel:DWORD
	v_lshrrev_b16 v52, 4, v40
	v_and_b32_e32 v44, 0x80402010, v27
	v_lshrrev_b32_e32 v29, 18, v24
	v_bfe_i32 v30, v24, 0, 1
	v_cndmask_b32_e64 v28, 0, -1, s0
	v_cmp_ne_u16_sdwa s0, v31, v10 src0_sel:BYTE_1 src1_sel:DWORD
	v_lshrrev_b32_e32 v24, 22, v24
	v_bfe_i32 v29, v29, 0, 1
	v_lshrrev_b16 v55, 4, v44
	v_lshlrev_b16 v45, 8, v45
	v_cndmask_b32_e64 v47, 0, -1, s0
	v_cmp_ne_u16_sdwa s0, v31, v10 src0_sel:BYTE_3 src1_sel:DWORD
	v_bfe_i32 v24, v24, 0, 1
	v_lshlrev_b16 v28, 8, v28
	v_bfe_i32 v46, v46, 0, 1
	v_lshlrev_b16 v47, 8, v47
	v_cndmask_b32_e64 v31, 0, -1, s0
	v_cmp_ne_u16_sdwa s0, v32, v10 src0_sel:BYTE_1 src1_sel:DWORD
	v_lshrrev_b32_e32 v33, 18, v25
	v_bfe_i32 v34, v25, 0, 1
	v_lshrrev_b32_e32 v25, 22, v25
	v_lshlrev_b16 v57, 8, v31
	v_cndmask_b32_e64 v48, 0, -1, s0
	v_cmp_ne_u16_sdwa s0, v32, v10 src0_sel:BYTE_3 src1_sel:DWORD
	v_or_b32_sdwa v58, v29, v28 dst_sel:WORD_1 dst_unused:UNUSED_PAD src0_sel:BYTE_0 src1_sel:DWORD
	v_or_b32_sdwa v59, v46, v47 dst_sel:DWORD dst_unused:UNUSED_PAD src0_sel:BYTE_0 src1_sel:DWORD
	v_or_b32_sdwa v60, v24, v57 dst_sel:WORD_1 dst_unused:UNUSED_PAD src0_sel:BYTE_0 src1_sel:DWORD
	v_lshlrev_b16 v31, 8, v48
	v_cndmask_b32_e64 v32, 0, -1, s0
	v_cmp_ne_u16_sdwa s0, v35, v10 src0_sel:BYTE_1 src1_sel:DWORD
	v_bfe_i32 v33, v33, 0, 1
	v_bfe_i32 v25, v25, 0, 1
	v_or_b32_sdwa v59, v59, v60 dst_sel:DWORD dst_unused:UNUSED_PAD src0_sel:WORD_0 src1_sel:DWORD
	v_lshlrev_b16 v48, 8, v32
	v_cndmask_b32_e64 v50, 0, -1, s0
	v_cmp_ne_u16_sdwa s0, v35, v10 src0_sel:BYTE_3 src1_sel:DWORD
	v_bfe_i32 v32, v49, 0, 1
	v_lshrrev_b32_e32 v37, 18, v26
	v_bfe_i32 v38, v26, 0, 1
	v_lshlrev_b16 v49, 8, v50
	v_cndmask_b32_e64 v35, 0, -1, s0
	v_cmp_ne_u16_sdwa s0, v36, v10 src0_sel:BYTE_1 src1_sel:DWORD
	v_lshrrev_b32_e32 v26, 22, v26
	v_or_b32_sdwa v60, v33, v48 dst_sel:WORD_1 dst_unused:UNUSED_PAD src0_sel:BYTE_0 src1_sel:DWORD
	v_lshrrev_b32_e32 v42, 18, v27
	v_lshlrev_b16 v50, 8, v35
	v_cndmask_b32_e64 v51, 0, -1, s0
	v_cmp_ne_u16_sdwa s0, v36, v10 src0_sel:BYTE_3 src1_sel:DWORD
	v_bfe_i32 v26, v26, 0, 1
	v_bfe_i32 v43, v27, 0, 1
	v_lshrrev_b32_e32 v27, 22, v27
	v_lshlrev_b16 v35, 8, v51
	v_cndmask_b32_e64 v36, 0, -1, s0
	v_cmp_ne_u16_sdwa s0, v40, v10 src0_sel:BYTE_1 src1_sel:DWORD
	v_bfe_i32 v37, v37, 0, 1
	v_bfe_i32 v42, v42, 0, 1
	;; [unrolled: 1-line block ×3, first 2 shown]
	v_lshlrev_b16 v51, 8, v36
	v_cndmask_b32_e64 v53, 0, -1, s0
	v_cmp_ne_u16_sdwa s0, v40, v10 src0_sel:BYTE_3 src1_sel:DWORD
	v_bfe_i32 v36, v52, 0, 1
	v_lshlrev_b16 v19, 8, v30
	v_lshlrev_b16 v52, 8, v53
	v_cndmask_b32_e64 v40, 0, -1, s0
	v_cmp_ne_u16_sdwa s0, v41, v10 src0_sel:BYTE_1 src1_sel:DWORD
	v_lshlrev_b16 v40, 8, v40
	v_cndmask_b32_e64 v54, 0, -1, s0
	v_cmp_ne_u16_sdwa s0, v41, v10 src0_sel:BYTE_3 src1_sel:DWORD
	v_lshlrev_b16 v53, 8, v54
	v_cndmask_b32_e64 v41, 0, -1, s0
	v_cmp_ne_u16_sdwa s0, v44, v10 src0_sel:BYTE_1 src1_sel:DWORD
	v_bfe_i32 v54, v55, 0, 1
	v_lshlrev_b16 v41, 8, v41
	v_cndmask_b32_e64 v56, 0, -1, s0
	v_cmp_ne_u16_sdwa s0, v44, v10 src0_sel:BYTE_3 src1_sel:DWORD
	v_lshlrev_b16 v55, 8, v56
	v_or_b32_sdwa v56, v30, v45 dst_sel:DWORD dst_unused:UNUSED_PAD src0_sel:BYTE_0 src1_sel:DWORD
	v_cndmask_b32_e64 v44, 0, -1, s0
	v_lshlrev_b16 v30, 8, v32
	v_or_b32_sdwa v56, v56, v58 dst_sel:DWORD dst_unused:UNUSED_PAD src0_sel:WORD_0 src1_sel:DWORD
	v_or_b32_sdwa v58, v34, v31 dst_sel:DWORD dst_unused:UNUSED_PAD src0_sel:BYTE_0 src1_sel:DWORD
	v_lshlrev_b16 v44, 8, v44
	v_or_b32_sdwa v58, v58, v60 dst_sel:DWORD dst_unused:UNUSED_PAD src0_sel:WORD_0 src1_sel:DWORD
	v_or_b32_sdwa v60, v38, v35 dst_sel:DWORD dst_unused:UNUSED_PAD src0_sel:BYTE_0 src1_sel:DWORD
	s_waitcnt vmcnt(3)
	v_xor_b32_e32 v56, v15, v56
	v_xor_b32_e32 v59, v16, v59
	v_or_b32_sdwa v15, v32, v49 dst_sel:DWORD dst_unused:UNUSED_PAD src0_sel:BYTE_0 src1_sel:DWORD
	v_or_b32_sdwa v16, v25, v50 dst_sel:WORD_1 dst_unused:UNUSED_PAD src0_sel:BYTE_0 src1_sel:DWORD
	s_waitcnt vmcnt(2)
	v_xor_b32_e32 v58, v17, v58
	v_or_b32_sdwa v17, v26, v40 dst_sel:WORD_1 dst_unused:UNUSED_PAD src0_sel:BYTE_0 src1_sel:DWORD
	v_lshlrev_b16 v32, 8, v36
	v_or_b32_sdwa v15, v15, v16 dst_sel:DWORD dst_unused:UNUSED_PAD src0_sel:WORD_0 src1_sel:DWORD
	v_or_b32_sdwa v16, v37, v51 dst_sel:WORD_1 dst_unused:UNUSED_PAD src0_sel:BYTE_0 src1_sel:DWORD
	v_xor_b32_e32 v61, v18, v15
	v_or_b32_sdwa v15, v36, v52 dst_sel:DWORD dst_unused:UNUSED_PAD src0_sel:BYTE_0 src1_sel:DWORD
	v_or_b32_sdwa v18, v43, v53 dst_sel:DWORD dst_unused:UNUSED_PAD src0_sel:BYTE_0 src1_sel:DWORD
	v_or_b32_sdwa v16, v60, v16 dst_sel:DWORD dst_unused:UNUSED_PAD src0_sel:WORD_0 src1_sel:DWORD
	v_or_b32_sdwa v60, v27, v44 dst_sel:WORD_1 dst_unused:UNUSED_PAD src0_sel:BYTE_0 src1_sel:DWORD
	v_and_b32_e32 v36, 0xffffff00, v56
	v_or_b32_sdwa v15, v15, v17 dst_sel:DWORD dst_unused:UNUSED_PAD src0_sel:WORD_0 src1_sel:DWORD
	v_or_b32_sdwa v17, v42, v41 dst_sel:WORD_1 dst_unused:UNUSED_PAD src0_sel:BYTE_0 src1_sel:DWORD
	v_lshlrev_b16 v27, 8, v27
	v_sub_nc_i16 v36, v36, v45 clamp
	s_waitcnt vmcnt(1)
	v_xor_b32_e32 v62, v21, v15
	v_or_b32_sdwa v17, v18, v17 dst_sel:DWORD dst_unused:UNUSED_PAD src0_sel:WORD_0 src1_sel:DWORD
	v_or_b32_sdwa v18, v54, v55 dst_sel:DWORD dst_unused:UNUSED_PAD src0_sel:BYTE_0 src1_sel:DWORD
	v_lshlrev_b16 v21, 8, v38
	v_lshlrev_b16 v38, 8, v56
	s_waitcnt vmcnt(0)
	v_xor_b32_e32 v63, v22, v17
	v_or_b32_sdwa v18, v18, v60 dst_sel:DWORD dst_unused:UNUSED_PAD src0_sel:WORD_0 src1_sel:DWORD
	v_lshlrev_b16 v22, 8, v43
	v_lshlrev_b16 v43, 8, v59
	v_xor_b32_e32 v60, v20, v16
	v_lshlrev_b16 v20, 8, v34
	v_xor_b32_e32 v64, v23, v18
	v_lshlrev_b16 v23, 8, v46
	v_sub_nc_i16 v19, v38, v19 clamp
	v_and_b32_e32 v38, 0xffffff00, v59
	v_lshlrev_b16 v34, 8, v54
	global_load_dwordx4 v[15:18], v[4:5], off offset:-16
	v_sub_nc_i16 v23, v43, v23 clamp
	v_and_b32_e32 v43, 0xffffff00, v58
	v_sub_nc_i16 v38, v38, v47 clamp
	v_sub_nc_i16 v43, v43, v31 clamp
	v_lshlrev_b16 v31, 8, v58
	v_perm_b32 v67, v23, v38, 0xc0c0105
	v_lshrrev_b32_e32 v23, 16, v58
	v_sub_nc_i16 v20, v31, v20 clamp
	v_and_b32_e32 v31, 0xffffff00, v61
	v_perm_b32 v43, v20, v43, 0xc0c0105
	v_sub_nc_i16 v45, v31, v49 clamp
	v_lshlrev_b16 v31, 8, v61
	v_sub_nc_i16 v30, v31, v30 clamp
	v_and_b32_e32 v31, 0xffffff00, v60
	v_perm_b32 v45, v30, v45, 0xc0c0105
	v_sub_nc_i16 v46, v31, v35 clamp
	v_lshlrev_b16 v31, 8, v60
	v_lshrrev_b32_e32 v30, 16, v64
	v_sub_nc_i16 v47, v31, v21 clamp
	v_and_b32_e32 v21, 0xffffff00, v62
	v_perm_b32 v46, v47, v46, 0xc0c0105
	v_sub_nc_i16 v49, v21, v52 clamp
	v_lshlrev_b16 v21, 8, v62
	v_sub_nc_i16 v52, v21, v32 clamp
	v_and_b32_e32 v21, 0xffffff00, v63
	v_mad_u64_u32 v[31:32], null, v11, 36, v[2:3]
	v_add_nc_u32_e32 v11, 32, v11
	v_perm_b32 v49, v52, v49, 0xc0c0105
	v_sub_nc_i16 v53, v21, v53 clamp
	v_lshlrev_b16 v21, 8, v63
	v_sub_nc_i16 v54, v21, v22 clamp
	v_and_b32_e32 v21, 0xffffff00, v64
	v_lshrrev_b32_e32 v22, 16, v56
	v_perm_b32 v56, v19, v36, 0xc0c0105
	v_lshlrev_b16 v19, 8, v29
	v_mad_u64_u32 v[35:36], null, v12, 36, v[2:3]
	v_sub_nc_i16 v55, v21, v55 clamp
	v_lshlrev_b16 v21, 8, v64
	v_lshrrev_b32_e32 v29, 16, v63
	v_add_nc_u32_e32 v12, 32, v12
	v_sub_nc_i16 v34, v21, v34 clamp
	v_and_b32_e32 v21, 0xffffff00, v22
	v_lshlrev_b16 v22, 8, v22
	v_and_b32_e32 v52, 0xffffff00, v29
	v_lshlrev_b16 v29, 8, v29
	v_sub_nc_i16 v66, v21, v28 clamp
	v_lshrrev_b32_e32 v21, 16, v59
	v_sub_nc_i16 v59, v22, v19 clamp
	v_lshlrev_b16 v22, 8, v33
	v_sub_nc_i16 v41, v52, v41 clamp
	v_and_b32_e32 v52, 0xffffff00, v30
	v_and_b32_e32 v19, 0xffffff00, v21
	v_lshlrev_b16 v21, 8, v21
	v_lshlrev_b16 v30, 8, v30
	v_sub_nc_i16 v44, v52, v44 clamp
	v_sub_nc_i16 v38, v19, v57 clamp
	v_lshlrev_b16 v19, 8, v24
	v_lshrrev_b32_e32 v24, 16, v61
	global_load_dword v61, v[31:32], off offset:32
	v_sub_nc_i16 v52, v30, v27 clamp
	v_sub_nc_i16 v33, v21, v19 clamp
	v_and_b32_e32 v19, 0xffffff00, v23
	v_lshlrev_b16 v21, 8, v23
	v_and_b32_e32 v20, 0xffffff00, v24
	v_lshlrev_b16 v23, 8, v25
	v_lshlrev_b16 v24, 8, v24
	v_lshrrev_b32_e32 v25, 16, v60
	v_sub_nc_i16 v48, v19, v48 clamp
	v_sub_nc_i16 v57, v21, v22 clamp
	;; [unrolled: 1-line block ×4, first 2 shown]
	v_lshlrev_b16 v24, 8, v26
	v_lshrrev_b32_e32 v26, 16, v62
	v_and_b32_e32 v28, 0xffffff00, v25
	v_lshlrev_b16 v23, 8, v37
	v_lshlrev_b16 v25, 8, v25
	global_load_dwordx4 v[19:22], v[31:32], off
	v_perm_b32 v48, v57, v48, 0xc0c0105
	v_sub_nc_i16 v37, v28, v51 clamp
	v_and_b32_e32 v28, 0xffffff00, v26
	v_lshlrev_b16 v26, 8, v26
	v_sub_nc_i16 v47, v25, v23 clamp
	global_load_dword v57, v[35:36], off offset:32
	v_perm_b32 v44, v52, v44, 0xc0c0105
	v_sub_nc_i16 v40, v28, v40 clamp
	v_sub_nc_i16 v51, v26, v24 clamp
	global_load_dwordx4 v[23:26], v[35:36], off
	v_lshlrev_b16 v28, 8, v42
	v_perm_b32 v42, v54, v53, 0xc0c0105
	v_perm_b32 v54, v34, v55, 0xc0c0105
	;; [unrolled: 1-line block ×4, first 2 shown]
	v_sub_nc_i16 v53, v29, v28 clamp
	global_load_dwordx4 v[27:30], v[4:5], off
	global_load_dwordx4 v[31:34], v[31:32], off offset:16
	v_perm_b32 v47, v47, v37, 0xc0c0105
	global_load_dwordx4 v[35:38], v[35:36], off offset:16
	v_perm_b32 v40, v51, v40, 0xc0c0105
	global_load_dword v51, v[4:5], off offset:16
	v_perm_b32 v41, v53, v41, 0xc0c0105
	v_mov_b32_e32 v53, 0
	v_mov_b32_e32 v52, 0
	v_lshl_or_b32 v55, v55, 16, v56
	v_mov_b32_e32 v56, 0
	v_perm_b32 v50, v58, v50, 0xc0c0105
	v_lshl_or_b32 v58, v59, 16, v67
	v_add_co_u32 v4, vcc_lo, 0x480, v4
	v_add_co_ci_u32_e64 v5, null, 0, v5, vcc_lo
	v_cmp_le_u32_e32 vcc_lo, s10, v8
	s_or_b32 s3, vcc_lo, s3
	s_waitcnt vmcnt(8)
	v_dot4c_i32_i8 v53, v55, v16
	v_lshl_or_b32 v16, v48, 16, v43
	v_cvt_f32_f16_e32 v15, v15
	v_dot4c_i32_i8 v53, v58, v17
	v_lshl_or_b32 v17, v50, 16, v45
	v_dot4c_i32_i8 v53, v16, v18
	s_waitcnt vmcnt(6)
	v_dot4c_i32_i8 v52, v55, v20
	v_cvt_f32_f16_e32 v19, v19
	v_dot4c_i32_i8 v52, v58, v21
	s_waitcnt vmcnt(4)
	v_dot4c_i32_i8 v56, v55, v24
	v_dot4c_i32_i8 v52, v16, v22
	v_cvt_f32_f16_e32 v20, v23
	v_cvt_f32_f16_e32 v24, v39
	v_dot4c_i32_i8 v56, v58, v25
	s_waitcnt vmcnt(3)
	v_dot4c_i32_i8 v53, v17, v27
	s_waitcnt vmcnt(2)
	v_dot4c_i32_i8 v52, v17, v31
	v_mul_f32_e32 v15, v24, v15
	v_dot4c_i32_i8 v56, v16, v26
	v_lshl_or_b32 v16, v47, 16, v46
	v_mul_f32_e32 v19, v24, v19
	v_mul_f32_e32 v20, v24, v20
	s_waitcnt vmcnt(1)
	v_dot4c_i32_i8 v56, v17, v35
	v_lshl_or_b32 v17, v40, 16, v49
	v_dot4c_i32_i8 v53, v16, v28
	v_dot4c_i32_i8 v52, v16, v32
	v_dot4c_i32_i8 v56, v16, v36
	v_lshl_or_b32 v16, v41, 16, v42
	v_dot4c_i32_i8 v53, v17, v29
	v_dot4c_i32_i8 v52, v17, v33
	;; [unrolled: 4-line block ×3, first 2 shown]
	v_dot4c_i32_i8 v56, v16, v38
	v_or_b32_e32 v16, 1, v65
	s_waitcnt vmcnt(0)
	v_dot4c_i32_i8 v53, v17, v51
	v_dot4c_i32_i8 v52, v17, v61
	;; [unrolled: 1-line block ×3, first 2 shown]
	v_mul_lo_u32 v17, v53, v16
	v_mul_lo_u32 v18, v52, v16
	v_mul_lo_u32 v16, v56, v16
	v_ashrrev_i32_e32 v21, 31, v17
	v_ashrrev_i32_e32 v22, 31, v18
	;; [unrolled: 1-line block ×3, first 2 shown]
	v_lshrrev_b32_e32 v21, 29, v21
	v_lshrrev_b32_e32 v22, 29, v22
	;; [unrolled: 1-line block ×3, first 2 shown]
	v_add_nc_u32_e32 v17, v17, v21
	v_add_nc_u32_e32 v18, v18, v22
	;; [unrolled: 1-line block ×3, first 2 shown]
	v_ashrrev_i32_e32 v17, 3, v17
	v_ashrrev_i32_e32 v18, 3, v18
	;; [unrolled: 1-line block ×3, first 2 shown]
	v_cvt_f32_i32_e32 v17, v17
	v_cvt_f32_i32_e32 v18, v18
	;; [unrolled: 1-line block ×3, first 2 shown]
	v_fmac_f32_e32 v9, v15, v17
	v_fmac_f32_e32 v7, v19, v18
	;; [unrolled: 1-line block ×3, first 2 shown]
	s_andn2_b32 exec_lo, exec_lo, s3
	s_cbranch_execnz .LBB162_2
; %bb.3:
	s_or_b32 exec_lo, exec_lo, s3
.LBB162_4:
	s_or_b32 exec_lo, exec_lo, s9
	s_mov_b32 s1, 0
	; wave barrier
	buffer_gl0_inv
	s_mov_b32 s0, exec_lo
	v_cmpx_eq_u32_e32 0, v1
	s_cbranch_execz .LBB162_11
; %bb.5:
	v_mbcnt_lo_u32_b32 v5, -1, 0
	s_load_dwordx2 s[4:5], s[4:5], 0x38
	s_mul_i32 s0, s14, s7
	s_mul_i32 s3, s18, s8
	s_add_i32 s0, s0, s6
	v_xor_b32_e32 v1, 16, v5
	v_xor_b32_e32 v2, 8, v5
	;; [unrolled: 1-line block ×3, first 2 shown]
	s_add_i32 s0, s0, s3
	s_lshl_b64 s[0:1], s[0:1], 2
	v_cmp_gt_i32_e32 vcc_lo, 32, v1
	v_cndmask_b32_e32 v1, v5, v1, vcc_lo
	v_cmp_gt_i32_e32 vcc_lo, 32, v2
	v_lshlrev_b32_e32 v1, 2, v1
	v_cndmask_b32_e32 v2, v5, v2, vcc_lo
	s_waitcnt lgkmcnt(0)
	s_add_u32 s0, s4, s0
	s_addc_u32 s1, s5, s1
	ds_bpermute_b32 v3, v1, v9
	v_lshlrev_b32_e32 v2, 2, v2
	s_waitcnt lgkmcnt(0)
	v_add_f32_e32 v4, v9, v3
	v_xor_b32_e32 v3, 4, v5
	ds_bpermute_b32 v8, v2, v4
	v_cmp_gt_i32_e32 vcc_lo, 32, v3
	v_cndmask_b32_e32 v3, v5, v3, vcc_lo
	v_lshlrev_b32_e32 v3, 2, v3
	s_waitcnt lgkmcnt(0)
	v_add_f32_e32 v8, v4, v8
	v_xor_b32_e32 v4, 2, v5
	ds_bpermute_b32 v9, v3, v8
	v_cmp_gt_i32_e32 vcc_lo, 32, v4
	v_cndmask_b32_e32 v4, v5, v4, vcc_lo
	v_cmp_gt_i32_e32 vcc_lo, 32, v10
	v_lshlrev_b32_e32 v4, 2, v4
	v_cndmask_b32_e32 v5, v5, v10, vcc_lo
	v_cmp_eq_u32_e32 vcc_lo, 0, v0
	v_lshlrev_b32_e32 v5, 2, v5
	s_waitcnt lgkmcnt(0)
	v_add_f32_e32 v8, v8, v9
	ds_bpermute_b32 v9, v4, v8
	s_waitcnt lgkmcnt(0)
	v_add_f32_e32 v8, v8, v9
	ds_bpermute_b32 v9, v5, v8
	s_and_saveexec_b32 s3, vcc_lo
	s_cbranch_execz .LBB162_7
; %bb.6:
	s_waitcnt lgkmcnt(0)
	v_add_f32_e32 v0, v8, v9
	v_mov_b32_e32 v8, 0
	global_store_dword v8, v0, s[0:1]
.LBB162_7:
	s_or_b32 exec_lo, exec_lo, s3
	ds_bpermute_b32 v0, v1, v7
	s_waitcnt lgkmcnt(0)
	v_add_f32_e32 v0, v7, v0
	ds_bpermute_b32 v7, v2, v0
	s_waitcnt lgkmcnt(0)
	v_add_f32_e32 v0, v0, v7
	;; [unrolled: 3-line block ×4, first 2 shown]
	ds_bpermute_b32 v7, v5, v0
	s_and_saveexec_b32 s4, vcc_lo
	s_cbranch_execz .LBB162_9
; %bb.8:
	s_mov_b32 s3, 0
	s_waitcnt lgkmcnt(0)
	v_add_f32_e32 v0, v0, v7
	s_lshl_b64 s[6:7], s[2:3], 2
	v_mov_b32_e32 v7, 0
	s_add_u32 s6, s0, s6
	s_addc_u32 s7, s1, s7
	global_store_dword v7, v0, s[6:7]
.LBB162_9:
	s_or_b32 exec_lo, exec_lo, s4
	ds_bpermute_b32 v0, v1, v6
	s_waitcnt lgkmcnt(0)
	v_add_f32_e32 v0, v6, v0
	ds_bpermute_b32 v1, v2, v0
	s_waitcnt lgkmcnt(0)
	v_add_f32_e32 v0, v0, v1
	;; [unrolled: 3-line block ×4, first 2 shown]
	ds_bpermute_b32 v1, v5, v0
	s_and_b32 exec_lo, exec_lo, vcc_lo
	s_cbranch_execz .LBB162_11
; %bb.10:
	s_lshl_b32 s2, s2, 1
	s_mov_b32 s3, 0
	s_waitcnt lgkmcnt(0)
	v_add_f32_e32 v0, v0, v1
	s_lshl_b64 s[2:3], s[2:3], 2
	v_mov_b32_e32 v1, 0
	s_add_u32 s0, s0, s2
	s_addc_u32 s1, s1, s3
	global_store_dword v1, v0, s[0:1]
.LBB162_11:
	s_endpgm
	.section	.rodata,"a",@progbits
	.p2align	6, 0x0
	.amdhsa_kernel _ZL13mul_mat_vec_qIL9ggml_type16ELi3ELb0ELb0EEvPKvS2_PKi31ggml_cuda_mm_fusion_args_devicePfj15HIP_vector_typeIjLj3EEjjjS8_jjjS8_jjjj
		.amdhsa_group_segment_fixed_size 0
		.amdhsa_private_segment_fixed_size 0
		.amdhsa_kernarg_size 144
		.amdhsa_user_sgpr_count 6
		.amdhsa_user_sgpr_private_segment_buffer 1
		.amdhsa_user_sgpr_dispatch_ptr 0
		.amdhsa_user_sgpr_queue_ptr 0
		.amdhsa_user_sgpr_kernarg_segment_ptr 1
		.amdhsa_user_sgpr_dispatch_id 0
		.amdhsa_user_sgpr_flat_scratch_init 0
		.amdhsa_user_sgpr_private_segment_size 0
		.amdhsa_wavefront_size32 1
		.amdhsa_uses_dynamic_stack 0
		.amdhsa_system_sgpr_private_segment_wavefront_offset 0
		.amdhsa_system_sgpr_workgroup_id_x 1
		.amdhsa_system_sgpr_workgroup_id_y 1
		.amdhsa_system_sgpr_workgroup_id_z 1
		.amdhsa_system_sgpr_workgroup_info 0
		.amdhsa_system_vgpr_workitem_id 1
		.amdhsa_next_free_vgpr 68
		.amdhsa_next_free_sgpr 28
		.amdhsa_reserve_vcc 1
		.amdhsa_reserve_flat_scratch 0
		.amdhsa_float_round_mode_32 0
		.amdhsa_float_round_mode_16_64 0
		.amdhsa_float_denorm_mode_32 3
		.amdhsa_float_denorm_mode_16_64 3
		.amdhsa_dx10_clamp 1
		.amdhsa_ieee_mode 1
		.amdhsa_fp16_overflow 0
		.amdhsa_workgroup_processor_mode 1
		.amdhsa_memory_ordered 1
		.amdhsa_forward_progress 1
		.amdhsa_shared_vgpr_count 0
		.amdhsa_exception_fp_ieee_invalid_op 0
		.amdhsa_exception_fp_denorm_src 0
		.amdhsa_exception_fp_ieee_div_zero 0
		.amdhsa_exception_fp_ieee_overflow 0
		.amdhsa_exception_fp_ieee_underflow 0
		.amdhsa_exception_fp_ieee_inexact 0
		.amdhsa_exception_int_div_zero 0
	.end_amdhsa_kernel
	.section	.text._ZL13mul_mat_vec_qIL9ggml_type16ELi3ELb0ELb0EEvPKvS2_PKi31ggml_cuda_mm_fusion_args_devicePfj15HIP_vector_typeIjLj3EEjjjS8_jjjS8_jjjj,"axG",@progbits,_ZL13mul_mat_vec_qIL9ggml_type16ELi3ELb0ELb0EEvPKvS2_PKi31ggml_cuda_mm_fusion_args_devicePfj15HIP_vector_typeIjLj3EEjjjS8_jjjS8_jjjj,comdat
.Lfunc_end162:
	.size	_ZL13mul_mat_vec_qIL9ggml_type16ELi3ELb0ELb0EEvPKvS2_PKi31ggml_cuda_mm_fusion_args_devicePfj15HIP_vector_typeIjLj3EEjjjS8_jjjS8_jjjj, .Lfunc_end162-_ZL13mul_mat_vec_qIL9ggml_type16ELi3ELb0ELb0EEvPKvS2_PKi31ggml_cuda_mm_fusion_args_devicePfj15HIP_vector_typeIjLj3EEjjjS8_jjjS8_jjjj
                                        ; -- End function
	.set _ZL13mul_mat_vec_qIL9ggml_type16ELi3ELb0ELb0EEvPKvS2_PKi31ggml_cuda_mm_fusion_args_devicePfj15HIP_vector_typeIjLj3EEjjjS8_jjjS8_jjjj.num_vgpr, 68
	.set _ZL13mul_mat_vec_qIL9ggml_type16ELi3ELb0ELb0EEvPKvS2_PKi31ggml_cuda_mm_fusion_args_devicePfj15HIP_vector_typeIjLj3EEjjjS8_jjjS8_jjjj.num_agpr, 0
	.set _ZL13mul_mat_vec_qIL9ggml_type16ELi3ELb0ELb0EEvPKvS2_PKi31ggml_cuda_mm_fusion_args_devicePfj15HIP_vector_typeIjLj3EEjjjS8_jjjS8_jjjj.numbered_sgpr, 28
	.set _ZL13mul_mat_vec_qIL9ggml_type16ELi3ELb0ELb0EEvPKvS2_PKi31ggml_cuda_mm_fusion_args_devicePfj15HIP_vector_typeIjLj3EEjjjS8_jjjS8_jjjj.num_named_barrier, 0
	.set _ZL13mul_mat_vec_qIL9ggml_type16ELi3ELb0ELb0EEvPKvS2_PKi31ggml_cuda_mm_fusion_args_devicePfj15HIP_vector_typeIjLj3EEjjjS8_jjjS8_jjjj.private_seg_size, 0
	.set _ZL13mul_mat_vec_qIL9ggml_type16ELi3ELb0ELb0EEvPKvS2_PKi31ggml_cuda_mm_fusion_args_devicePfj15HIP_vector_typeIjLj3EEjjjS8_jjjS8_jjjj.uses_vcc, 1
	.set _ZL13mul_mat_vec_qIL9ggml_type16ELi3ELb0ELb0EEvPKvS2_PKi31ggml_cuda_mm_fusion_args_devicePfj15HIP_vector_typeIjLj3EEjjjS8_jjjS8_jjjj.uses_flat_scratch, 0
	.set _ZL13mul_mat_vec_qIL9ggml_type16ELi3ELb0ELb0EEvPKvS2_PKi31ggml_cuda_mm_fusion_args_devicePfj15HIP_vector_typeIjLj3EEjjjS8_jjjS8_jjjj.has_dyn_sized_stack, 0
	.set _ZL13mul_mat_vec_qIL9ggml_type16ELi3ELb0ELb0EEvPKvS2_PKi31ggml_cuda_mm_fusion_args_devicePfj15HIP_vector_typeIjLj3EEjjjS8_jjjS8_jjjj.has_recursion, 0
	.set _ZL13mul_mat_vec_qIL9ggml_type16ELi3ELb0ELb0EEvPKvS2_PKi31ggml_cuda_mm_fusion_args_devicePfj15HIP_vector_typeIjLj3EEjjjS8_jjjS8_jjjj.has_indirect_call, 0
	.section	.AMDGPU.csdata,"",@progbits
; Kernel info:
; codeLenInByte = 3352
; TotalNumSgprs: 30
; NumVgprs: 68
; ScratchSize: 0
; MemoryBound: 0
; FloatMode: 240
; IeeeMode: 1
; LDSByteSize: 0 bytes/workgroup (compile time only)
; SGPRBlocks: 0
; VGPRBlocks: 8
; NumSGPRsForWavesPerEU: 30
; NumVGPRsForWavesPerEU: 68
; Occupancy: 12
; WaveLimiterHint : 0
; COMPUTE_PGM_RSRC2:SCRATCH_EN: 0
; COMPUTE_PGM_RSRC2:USER_SGPR: 6
; COMPUTE_PGM_RSRC2:TRAP_HANDLER: 0
; COMPUTE_PGM_RSRC2:TGID_X_EN: 1
; COMPUTE_PGM_RSRC2:TGID_Y_EN: 1
; COMPUTE_PGM_RSRC2:TGID_Z_EN: 1
; COMPUTE_PGM_RSRC2:TIDIG_COMP_CNT: 1
	.section	.text._ZL13mul_mat_vec_qIL9ggml_type16ELi4ELb0ELb0EEvPKvS2_PKi31ggml_cuda_mm_fusion_args_devicePfj15HIP_vector_typeIjLj3EEjjjS8_jjjS8_jjjj,"axG",@progbits,_ZL13mul_mat_vec_qIL9ggml_type16ELi4ELb0ELb0EEvPKvS2_PKi31ggml_cuda_mm_fusion_args_devicePfj15HIP_vector_typeIjLj3EEjjjS8_jjjS8_jjjj,comdat
	.globl	_ZL13mul_mat_vec_qIL9ggml_type16ELi4ELb0ELb0EEvPKvS2_PKi31ggml_cuda_mm_fusion_args_devicePfj15HIP_vector_typeIjLj3EEjjjS8_jjjS8_jjjj ; -- Begin function _ZL13mul_mat_vec_qIL9ggml_type16ELi4ELb0ELb0EEvPKvS2_PKi31ggml_cuda_mm_fusion_args_devicePfj15HIP_vector_typeIjLj3EEjjjS8_jjjS8_jjjj
	.p2align	8
	.type	_ZL13mul_mat_vec_qIL9ggml_type16ELi4ELb0ELb0EEvPKvS2_PKi31ggml_cuda_mm_fusion_args_devicePfj15HIP_vector_typeIjLj3EEjjjS8_jjjS8_jjjj,@function
_ZL13mul_mat_vec_qIL9ggml_type16ELi4ELb0ELb0EEvPKvS2_PKi31ggml_cuda_mm_fusion_args_devicePfj15HIP_vector_typeIjLj3EEjjjS8_jjjS8_jjjj: ; @_ZL13mul_mat_vec_qIL9ggml_type16ELi4ELb0ELb0EEvPKvS2_PKi31ggml_cuda_mm_fusion_args_devicePfj15HIP_vector_typeIjLj3EEjjjS8_jjjS8_jjjj
; %bb.0:
	s_clause 0x5
	s_load_dword s9, s[4:5], 0x40
	s_load_dwordx4 s[0:3], s[4:5], 0x50
	s_load_dword s24, s[4:5], 0x60
	s_load_dwordx4 s[12:15], s[4:5], 0x68
	;; [unrolled: 2-line block ×3, first 2 shown]
	v_lshl_or_b32 v2, v1, 5, v0
	v_mov_b32_e32 v7, 0
	v_mov_b32_e32 v8, 0
	;; [unrolled: 1-line block ×4, first 2 shown]
	v_lshrrev_b32_e32 v10, 3, v2
	s_waitcnt lgkmcnt(0)
	s_lshr_b32 s10, s9, 8
	s_mov_b32 s9, exec_lo
	v_cmpx_gt_u32_e64 s10, v10
	s_cbranch_execz .LBB163_4
; %bb.1:
	s_mul_i32 s13, s13, s7
	s_load_dwordx4 s[20:23], s[4:5], 0x0
	s_mul_hi_u32 s27, s13, 36
	s_mul_i32 s26, s13, 36
	s_mul_i32 s17, s17, s8
	v_mad_u64_u32 v[2:3], null, 0x120, v10, s[26:27]
	v_and_b32_e32 v5, 7, v0
	s_mul_hi_u32 s3, s3, s7
	s_mul_hi_u32 s15, s15, s8
	v_lshlrev_b32_e32 v4, 1, v0
	s_add_i32 s3, s7, s3
	s_add_i32 s15, s8, s15
	v_mad_u64_u32 v[2:3], null, s17, 36, v[2:3]
	s_mul_i32 s25, s17, 36
	s_lshr_b32 s3, s3, s24
	s_mul_hi_u32 s19, s17, 36
	s_lshr_b32 s11, s15, s11
	v_and_b32_e32 v4, 14, v4
	s_mul_i32 s3, s3, s12
	v_mad_u64_u32 v[7:8], null, v5, 36, v[2:3]
	s_waitcnt lgkmcnt(0)
	s_add_u32 s12, s22, s25
	v_lshlrev_b32_e32 v6, 3, v10
	s_addc_u32 s13, s23, s19
	s_add_u32 s12, s12, s26
	s_addc_u32 s13, s13, s27
	v_lshlrev_b32_e32 v9, 1, v4
	v_mad_u64_u32 v[2:3], null, v5, 36, s[12:13]
	v_mad_u64_u32 v[4:5], null, s1, 3, v[6:7]
	v_add_co_u32 v5, vcc_lo, s22, v7
	v_add_co_ci_u32_e64 v7, null, s23, v8, vcc_lo
	s_mul_i32 s0, s0, s6
	v_add_co_u32 v5, vcc_lo, v5, 16
	v_mov_b32_e32 v12, 0
	v_add_nc_u32_e32 v13, s1, v6
	v_lshl_add_u32 v14, s1, 1, v6
	v_add_co_ci_u32_e64 v6, null, 0, v7, vcc_lo
	v_lshlrev_b32_e32 v15, 1, v9
	v_mov_b32_e32 v16, 3
	v_mov_b32_e32 v7, 0
	;; [unrolled: 1-line block ×5, first 2 shown]
	s_mul_i32 s11, s11, s16
	s_add_i32 s3, s3, s0
	s_add_i32 s11, s11, s3
	s_mov_b32 s3, 0
.LBB163_2:                              ; =>This Inner Loop Header: Depth=1
	v_add_nc_u32_e32 v17, s11, v10
	s_getpc_b64 s[0:1]
	s_add_u32 s0, s0, _ZL11iq2xxs_grid@rel32@lo+4
	s_addc_u32 s1, s1, _ZL11iq2xxs_grid@rel32@hi+12
	v_add_nc_u32_e32 v10, 4, v10
	v_mad_i64_i32 v[17:18], null, 0x42, v17, s[20:21]
	v_add_co_u32 v19, vcc_lo, v17, v15
	v_add_co_ci_u32_e64 v20, null, 0, v18, vcc_lo
	s_clause 0x1
	global_load_dwordx2 v[19:20], v[19:20], off offset:2
	global_load_ushort v47, v[17:18], off
	s_waitcnt vmcnt(1)
	v_lshlrev_b32_sdwa v17, v16, v19 dst_sel:DWORD dst_unused:UNUSED_PAD src0_sel:DWORD src1_sel:BYTE_0
	v_lshlrev_b32_sdwa v21, v16, v19 dst_sel:DWORD dst_unused:UNUSED_PAD src0_sel:DWORD src1_sel:BYTE_1
	v_lshlrev_b32_sdwa v22, v16, v19 dst_sel:DWORD dst_unused:UNUSED_PAD src0_sel:DWORD src1_sel:BYTE_2
	v_lshlrev_b32_sdwa v23, v16, v19 dst_sel:DWORD dst_unused:UNUSED_PAD src0_sel:DWORD src1_sel:BYTE_3
	v_and_b32_e32 v25, 0xff, v20
	v_bfe_u32 v26, v20, 7, 8
	v_bfe_u32 v27, v20, 14, 8
	;; [unrolled: 1-line block ×3, first 2 shown]
	v_lshrrev_b32_e32 v48, 27, v20
	s_clause 0x3
	global_load_dwordx2 v[17:18], v17, s[0:1]
	global_load_dwordx2 v[19:20], v21, s[0:1]
	;; [unrolled: 1-line block ×4, first 2 shown]
	v_bcnt_u32_b32 v29, v25, 0
	v_bcnt_u32_b32 v30, v26, 0
	;; [unrolled: 1-line block ×4, first 2 shown]
	v_and_b32_e32 v29, 1, v29
	v_and_b32_e32 v30, 1, v30
	;; [unrolled: 1-line block ×4, first 2 shown]
	v_lshlrev_b32_e32 v29, 7, v29
	v_lshlrev_b32_e32 v30, 7, v30
	v_lshlrev_b32_e32 v32, 7, v32
	v_lshlrev_b32_e32 v31, 7, v31
	v_xor_b32_e32 v25, v29, v25
	v_xor_b32_e32 v26, v30, v26
	;; [unrolled: 1-line block ×4, first 2 shown]
	v_mul_lo_u32 v25, 0x1010101, v25
	v_mul_lo_u32 v26, 0x1010101, v26
	;; [unrolled: 1-line block ×4, first 2 shown]
	v_and_b32_e32 v29, 0x8040201, v25
	v_and_b32_e32 v32, 0x80402010, v25
	;; [unrolled: 1-line block ×4, first 2 shown]
	v_lshrrev_b32_e32 v30, 18, v25
	v_cmp_ne_u16_sdwa s0, v29, v12 src0_sel:BYTE_1 src1_sel:DWORD
	v_lshrrev_b16 v46, 4, v32
	v_bfe_i32 v31, v25, 0, 1
	v_lshrrev_b32_e32 v25, 22, v25
	v_and_b32_e32 v37, 0x8040201, v27
	v_cndmask_b32_e64 v45, 0, -1, s0
	v_cmp_ne_u16_sdwa s0, v29, v12 src0_sel:BYTE_3 src1_sel:DWORD
	v_bfe_i32 v30, v30, 0, 1
	v_bfe_i32 v25, v25, 0, 1
	v_lshrrev_b16 v51, 4, v36
	v_lshlrev_b16 v45, 8, v45
	v_cndmask_b32_e64 v29, 0, -1, s0
	v_cmp_ne_u16_sdwa s0, v32, v12 src0_sel:BYTE_1 src1_sel:DWORD
	v_bfe_i32 v46, v46, 0, 1
	v_lshrrev_b32_e32 v34, 18, v26
	v_or_b32_sdwa v58, v31, v45 dst_sel:DWORD dst_unused:UNUSED_PAD src0_sel:BYTE_0 src1_sel:DWORD
	v_lshlrev_b16 v29, 8, v29
	v_cndmask_b32_e64 v49, 0, -1, s0
	v_cmp_ne_u16_sdwa s0, v32, v12 src0_sel:BYTE_3 src1_sel:DWORD
	v_and_b32_e32 v40, 0x80402010, v27
	v_bfe_i32 v35, v26, 0, 1
	v_or_b32_sdwa v59, v30, v29 dst_sel:WORD_1 dst_unused:UNUSED_PAD src0_sel:BYTE_0 src1_sel:DWORD
	v_lshlrev_b16 v49, 8, v49
	v_cndmask_b32_e64 v32, 0, -1, s0
	v_cmp_ne_u16_sdwa s0, v33, v12 src0_sel:BYTE_1 src1_sel:DWORD
	v_lshrrev_b32_e32 v26, 22, v26
	v_or_b32_sdwa v58, v58, v59 dst_sel:DWORD dst_unused:UNUSED_PAD src0_sel:WORD_0 src1_sel:DWORD
	v_or_b32_sdwa v60, v46, v49 dst_sel:DWORD dst_unused:UNUSED_PAD src0_sel:BYTE_0 src1_sel:DWORD
	v_lshlrev_b16 v32, 8, v32
	v_cndmask_b32_e64 v50, 0, -1, s0
	v_cmp_ne_u16_sdwa s0, v33, v12 src0_sel:BYTE_3 src1_sel:DWORD
	v_bfe_i32 v34, v34, 0, 1
	v_lshrrev_b32_e32 v38, 18, v27
	v_or_b32_sdwa v59, v25, v32 dst_sel:WORD_1 dst_unused:UNUSED_PAD src0_sel:BYTE_0 src1_sel:DWORD
	v_lshlrev_b16 v50, 8, v50
	v_cndmask_b32_e64 v33, 0, -1, s0
	v_cmp_ne_u16_sdwa s0, v36, v12 src0_sel:BYTE_1 src1_sel:DWORD
	v_and_b32_e32 v41, 0x8040201, v28
	v_or_b32_sdwa v59, v60, v59 dst_sel:DWORD dst_unused:UNUSED_PAD src0_sel:WORD_0 src1_sel:DWORD
	v_bfe_i32 v26, v26, 0, 1
	v_lshlrev_b16 v33, 8, v33
	v_cndmask_b32_e64 v52, 0, -1, s0
	v_cmp_ne_u16_sdwa s0, v36, v12 src0_sel:BYTE_3 src1_sel:DWORD
	v_bfe_i32 v51, v51, 0, 1
	v_or_b32_sdwa v60, v35, v50 dst_sel:DWORD dst_unused:UNUSED_PAD src0_sel:BYTE_0 src1_sel:DWORD
	v_bfe_i32 v39, v27, 0, 1
	v_lshlrev_b16 v52, 8, v52
	v_cndmask_b32_e64 v36, 0, -1, s0
	v_cmp_ne_u16_sdwa s0, v37, v12 src0_sel:BYTE_1 src1_sel:DWORD
	v_lshrrev_b32_e32 v27, 22, v27
	v_bfe_i32 v54, v38, 0, 1
	v_lshrrev_b16 v38, 4, v40
	v_lshlrev_b16 v36, 8, v36
	v_cndmask_b32_e64 v53, 0, -1, s0
	v_cmp_ne_u16_sdwa s0, v37, v12 src0_sel:BYTE_3 src1_sel:DWORD
	v_and_b32_e32 v44, 0x80402010, v28
	v_bfe_i32 v27, v27, 0, 1
	v_bfe_i32 v38, v38, 0, 1
	v_lshlrev_b16 v53, 8, v53
	v_cndmask_b32_e64 v37, 0, -1, s0
	v_cmp_ne_u16_sdwa s0, v40, v12 src0_sel:BYTE_1 src1_sel:DWORD
	v_lshrrev_b32_e32 v42, 18, v28
	v_cmp_ne_u16_sdwa s1, v44, v12 src0_sel:BYTE_1 src1_sel:DWORD
	v_bfe_i32 v43, v28, 0, 1
	v_lshlrev_b16 v37, 8, v37
	v_cndmask_b32_e64 v55, 0, -1, s0
	v_cmp_ne_u16_sdwa s0, v40, v12 src0_sel:BYTE_3 src1_sel:DWORD
	v_lshrrev_b32_e32 v28, 22, v28
	v_bfe_i32 v42, v42, 0, 1
	v_lshrrev_b16 v57, 4, v44
	v_lshlrev_b16 v55, 8, v55
	v_cndmask_b32_e64 v40, 0, -1, s0
	v_cmp_ne_u16_sdwa s0, v41, v12 src0_sel:BYTE_1 src1_sel:DWORD
	v_bfe_i32 v28, v28, 0, 1
	v_bfe_i32 v57, v57, 0, 1
	v_lshlrev_b16 v30, 8, v30
	v_lshlrev_b16 v40, 8, v40
	v_cndmask_b32_e64 v56, 0, -1, s0
	v_cmp_ne_u16_sdwa s0, v41, v12 src0_sel:BYTE_3 src1_sel:DWORD
	v_lshlrev_b16 v56, 8, v56
	v_cndmask_b32_e64 v41, 0, -1, s0
	v_cmp_ne_u16_sdwa s0, v44, v12 src0_sel:BYTE_3 src1_sel:DWORD
	v_cndmask_b32_e64 v44, 0, -1, s1
	v_lshlrev_b16 v41, 8, v41
	v_lshlrev_b16 v44, 8, v44
	s_waitcnt vmcnt(3)
	v_xor_b32_e32 v17, v17, v58
	v_xor_b32_e32 v58, v18, v59
	v_or_b32_sdwa v18, v34, v33 dst_sel:WORD_1 dst_unused:UNUSED_PAD src0_sel:BYTE_0 src1_sel:DWORD
	v_or_b32_sdwa v59, v51, v52 dst_sel:DWORD dst_unused:UNUSED_PAD src0_sel:BYTE_0 src1_sel:DWORD
	v_or_b32_sdwa v18, v60, v18 dst_sel:DWORD dst_unused:UNUSED_PAD src0_sel:WORD_0 src1_sel:DWORD
	v_or_b32_sdwa v60, v26, v36 dst_sel:WORD_1 dst_unused:UNUSED_PAD src0_sel:BYTE_0 src1_sel:DWORD
	v_lshlrev_b16 v26, 8, v26
	s_waitcnt vmcnt(2)
	v_xor_b32_e32 v61, v19, v18
	v_or_b32_sdwa v59, v59, v60 dst_sel:DWORD dst_unused:UNUSED_PAD src0_sel:WORD_0 src1_sel:DWORD
	v_or_b32_sdwa v60, v39, v53 dst_sel:DWORD dst_unused:UNUSED_PAD src0_sel:BYTE_0 src1_sel:DWORD
	v_or_b32_sdwa v18, v54, v37 dst_sel:WORD_1 dst_unused:UNUSED_PAD src0_sel:BYTE_0 src1_sel:DWORD
	v_or_b32_sdwa v19, v38, v55 dst_sel:DWORD dst_unused:UNUSED_PAD src0_sel:BYTE_0 src1_sel:DWORD
	v_lshlrev_b16 v38, 8, v38
	v_xor_b32_e32 v59, v20, v59
	v_or_b32_sdwa v20, v27, v40 dst_sel:WORD_1 dst_unused:UNUSED_PAD src0_sel:BYTE_0 src1_sel:DWORD
	v_or_b32_sdwa v18, v60, v18 dst_sel:DWORD dst_unused:UNUSED_PAD src0_sel:WORD_0 src1_sel:DWORD
	v_lshlrev_b16 v27, 8, v27
	v_or_b32_sdwa v19, v19, v20 dst_sel:DWORD dst_unused:UNUSED_PAD src0_sel:WORD_0 src1_sel:DWORD
	v_cndmask_b32_e64 v20, 0, -1, s0
	s_waitcnt vmcnt(1)
	v_xor_b32_e32 v62, v21, v18
	v_or_b32_sdwa v18, v43, v56 dst_sel:DWORD dst_unused:UNUSED_PAD src0_sel:BYTE_0 src1_sel:DWORD
	v_lshlrev_b16 v21, 8, v35
	v_xor_b32_e32 v63, v22, v19
	v_lshlrev_b16 v60, 8, v20
	v_or_b32_sdwa v19, v42, v41 dst_sel:WORD_1 dst_unused:UNUSED_PAD src0_sel:BYTE_0 src1_sel:DWORD
	v_lshlrev_b16 v35, 8, v46
	v_lshlrev_b16 v22, 8, v39
	;; [unrolled: 1-line block ×3, first 2 shown]
	v_or_b32_sdwa v20, v28, v60 dst_sel:WORD_1 dst_unused:UNUSED_PAD src0_sel:BYTE_0 src1_sel:DWORD
	v_or_b32_sdwa v18, v18, v19 dst_sel:DWORD dst_unused:UNUSED_PAD src0_sel:WORD_0 src1_sel:DWORD
	v_or_b32_sdwa v19, v57, v44 dst_sel:DWORD dst_unused:UNUSED_PAD src0_sel:BYTE_0 src1_sel:DWORD
	v_and_b32_e32 v46, 0xffffff00, v62
	s_waitcnt vmcnt(0)
	v_xor_b32_e32 v51, v23, v18
	v_or_b32_sdwa v19, v19, v20 dst_sel:DWORD dst_unused:UNUSED_PAD src0_sel:WORD_0 src1_sel:DWORD
	v_lshlrev_b16 v20, 8, v31
	v_lshlrev_b16 v31, 8, v43
	;; [unrolled: 1-line block ×3, first 2 shown]
	v_and_b32_e32 v18, 0xffffff00, v17
	v_xor_b32_e32 v57, v24, v19
	v_lshlrev_b16 v19, 8, v17
	v_and_b32_e32 v24, 0xffffff00, v61
	v_sub_nc_i16 v46, v46, v53 clamp
	v_lshrrev_b32_e32 v17, 16, v17
	v_and_b32_e32 v23, 0xffffff00, v58
	v_sub_nc_i16 v19, v19, v20 clamp
	v_lshlrev_b16 v20, 8, v58
	v_sub_nc_i16 v24, v24, v50 clamp
	v_sub_nc_i16 v18, v18, v45 clamp
	;; [unrolled: 1-line block ×3, first 2 shown]
	v_and_b32_e32 v45, 0xffffff00, v59
	v_sub_nc_i16 v35, v20, v35 clamp
	v_lshlrev_b16 v20, 8, v61
	v_and_b32_e32 v49, 0xffffff00, v63
	v_sub_nc_i16 v45, v45, v52 clamp
	v_perm_b32 v35, v35, v23, 0xc0c0105
	v_sub_nc_i16 v21, v20, v21 clamp
	v_lshlrev_b16 v20, 8, v59
	v_sub_nc_i16 v49, v49, v55 clamp
	v_perm_b32 v55, v19, v18, 0xc0c0105
	v_sub_nc_i16 v39, v20, v39 clamp
	v_lshlrev_b16 v20, 8, v62
	v_perm_b32 v39, v39, v45, 0xc0c0105
	v_sub_nc_i16 v50, v20, v22 clamp
	v_and_b32_e32 v22, 0xffffff00, v51
	v_lshlrev_b16 v20, 8, v63
	v_perm_b32 v50, v50, v46, 0xc0c0105
	v_sub_nc_i16 v53, v22, v56 clamp
	v_and_b32_e32 v22, 0xffffff00, v57
	v_sub_nc_i16 v52, v20, v38 clamp
	v_lshrrev_b32_e32 v38, 16, v61
	v_lshlrev_b16 v46, 8, v54
	v_lshlrev_b16 v20, 8, v51
	v_sub_nc_i16 v44, v22, v44 clamp
	v_and_b32_e32 v22, 0xffffff00, v17
	v_perm_b32 v49, v52, v49, 0xc0c0105
	v_lshlrev_b16 v17, 8, v17
	v_sub_nc_i16 v31, v20, v31 clamp
	v_lshlrev_b16 v20, 8, v57
	v_sub_nc_i16 v29, v22, v29 clamp
	v_lshlrev_b16 v22, 8, v25
	v_lshlrev_b16 v25, 8, v34
	v_lshrrev_b32_e32 v34, 16, v58
	v_sub_nc_i16 v43, v20, v43 clamp
	v_sub_nc_i16 v30, v17, v30 clamp
	global_load_dwordx4 v[17:20], v[5:6], off offset:-16
	v_lshrrev_b32_e32 v57, 16, v57
	v_and_b32_e32 v23, 0xffffff00, v34
	v_lshlrev_b16 v34, 8, v34
	v_perm_b32 v43, v43, v44, 0xc0c0105
	v_perm_b32 v56, v21, v24, 0xc0c0105
	v_mov_b32_e32 v58, 0
	v_sub_nc_i16 v32, v23, v32 clamp
	v_and_b32_e32 v23, 0xffffff00, v38
	v_lshlrev_b16 v38, 8, v38
	v_sub_nc_i16 v34, v34, v22 clamp
	v_mov_b32_e32 v61, 0
	v_sub_nc_i16 v33, v23, v33 clamp
	v_sub_nc_i16 v25, v38, v25 clamp
	v_lshrrev_b32_e32 v38, 16, v59
	global_load_dwordx4 v[21:24], v[5:6], off
	v_perm_b32 v34, v34, v32, 0xc0c0105
	v_perm_b32 v33, v25, v33, 0xc0c0105
	v_and_b32_e32 v45, 0xffffff00, v38
	v_lshlrev_b16 v38, 8, v38
	v_lshl_or_b32 v56, v33, 16, v56
	v_sub_nc_i16 v36, v45, v36 clamp
	v_lshrrev_b32_e32 v45, 16, v62
	v_sub_nc_i16 v26, v38, v26 clamp
	v_and_b32_e32 v38, 0xffffff00, v45
	v_lshlrev_b16 v45, 8, v45
	v_perm_b32 v36, v26, v36, 0xc0c0105
	v_sub_nc_i16 v59, v38, v37 clamp
	v_sub_nc_i16 v54, v45, v46 clamp
	v_lshrrev_b32_e32 v45, 16, v63
	v_mad_u64_u32 v[37:38], null, v13, 36, v[2:3]
	v_perm_b32 v63, v30, v29, 0xc0c0105
	v_perm_b32 v54, v54, v59, 0xc0c0105
	v_and_b32_e32 v46, 0xffffff00, v45
	v_lshlrev_b16 v45, 8, v45
	v_lshl_or_b32 v59, v36, 16, v39
	v_lshl_or_b32 v55, v63, 16, v55
	;; [unrolled: 1-line block ×3, first 2 shown]
	v_sub_nc_i16 v40, v46, v40 clamp
	v_sub_nc_i16 v52, v45, v27 clamp
	v_lshrrev_b32_e32 v27, 16, v51
	v_perm_b32 v51, v31, v53, 0xc0c0105
	v_mad_u64_u32 v[45:46], null, v14, 36, v[2:3]
	v_perm_b32 v40, v52, v40, 0xc0c0105
	v_and_b32_e32 v31, 0xffffff00, v27
	v_lshlrev_b16 v27, 8, v27
	global_load_dword v54, v[37:38], off offset:32
	v_mov_b32_e32 v53, 0
	v_lshl_or_b32 v49, v40, 16, v49
	v_sub_nc_i16 v31, v31, v41 clamp
	v_lshlrev_b16 v41, 8, v42
	v_add_nc_u32_e32 v13, 32, v13
	v_add_nc_u32_e32 v14, 32, v14
	v_sub_nc_i16 v62, v27, v41 clamp
	v_and_b32_e32 v27, 0xffffff00, v57
	v_mad_u64_u32 v[41:42], null, v4, 36, v[2:3]
	v_add_nc_u32_e32 v4, 32, v4
	v_perm_b32 v52, v62, v31, 0xc0c0105
	v_sub_nc_i16 v44, v27, v60 clamp
	v_lshlrev_b16 v27, 8, v28
	v_lshlrev_b16 v28, 8, v57
	s_clause 0x1
	global_load_dwordx4 v[29:32], v[45:46], off
	global_load_dword v62, v[41:42], off offset:32
	v_lshl_or_b32 v51, v52, 16, v51
	v_mov_b32_e32 v60, 0
	v_sub_nc_i16 v57, v28, v27 clamp
	s_clause 0x1
	global_load_dwordx4 v[25:28], v[37:38], off
	global_load_dwordx4 v[37:40], v[37:38], off offset:16
	v_perm_b32 v44, v57, v44, 0xc0c0105
	v_lshl_or_b32 v57, v34, 16, v35
	global_load_dwordx4 v[33:36], v[41:42], off
	v_lshl_or_b32 v52, v44, 16, v43
	global_load_dwordx4 v[41:44], v[41:42], off offset:16
	s_waitcnt vmcnt(8)
	v_dot4c_i32_i8 v58, v55, v18
	v_cvt_f32_f16_e32 v17, v17
	v_dot4c_i32_i8 v58, v57, v19
	v_dot4c_i32_i8 v58, v56, v20
	s_waitcnt vmcnt(7)
	v_dot4c_i32_i8 v58, v59, v21
	global_load_dwordx4 v[18:21], v[45:46], off offset:16
	v_dot4c_i32_i8 v58, v50, v22
	v_dot4c_i32_i8 v58, v49, v23
	;; [unrolled: 1-line block ×3, first 2 shown]
	s_waitcnt vmcnt(6)
	v_dot4c_i32_i8 v53, v55, v30
	v_cvt_f32_f16_e32 v23, v29
	s_waitcnt vmcnt(4)
	v_dot4c_i32_i8 v61, v55, v26
	global_load_dword v26, v[45:46], off offset:32
	v_dot4c_i32_i8 v53, v57, v31
	v_cvt_f32_f16_e32 v22, v25
	v_cvt_f32_f16_e32 v25, v47
	v_dot4c_i32_i8 v61, v57, v27
	s_waitcnt vmcnt(3)
	v_dot4c_i32_i8 v60, v55, v34
	v_dot4c_i32_i8 v53, v56, v32
	v_cvt_f32_f16_e32 v24, v33
	v_mul_f32_e32 v17, v25, v17
	v_dot4c_i32_i8 v61, v56, v28
	v_dot4c_i32_i8 v60, v57, v35
	v_mul_f32_e32 v22, v25, v22
	v_mul_f32_e32 v23, v25, v23
	v_mul_f32_e32 v24, v25, v24
	v_dot4c_i32_i8 v61, v59, v37
	v_dot4c_i32_i8 v60, v56, v36
	;; [unrolled: 1-line block ×3, first 2 shown]
	s_waitcnt vmcnt(2)
	v_dot4c_i32_i8 v60, v59, v41
	v_dot4c_i32_i8 v61, v49, v39
	;; [unrolled: 1-line block ×8, first 2 shown]
	s_waitcnt vmcnt(1)
	v_dot4c_i32_i8 v53, v59, v18
	global_load_dword v18, v[5:6], off offset:16
	v_add_co_u32 v5, vcc_lo, 0x480, v5
	v_add_co_ci_u32_e64 v6, null, 0, v6, vcc_lo
	v_cmp_le_u32_e32 vcc_lo, s10, v10
	v_dot4c_i32_i8 v53, v50, v19
	v_or_b32_e32 v19, 1, v48
	s_or_b32 s3, vcc_lo, s3
	v_dot4c_i32_i8 v53, v49, v20
	v_mul_lo_u32 v20, v61, v19
	v_dot4c_i32_i8 v53, v51, v21
	v_ashrrev_i32_e32 v27, 31, v20
	v_lshrrev_b32_e32 v27, 29, v27
	v_add_nc_u32_e32 v20, v20, v27
	v_ashrrev_i32_e32 v20, 3, v20
	v_cvt_f32_i32_e32 v20, v20
	v_fmac_f32_e32 v9, v22, v20
	s_waitcnt vmcnt(1)
	v_dot4c_i32_i8 v53, v52, v26
	v_mul_lo_u32 v21, v53, v19
	v_ashrrev_i32_e32 v28, 31, v21
	v_lshrrev_b32_e32 v28, 29, v28
	v_add_nc_u32_e32 v21, v21, v28
	v_ashrrev_i32_e32 v21, 3, v21
	v_cvt_f32_i32_e32 v21, v21
	v_fmac_f32_e32 v8, v23, v21
	s_waitcnt vmcnt(0)
	v_dot4c_i32_i8 v58, v52, v18
	v_mul_lo_u32 v18, v58, v19
	v_mul_lo_u32 v19, v60, v19
	v_ashrrev_i32_e32 v26, 31, v18
	v_ashrrev_i32_e32 v29, 31, v19
	v_lshrrev_b32_e32 v26, 29, v26
	v_lshrrev_b32_e32 v29, 29, v29
	v_add_nc_u32_e32 v18, v18, v26
	v_add_nc_u32_e32 v19, v19, v29
	v_ashrrev_i32_e32 v18, 3, v18
	v_ashrrev_i32_e32 v19, 3, v19
	v_cvt_f32_i32_e32 v18, v18
	v_cvt_f32_i32_e32 v19, v19
	v_fmac_f32_e32 v11, v17, v18
	v_fmac_f32_e32 v7, v24, v19
	s_andn2_b32 exec_lo, exec_lo, s3
	s_cbranch_execnz .LBB163_2
; %bb.3:
	s_or_b32 exec_lo, exec_lo, s3
.LBB163_4:
	s_or_b32 exec_lo, exec_lo, s9
	s_mov_b32 s1, 0
	; wave barrier
	buffer_gl0_inv
	s_mov_b32 s0, exec_lo
	v_cmpx_eq_u32_e32 0, v1
	s_cbranch_execz .LBB163_13
; %bb.5:
	v_mbcnt_lo_u32_b32 v5, -1, 0
	s_load_dwordx2 s[4:5], s[4:5], 0x38
	s_mul_i32 s0, s14, s7
	s_mul_i32 s3, s18, s8
	s_add_i32 s0, s0, s6
	v_xor_b32_e32 v1, 16, v5
	v_xor_b32_e32 v2, 8, v5
	s_add_i32 s0, s0, s3
	s_lshl_b64 s[0:1], s[0:1], 2
	v_cmp_gt_i32_e32 vcc_lo, 32, v1
	v_cndmask_b32_e32 v1, v5, v1, vcc_lo
	v_cmp_gt_i32_e32 vcc_lo, 32, v2
	v_lshlrev_b32_e32 v1, 2, v1
	v_cndmask_b32_e32 v2, v5, v2, vcc_lo
	s_waitcnt lgkmcnt(0)
	s_add_u32 s0, s4, s0
	s_addc_u32 s1, s5, s1
	ds_bpermute_b32 v3, v1, v11
	v_lshlrev_b32_e32 v2, 2, v2
	s_waitcnt lgkmcnt(0)
	v_add_f32_e32 v4, v11, v3
	v_xor_b32_e32 v3, 4, v5
	v_xor_b32_e32 v11, 1, v5
	ds_bpermute_b32 v6, v2, v4
	v_cmp_gt_i32_e32 vcc_lo, 32, v3
	v_cndmask_b32_e32 v3, v5, v3, vcc_lo
	v_lshlrev_b32_e32 v3, 2, v3
	s_waitcnt lgkmcnt(0)
	v_add_f32_e32 v6, v4, v6
	v_xor_b32_e32 v4, 2, v5
	ds_bpermute_b32 v10, v3, v6
	v_cmp_gt_i32_e32 vcc_lo, 32, v4
	v_cndmask_b32_e32 v4, v5, v4, vcc_lo
	v_cmp_gt_i32_e32 vcc_lo, 32, v11
	v_lshlrev_b32_e32 v4, 2, v4
	v_cndmask_b32_e32 v5, v5, v11, vcc_lo
	v_cmp_eq_u32_e32 vcc_lo, 0, v0
	v_lshlrev_b32_e32 v5, 2, v5
	s_waitcnt lgkmcnt(0)
	v_add_f32_e32 v6, v6, v10
	ds_bpermute_b32 v10, v4, v6
	s_waitcnt lgkmcnt(0)
	v_add_f32_e32 v6, v6, v10
	ds_bpermute_b32 v10, v5, v6
	s_and_saveexec_b32 s3, vcc_lo
	s_cbranch_execz .LBB163_7
; %bb.6:
	s_waitcnt lgkmcnt(0)
	v_add_f32_e32 v0, v6, v10
	v_mov_b32_e32 v6, 0
	global_store_dword v6, v0, s[0:1]
.LBB163_7:
	s_or_b32 exec_lo, exec_lo, s3
	ds_bpermute_b32 v0, v1, v9
	s_waitcnt lgkmcnt(0)
	v_add_f32_e32 v0, v9, v0
	ds_bpermute_b32 v6, v2, v0
	s_waitcnt lgkmcnt(0)
	v_add_f32_e32 v0, v0, v6
	;; [unrolled: 3-line block ×4, first 2 shown]
	ds_bpermute_b32 v6, v5, v0
	s_and_saveexec_b32 s4, vcc_lo
	s_cbranch_execz .LBB163_9
; %bb.8:
	s_mov_b32 s3, 0
	s_waitcnt lgkmcnt(0)
	v_add_f32_e32 v0, v0, v6
	s_lshl_b64 s[6:7], s[2:3], 2
	v_mov_b32_e32 v6, 0
	s_add_u32 s6, s0, s6
	s_addc_u32 s7, s1, s7
	global_store_dword v6, v0, s[6:7]
.LBB163_9:
	s_or_b32 exec_lo, exec_lo, s4
	ds_bpermute_b32 v0, v1, v8
	s_waitcnt lgkmcnt(0)
	v_add_f32_e32 v0, v8, v0
	ds_bpermute_b32 v6, v2, v0
	s_waitcnt lgkmcnt(0)
	v_add_f32_e32 v0, v0, v6
	;; [unrolled: 3-line block ×4, first 2 shown]
	ds_bpermute_b32 v6, v5, v0
	s_and_saveexec_b32 s3, vcc_lo
	s_cbranch_execz .LBB163_11
; %bb.10:
	s_lshl_b32 s4, s2, 1
	s_mov_b32 s5, 0
	s_waitcnt lgkmcnt(0)
	v_add_f32_e32 v0, v0, v6
	s_lshl_b64 s[4:5], s[4:5], 2
	v_mov_b32_e32 v6, 0
	s_add_u32 s4, s0, s4
	s_addc_u32 s5, s1, s5
	global_store_dword v6, v0, s[4:5]
.LBB163_11:
	s_or_b32 exec_lo, exec_lo, s3
	ds_bpermute_b32 v0, v1, v7
	s_waitcnt lgkmcnt(0)
	v_add_f32_e32 v0, v7, v0
	ds_bpermute_b32 v1, v2, v0
	s_waitcnt lgkmcnt(0)
	v_add_f32_e32 v0, v0, v1
	;; [unrolled: 3-line block ×4, first 2 shown]
	ds_bpermute_b32 v1, v5, v0
	s_and_b32 exec_lo, exec_lo, vcc_lo
	s_cbranch_execz .LBB163_13
; %bb.12:
	s_mul_i32 s2, s2, 3
	s_mov_b32 s3, 0
	s_waitcnt lgkmcnt(0)
	v_add_f32_e32 v0, v0, v1
	s_lshl_b64 s[2:3], s[2:3], 2
	v_mov_b32_e32 v1, 0
	s_add_u32 s0, s0, s2
	s_addc_u32 s1, s1, s3
	global_store_dword v1, v0, s[0:1]
.LBB163_13:
	s_endpgm
	.section	.rodata,"a",@progbits
	.p2align	6, 0x0
	.amdhsa_kernel _ZL13mul_mat_vec_qIL9ggml_type16ELi4ELb0ELb0EEvPKvS2_PKi31ggml_cuda_mm_fusion_args_devicePfj15HIP_vector_typeIjLj3EEjjjS8_jjjS8_jjjj
		.amdhsa_group_segment_fixed_size 0
		.amdhsa_private_segment_fixed_size 0
		.amdhsa_kernarg_size 144
		.amdhsa_user_sgpr_count 6
		.amdhsa_user_sgpr_private_segment_buffer 1
		.amdhsa_user_sgpr_dispatch_ptr 0
		.amdhsa_user_sgpr_queue_ptr 0
		.amdhsa_user_sgpr_kernarg_segment_ptr 1
		.amdhsa_user_sgpr_dispatch_id 0
		.amdhsa_user_sgpr_flat_scratch_init 0
		.amdhsa_user_sgpr_private_segment_size 0
		.amdhsa_wavefront_size32 1
		.amdhsa_uses_dynamic_stack 0
		.amdhsa_system_sgpr_private_segment_wavefront_offset 0
		.amdhsa_system_sgpr_workgroup_id_x 1
		.amdhsa_system_sgpr_workgroup_id_y 1
		.amdhsa_system_sgpr_workgroup_id_z 1
		.amdhsa_system_sgpr_workgroup_info 0
		.amdhsa_system_vgpr_workitem_id 1
		.amdhsa_next_free_vgpr 64
		.amdhsa_next_free_sgpr 28
		.amdhsa_reserve_vcc 1
		.amdhsa_reserve_flat_scratch 0
		.amdhsa_float_round_mode_32 0
		.amdhsa_float_round_mode_16_64 0
		.amdhsa_float_denorm_mode_32 3
		.amdhsa_float_denorm_mode_16_64 3
		.amdhsa_dx10_clamp 1
		.amdhsa_ieee_mode 1
		.amdhsa_fp16_overflow 0
		.amdhsa_workgroup_processor_mode 1
		.amdhsa_memory_ordered 1
		.amdhsa_forward_progress 1
		.amdhsa_shared_vgpr_count 0
		.amdhsa_exception_fp_ieee_invalid_op 0
		.amdhsa_exception_fp_denorm_src 0
		.amdhsa_exception_fp_ieee_div_zero 0
		.amdhsa_exception_fp_ieee_overflow 0
		.amdhsa_exception_fp_ieee_underflow 0
		.amdhsa_exception_fp_ieee_inexact 0
		.amdhsa_exception_int_div_zero 0
	.end_amdhsa_kernel
	.section	.text._ZL13mul_mat_vec_qIL9ggml_type16ELi4ELb0ELb0EEvPKvS2_PKi31ggml_cuda_mm_fusion_args_devicePfj15HIP_vector_typeIjLj3EEjjjS8_jjjS8_jjjj,"axG",@progbits,_ZL13mul_mat_vec_qIL9ggml_type16ELi4ELb0ELb0EEvPKvS2_PKi31ggml_cuda_mm_fusion_args_devicePfj15HIP_vector_typeIjLj3EEjjjS8_jjjS8_jjjj,comdat
.Lfunc_end163:
	.size	_ZL13mul_mat_vec_qIL9ggml_type16ELi4ELb0ELb0EEvPKvS2_PKi31ggml_cuda_mm_fusion_args_devicePfj15HIP_vector_typeIjLj3EEjjjS8_jjjS8_jjjj, .Lfunc_end163-_ZL13mul_mat_vec_qIL9ggml_type16ELi4ELb0ELb0EEvPKvS2_PKi31ggml_cuda_mm_fusion_args_devicePfj15HIP_vector_typeIjLj3EEjjjS8_jjjS8_jjjj
                                        ; -- End function
	.set _ZL13mul_mat_vec_qIL9ggml_type16ELi4ELb0ELb0EEvPKvS2_PKi31ggml_cuda_mm_fusion_args_devicePfj15HIP_vector_typeIjLj3EEjjjS8_jjjS8_jjjj.num_vgpr, 64
	.set _ZL13mul_mat_vec_qIL9ggml_type16ELi4ELb0ELb0EEvPKvS2_PKi31ggml_cuda_mm_fusion_args_devicePfj15HIP_vector_typeIjLj3EEjjjS8_jjjS8_jjjj.num_agpr, 0
	.set _ZL13mul_mat_vec_qIL9ggml_type16ELi4ELb0ELb0EEvPKvS2_PKi31ggml_cuda_mm_fusion_args_devicePfj15HIP_vector_typeIjLj3EEjjjS8_jjjS8_jjjj.numbered_sgpr, 28
	.set _ZL13mul_mat_vec_qIL9ggml_type16ELi4ELb0ELb0EEvPKvS2_PKi31ggml_cuda_mm_fusion_args_devicePfj15HIP_vector_typeIjLj3EEjjjS8_jjjS8_jjjj.num_named_barrier, 0
	.set _ZL13mul_mat_vec_qIL9ggml_type16ELi4ELb0ELb0EEvPKvS2_PKi31ggml_cuda_mm_fusion_args_devicePfj15HIP_vector_typeIjLj3EEjjjS8_jjjS8_jjjj.private_seg_size, 0
	.set _ZL13mul_mat_vec_qIL9ggml_type16ELi4ELb0ELb0EEvPKvS2_PKi31ggml_cuda_mm_fusion_args_devicePfj15HIP_vector_typeIjLj3EEjjjS8_jjjS8_jjjj.uses_vcc, 1
	.set _ZL13mul_mat_vec_qIL9ggml_type16ELi4ELb0ELb0EEvPKvS2_PKi31ggml_cuda_mm_fusion_args_devicePfj15HIP_vector_typeIjLj3EEjjjS8_jjjS8_jjjj.uses_flat_scratch, 0
	.set _ZL13mul_mat_vec_qIL9ggml_type16ELi4ELb0ELb0EEvPKvS2_PKi31ggml_cuda_mm_fusion_args_devicePfj15HIP_vector_typeIjLj3EEjjjS8_jjjS8_jjjj.has_dyn_sized_stack, 0
	.set _ZL13mul_mat_vec_qIL9ggml_type16ELi4ELb0ELb0EEvPKvS2_PKi31ggml_cuda_mm_fusion_args_devicePfj15HIP_vector_typeIjLj3EEjjjS8_jjjS8_jjjj.has_recursion, 0
	.set _ZL13mul_mat_vec_qIL9ggml_type16ELi4ELb0ELb0EEvPKvS2_PKi31ggml_cuda_mm_fusion_args_devicePfj15HIP_vector_typeIjLj3EEjjjS8_jjjS8_jjjj.has_indirect_call, 0
	.section	.AMDGPU.csdata,"",@progbits
; Kernel info:
; codeLenInByte = 3620
; TotalNumSgprs: 30
; NumVgprs: 64
; ScratchSize: 0
; MemoryBound: 0
; FloatMode: 240
; IeeeMode: 1
; LDSByteSize: 0 bytes/workgroup (compile time only)
; SGPRBlocks: 0
; VGPRBlocks: 7
; NumSGPRsForWavesPerEU: 30
; NumVGPRsForWavesPerEU: 64
; Occupancy: 16
; WaveLimiterHint : 0
; COMPUTE_PGM_RSRC2:SCRATCH_EN: 0
; COMPUTE_PGM_RSRC2:USER_SGPR: 6
; COMPUTE_PGM_RSRC2:TRAP_HANDLER: 0
; COMPUTE_PGM_RSRC2:TGID_X_EN: 1
; COMPUTE_PGM_RSRC2:TGID_Y_EN: 1
; COMPUTE_PGM_RSRC2:TGID_Z_EN: 1
; COMPUTE_PGM_RSRC2:TIDIG_COMP_CNT: 1
	.section	.text._ZL13mul_mat_vec_qIL9ggml_type16ELi5ELb0ELb0EEvPKvS2_PKi31ggml_cuda_mm_fusion_args_devicePfj15HIP_vector_typeIjLj3EEjjjS8_jjjS8_jjjj,"axG",@progbits,_ZL13mul_mat_vec_qIL9ggml_type16ELi5ELb0ELb0EEvPKvS2_PKi31ggml_cuda_mm_fusion_args_devicePfj15HIP_vector_typeIjLj3EEjjjS8_jjjS8_jjjj,comdat
	.globl	_ZL13mul_mat_vec_qIL9ggml_type16ELi5ELb0ELb0EEvPKvS2_PKi31ggml_cuda_mm_fusion_args_devicePfj15HIP_vector_typeIjLj3EEjjjS8_jjjS8_jjjj ; -- Begin function _ZL13mul_mat_vec_qIL9ggml_type16ELi5ELb0ELb0EEvPKvS2_PKi31ggml_cuda_mm_fusion_args_devicePfj15HIP_vector_typeIjLj3EEjjjS8_jjjS8_jjjj
	.p2align	8
	.type	_ZL13mul_mat_vec_qIL9ggml_type16ELi5ELb0ELb0EEvPKvS2_PKi31ggml_cuda_mm_fusion_args_devicePfj15HIP_vector_typeIjLj3EEjjjS8_jjjS8_jjjj,@function
_ZL13mul_mat_vec_qIL9ggml_type16ELi5ELb0ELb0EEvPKvS2_PKi31ggml_cuda_mm_fusion_args_devicePfj15HIP_vector_typeIjLj3EEjjjS8_jjjS8_jjjj: ; @_ZL13mul_mat_vec_qIL9ggml_type16ELi5ELb0ELb0EEvPKvS2_PKi31ggml_cuda_mm_fusion_args_devicePfj15HIP_vector_typeIjLj3EEjjjS8_jjjS8_jjjj
; %bb.0:
	s_clause 0x5
	s_load_dword s9, s[4:5], 0x40
	s_load_dwordx4 s[0:3], s[4:5], 0x50
	s_load_dword s11, s[4:5], 0x60
	s_load_dwordx4 s[12:15], s[4:5], 0x68
	;; [unrolled: 2-line block ×3, first 2 shown]
	v_lshl_or_b32 v2, v1, 5, v0
	v_mov_b32_e32 v7, 0
	v_mov_b32_e32 v8, 0
	;; [unrolled: 1-line block ×4, first 2 shown]
	v_lshrrev_b32_e32 v11, 3, v2
	v_mov_b32_e32 v12, 0
	s_waitcnt lgkmcnt(0)
	s_lshr_b32 s10, s9, 8
	s_mov_b32 s9, exec_lo
	v_cmpx_gt_u32_e64 s10, v11
	s_cbranch_execz .LBB164_4
; %bb.1:
	s_mul_i32 s13, s13, s7
	s_load_dwordx4 s[20:23], s[4:5], 0x0
	s_mul_hi_u32 s27, s13, 36
	s_mul_i32 s26, s13, 36
	s_mul_i32 s17, s17, s8
	v_mad_u64_u32 v[2:3], null, 0x120, v11, s[26:27]
	v_and_b32_e32 v5, 7, v0
	s_mul_hi_u32 s3, s3, s7
	s_mul_hi_u32 s15, s15, s8
	v_lshlrev_b32_e32 v4, 1, v0
	s_add_i32 s3, s7, s3
	s_add_i32 s15, s8, s15
	v_mad_u64_u32 v[2:3], null, s17, 36, v[2:3]
	s_mul_i32 s25, s17, 36
	s_lshr_b32 s3, s3, s11
	s_mul_hi_u32 s19, s17, 36
	s_lshr_b32 s11, s15, s24
	v_and_b32_e32 v4, 14, v4
	s_mul_i32 s3, s3, s12
	v_mad_u64_u32 v[7:8], null, v5, 36, v[2:3]
	s_waitcnt lgkmcnt(0)
	s_add_u32 s12, s22, s25
	v_lshlrev_b32_e32 v6, 3, v11
	s_addc_u32 s13, s23, s19
	s_add_u32 s12, s12, s26
	s_addc_u32 s13, s13, s27
	v_lshlrev_b32_e32 v9, 1, v4
	v_mad_u64_u32 v[2:3], null, v5, 36, s[12:13]
	v_mad_u64_u32 v[4:5], null, s1, 3, v[6:7]
	v_add_co_u32 v5, vcc_lo, s22, v7
	v_add_co_ci_u32_e64 v7, null, s23, v8, vcc_lo
	s_mul_i32 s0, s0, s6
	v_add_co_u32 v5, vcc_lo, v5, 16
	v_mov_b32_e32 v13, 0
	v_add_nc_u32_e32 v14, s1, v6
	v_lshl_add_u32 v15, s1, 2, v6
	v_lshl_add_u32 v16, s1, 1, v6
	v_add_co_ci_u32_e64 v6, null, 0, v7, vcc_lo
	v_lshlrev_b32_e32 v17, 1, v9
	v_mov_b32_e32 v18, 3
	v_mov_b32_e32 v7, 0
	v_mov_b32_e32 v8, 0
	v_mov_b32_e32 v9, 0
	v_mov_b32_e32 v10, 0
	v_mov_b32_e32 v12, 0
	s_mul_i32 s11, s11, s16
	s_add_i32 s3, s3, s0
	s_add_i32 s11, s11, s3
	s_mov_b32 s3, 0
.LBB164_2:                              ; =>This Inner Loop Header: Depth=1
	v_add_nc_u32_e32 v19, s11, v11
	s_getpc_b64 s[0:1]
	s_add_u32 s0, s0, _ZL11iq2xxs_grid@rel32@lo+4
	s_addc_u32 s1, s1, _ZL11iq2xxs_grid@rel32@hi+12
	v_mov_b32_e32 v38, 0
	v_add_nc_u32_e32 v11, 4, v11
	v_mad_i64_i32 v[29:30], null, 0x42, v19, s[20:21]
	v_add_co_u32 v19, vcc_lo, v29, v17
	v_add_co_ci_u32_e64 v20, null, 0, v30, vcc_lo
	global_load_dwordx2 v[25:26], v[19:20], off offset:2
	s_waitcnt vmcnt(0)
	v_lshlrev_b32_sdwa v19, v18, v25 dst_sel:DWORD dst_unused:UNUSED_PAD src0_sel:DWORD src1_sel:BYTE_0
	v_and_b32_e32 v21, 0xff, v26
	global_load_dwordx2 v[19:20], v19, s[0:1]
	v_bcnt_u32_b32 v22, v21, 0
	v_and_b32_e32 v22, 1, v22
	v_lshlrev_b32_e32 v22, 7, v22
	v_xor_b32_e32 v21, v22, v21
	v_mul_lo_u32 v21, 0x1010101, v21
	v_and_b32_e32 v22, 0x8040201, v21
	v_lshrrev_b32_e32 v23, 18, v21
	v_cmp_ne_u16_sdwa s12, v22, v13 src0_sel:BYTE_3 src1_sel:DWORD
	v_cmp_ne_u16_sdwa s13, v22, v13 src0_sel:BYTE_1 src1_sel:DWORD
	v_bfe_i32 v22, v21, 0, 1
	v_bfe_i32 v23, v23, 0, 1
	v_cndmask_b32_e64 v28, 0, -1, s12
	v_cndmask_b32_e64 v24, 0, -1, s13
	v_lshlrev_b16 v28, 8, v28
	v_lshlrev_b16 v24, 8, v24
	v_or_b32_sdwa v31, v23, v28 dst_sel:WORD_1 dst_unused:UNUSED_PAD src0_sel:BYTE_0 src1_sel:DWORD
	v_or_b32_sdwa v27, v22, v24 dst_sel:DWORD dst_unused:UNUSED_PAD src0_sel:BYTE_0 src1_sel:DWORD
	v_lshlrev_b16 v22, 8, v22
	v_lshlrev_b16 v23, 8, v23
	v_or_b32_sdwa v27, v27, v31 dst_sel:DWORD dst_unused:UNUSED_PAD src0_sel:WORD_0 src1_sel:DWORD
	s_waitcnt vmcnt(0)
	v_xor_b32_e32 v19, v19, v27
	v_lshrrev_b32_e32 v27, 16, v19
	v_and_b32_e32 v31, 0xffffff00, v19
	v_lshlrev_b16 v19, 8, v19
	v_sub_nc_i16 v24, v31, v24 clamp
	v_sub_nc_i16 v19, v19, v22 clamp
	v_and_b32_e32 v22, 0xffffff00, v27
	v_perm_b32 v19, v19, v24, 0xc0c0105
	v_lshlrev_b16 v24, 8, v27
	v_sub_nc_i16 v22, v22, v28 clamp
	v_sub_nc_i16 v23, v24, v23 clamp
	v_perm_b32 v22, v23, v22, 0xc0c0105
	v_lshl_or_b32 v19, v22, 16, v19
	v_and_b32_e32 v22, 0x80402010, v21
	v_lshrrev_b32_e32 v21, 22, v21
	v_cmp_ne_u16_sdwa s12, v22, v13 src0_sel:BYTE_3 src1_sel:DWORD
	v_cmp_ne_u16_sdwa s13, v22, v13 src0_sel:BYTE_1 src1_sel:DWORD
	v_lshrrev_b16 v22, 4, v22
	v_bfe_i32 v21, v21, 0, 1
	v_cndmask_b32_e64 v27, 0, -1, s12
	v_cndmask_b32_e64 v23, 0, -1, s13
	v_bfe_i32 v22, v22, 0, 1
	v_lshlrev_b16 v27, 8, v27
	v_lshlrev_b16 v23, 8, v23
	v_or_b32_sdwa v28, v21, v27 dst_sel:WORD_1 dst_unused:UNUSED_PAD src0_sel:BYTE_0 src1_sel:DWORD
	v_or_b32_sdwa v24, v22, v23 dst_sel:DWORD dst_unused:UNUSED_PAD src0_sel:BYTE_0 src1_sel:DWORD
	v_lshlrev_b16 v22, 8, v22
	v_lshlrev_b16 v21, 8, v21
	v_or_b32_sdwa v24, v24, v28 dst_sel:DWORD dst_unused:UNUSED_PAD src0_sel:WORD_0 src1_sel:DWORD
	v_xor_b32_e32 v20, v20, v24
	v_lshrrev_b32_e32 v24, 16, v20
	v_and_b32_e32 v28, 0xffffff00, v20
	v_lshlrev_b16 v20, 8, v20
	v_sub_nc_i16 v23, v28, v23 clamp
	v_sub_nc_i16 v20, v20, v22 clamp
	v_and_b32_e32 v22, 0xffffff00, v24
	v_perm_b32 v20, v20, v23, 0xc0c0105
	v_lshlrev_b16 v23, 8, v24
	v_sub_nc_i16 v22, v22, v27 clamp
	v_sub_nc_i16 v21, v23, v21 clamp
	v_bfe_u32 v23, v26, 7, 8
	v_perm_b32 v21, v21, v22, 0xc0c0105
	v_bcnt_u32_b32 v24, v23, 0
	v_lshl_or_b32 v20, v21, 16, v20
	v_lshlrev_b32_sdwa v21, v18, v25 dst_sel:DWORD dst_unused:UNUSED_PAD src0_sel:DWORD src1_sel:BYTE_1
	v_and_b32_e32 v24, 1, v24
	global_load_dwordx2 v[21:22], v21, s[0:1]
	v_lshlrev_b32_e32 v24, 7, v24
	v_xor_b32_e32 v23, v24, v23
	v_mul_lo_u32 v23, 0x1010101, v23
	v_and_b32_e32 v24, 0x8040201, v23
	v_lshrrev_b32_e32 v27, 18, v23
	v_cmp_ne_u16_sdwa s12, v24, v13 src0_sel:BYTE_3 src1_sel:DWORD
	v_cmp_ne_u16_sdwa s13, v24, v13 src0_sel:BYTE_1 src1_sel:DWORD
	v_bfe_i32 v24, v23, 0, 1
	v_bfe_i32 v27, v27, 0, 1
	v_cndmask_b32_e64 v32, 0, -1, s12
	v_cndmask_b32_e64 v28, 0, -1, s13
	v_lshlrev_b16 v32, 8, v32
	v_lshlrev_b16 v28, 8, v28
	v_or_b32_sdwa v33, v27, v32 dst_sel:WORD_1 dst_unused:UNUSED_PAD src0_sel:BYTE_0 src1_sel:DWORD
	v_or_b32_sdwa v31, v24, v28 dst_sel:DWORD dst_unused:UNUSED_PAD src0_sel:BYTE_0 src1_sel:DWORD
	v_lshlrev_b16 v24, 8, v24
	v_lshlrev_b16 v27, 8, v27
	v_or_b32_sdwa v31, v31, v33 dst_sel:DWORD dst_unused:UNUSED_PAD src0_sel:WORD_0 src1_sel:DWORD
	s_waitcnt vmcnt(0)
	v_xor_b32_e32 v21, v21, v31
	v_lshrrev_b32_e32 v31, 16, v21
	v_and_b32_e32 v33, 0xffffff00, v21
	v_lshlrev_b16 v21, 8, v21
	v_sub_nc_i16 v28, v33, v28 clamp
	v_sub_nc_i16 v21, v21, v24 clamp
	v_and_b32_e32 v24, 0xffffff00, v31
	v_perm_b32 v21, v21, v28, 0xc0c0105
	v_lshlrev_b16 v28, 8, v31
	v_sub_nc_i16 v24, v24, v32 clamp
	v_sub_nc_i16 v27, v28, v27 clamp
	v_perm_b32 v24, v27, v24, 0xc0c0105
	v_lshl_or_b32 v21, v24, 16, v21
	v_and_b32_e32 v24, 0x80402010, v23
	v_lshrrev_b32_e32 v23, 22, v23
	v_cmp_ne_u16_sdwa s12, v24, v13 src0_sel:BYTE_3 src1_sel:DWORD
	v_cmp_ne_u16_sdwa s13, v24, v13 src0_sel:BYTE_1 src1_sel:DWORD
	v_lshrrev_b16 v24, 4, v24
	v_bfe_i32 v23, v23, 0, 1
	v_cndmask_b32_e64 v31, 0, -1, s12
	v_cndmask_b32_e64 v27, 0, -1, s13
	v_bfe_i32 v24, v24, 0, 1
	v_lshlrev_b16 v31, 8, v31
	v_lshlrev_b16 v27, 8, v27
	v_or_b32_sdwa v32, v23, v31 dst_sel:WORD_1 dst_unused:UNUSED_PAD src0_sel:BYTE_0 src1_sel:DWORD
	v_or_b32_sdwa v28, v24, v27 dst_sel:DWORD dst_unused:UNUSED_PAD src0_sel:BYTE_0 src1_sel:DWORD
	v_lshlrev_b16 v24, 8, v24
	v_lshlrev_b16 v23, 8, v23
	v_or_b32_sdwa v28, v28, v32 dst_sel:DWORD dst_unused:UNUSED_PAD src0_sel:WORD_0 src1_sel:DWORD
	v_xor_b32_e32 v22, v22, v28
	v_lshrrev_b32_e32 v28, 16, v22
	v_and_b32_e32 v32, 0xffffff00, v22
	v_lshlrev_b16 v22, 8, v22
	v_sub_nc_i16 v27, v32, v27 clamp
	v_sub_nc_i16 v22, v22, v24 clamp
	v_and_b32_e32 v24, 0xffffff00, v28
	v_perm_b32 v22, v22, v27, 0xc0c0105
	v_lshlrev_b16 v27, 8, v28
	v_sub_nc_i16 v24, v24, v31 clamp
	v_sub_nc_i16 v23, v27, v23 clamp
	v_bfe_u32 v27, v26, 14, 8
	v_perm_b32 v23, v23, v24, 0xc0c0105
	v_bcnt_u32_b32 v28, v27, 0
	v_lshl_or_b32 v22, v23, 16, v22
	v_lshlrev_b32_sdwa v23, v18, v25 dst_sel:DWORD dst_unused:UNUSED_PAD src0_sel:DWORD src1_sel:BYTE_2
	v_and_b32_e32 v28, 1, v28
	v_lshlrev_b32_sdwa v25, v18, v25 dst_sel:DWORD dst_unused:UNUSED_PAD src0_sel:DWORD src1_sel:BYTE_3
	global_load_dwordx2 v[23:24], v23, s[0:1]
	v_lshlrev_b32_e32 v28, 7, v28
	v_xor_b32_e32 v27, v28, v27
	v_mul_lo_u32 v27, 0x1010101, v27
	v_and_b32_e32 v28, 0x8040201, v27
	v_lshrrev_b32_e32 v31, 18, v27
	v_cmp_ne_u16_sdwa s12, v28, v13 src0_sel:BYTE_3 src1_sel:DWORD
	v_cmp_ne_u16_sdwa s13, v28, v13 src0_sel:BYTE_1 src1_sel:DWORD
	v_bfe_i32 v28, v27, 0, 1
	v_bfe_i32 v31, v31, 0, 1
	v_cndmask_b32_e64 v34, 0, -1, s12
	v_cndmask_b32_e64 v32, 0, -1, s13
	v_lshlrev_b16 v34, 8, v34
	v_lshlrev_b16 v32, 8, v32
	v_or_b32_sdwa v35, v31, v34 dst_sel:WORD_1 dst_unused:UNUSED_PAD src0_sel:BYTE_0 src1_sel:DWORD
	v_or_b32_sdwa v33, v28, v32 dst_sel:DWORD dst_unused:UNUSED_PAD src0_sel:BYTE_0 src1_sel:DWORD
	v_lshlrev_b16 v28, 8, v28
	v_lshlrev_b16 v31, 8, v31
	v_or_b32_sdwa v33, v33, v35 dst_sel:DWORD dst_unused:UNUSED_PAD src0_sel:WORD_0 src1_sel:DWORD
	s_waitcnt vmcnt(0)
	v_xor_b32_e32 v23, v23, v33
	v_lshrrev_b32_e32 v33, 16, v23
	v_and_b32_e32 v35, 0xffffff00, v23
	v_lshlrev_b16 v23, 8, v23
	v_sub_nc_i16 v32, v35, v32 clamp
	v_sub_nc_i16 v23, v23, v28 clamp
	v_and_b32_e32 v28, 0xffffff00, v33
	v_perm_b32 v23, v23, v32, 0xc0c0105
	v_lshlrev_b16 v32, 8, v33
	v_sub_nc_i16 v28, v28, v34 clamp
	v_sub_nc_i16 v31, v32, v31 clamp
	v_perm_b32 v28, v31, v28, 0xc0c0105
	v_lshl_or_b32 v23, v28, 16, v23
	v_and_b32_e32 v28, 0x80402010, v27
	v_lshrrev_b32_e32 v27, 22, v27
	v_cmp_ne_u16_sdwa s12, v28, v13 src0_sel:BYTE_3 src1_sel:DWORD
	v_cmp_ne_u16_sdwa s13, v28, v13 src0_sel:BYTE_1 src1_sel:DWORD
	v_lshrrev_b16 v28, 4, v28
	v_bfe_i32 v27, v27, 0, 1
	v_cndmask_b32_e64 v33, 0, -1, s12
	v_cndmask_b32_e64 v31, 0, -1, s13
	v_bfe_i32 v28, v28, 0, 1
	v_lshlrev_b16 v33, 8, v33
	v_lshlrev_b16 v31, 8, v31
	v_or_b32_sdwa v34, v27, v33 dst_sel:WORD_1 dst_unused:UNUSED_PAD src0_sel:BYTE_0 src1_sel:DWORD
	v_or_b32_sdwa v32, v28, v31 dst_sel:DWORD dst_unused:UNUSED_PAD src0_sel:BYTE_0 src1_sel:DWORD
	v_lshlrev_b16 v28, 8, v28
	v_lshlrev_b16 v27, 8, v27
	v_or_b32_sdwa v32, v32, v34 dst_sel:DWORD dst_unused:UNUSED_PAD src0_sel:WORD_0 src1_sel:DWORD
	v_xor_b32_e32 v24, v24, v32
	v_lshrrev_b32_e32 v32, 16, v24
	v_and_b32_e32 v34, 0xffffff00, v24
	v_lshlrev_b16 v24, 8, v24
	v_sub_nc_i16 v31, v34, v31 clamp
	v_sub_nc_i16 v24, v24, v28 clamp
	v_and_b32_e32 v28, 0xffffff00, v32
	v_perm_b32 v24, v24, v31, 0xc0c0105
	v_lshlrev_b16 v31, 8, v32
	v_sub_nc_i16 v28, v28, v33 clamp
	v_sub_nc_i16 v27, v31, v27 clamp
	v_perm_b32 v27, v27, v28, 0xc0c0105
	v_lshl_or_b32 v24, v27, 16, v24
	global_load_dwordx2 v[27:28], v25, s[0:1]
	v_bfe_u32 v25, v26, 21, 8
	v_lshrrev_b32_e32 v26, 27, v26
	v_bcnt_u32_b32 v31, v25, 0
	v_and_b32_e32 v31, 1, v31
	v_lshlrev_b32_e32 v31, 7, v31
	v_xor_b32_e32 v25, v31, v25
	v_mul_lo_u32 v31, 0x1010101, v25
	v_and_b32_e32 v25, 0x8040201, v31
	v_lshrrev_b32_e32 v32, 18, v31
	v_cmp_ne_u16_sdwa s0, v25, v13 src0_sel:BYTE_3 src1_sel:DWORD
	v_cmp_ne_u16_sdwa s1, v25, v13 src0_sel:BYTE_1 src1_sel:DWORD
	v_bfe_i32 v25, v31, 0, 1
	v_bfe_i32 v32, v32, 0, 1
	v_cndmask_b32_e64 v35, 0, -1, s0
	v_cndmask_b32_e64 v33, 0, -1, s1
	v_lshlrev_b16 v35, 8, v35
	v_lshlrev_b16 v33, 8, v33
	v_or_b32_sdwa v36, v32, v35 dst_sel:WORD_1 dst_unused:UNUSED_PAD src0_sel:BYTE_0 src1_sel:DWORD
	v_or_b32_sdwa v34, v25, v33 dst_sel:DWORD dst_unused:UNUSED_PAD src0_sel:BYTE_0 src1_sel:DWORD
	v_lshlrev_b16 v25, 8, v25
	v_lshlrev_b16 v32, 8, v32
	v_or_b32_sdwa v34, v34, v36 dst_sel:DWORD dst_unused:UNUSED_PAD src0_sel:WORD_0 src1_sel:DWORD
	s_waitcnt vmcnt(0)
	v_xor_b32_e32 v27, v27, v34
	v_lshrrev_b32_e32 v34, 16, v27
	v_and_b32_e32 v36, 0xffffff00, v27
	v_lshlrev_b16 v27, 8, v27
	v_sub_nc_i16 v33, v36, v33 clamp
	v_sub_nc_i16 v25, v27, v25 clamp
	v_and_b32_e32 v27, 0xffffff00, v34
	v_perm_b32 v25, v25, v33, 0xc0c0105
	v_lshlrev_b16 v33, 8, v34
	v_sub_nc_i16 v27, v27, v35 clamp
	v_sub_nc_i16 v32, v33, v32 clamp
	v_perm_b32 v27, v32, v27, 0xc0c0105
	v_lshl_or_b32 v25, v27, 16, v25
	v_and_b32_e32 v27, 0x80402010, v31
	v_lshrrev_b32_e32 v31, 22, v31
	v_cmp_ne_u16_sdwa s0, v27, v13 src0_sel:BYTE_3 src1_sel:DWORD
	v_cmp_ne_u16_sdwa s1, v27, v13 src0_sel:BYTE_1 src1_sel:DWORD
	v_lshrrev_b16 v27, 4, v27
	v_bfe_i32 v31, v31, 0, 1
	v_cndmask_b32_e64 v34, 0, -1, s0
	v_cndmask_b32_e64 v32, 0, -1, s1
	v_bfe_i32 v27, v27, 0, 1
	v_lshlrev_b16 v34, 8, v34
	v_lshlrev_b16 v32, 8, v32
	v_or_b32_sdwa v35, v31, v34 dst_sel:WORD_1 dst_unused:UNUSED_PAD src0_sel:BYTE_0 src1_sel:DWORD
	v_or_b32_sdwa v33, v27, v32 dst_sel:DWORD dst_unused:UNUSED_PAD src0_sel:BYTE_0 src1_sel:DWORD
	v_lshlrev_b16 v27, 8, v27
	v_lshlrev_b16 v31, 8, v31
	v_or_b32_sdwa v33, v33, v35 dst_sel:DWORD dst_unused:UNUSED_PAD src0_sel:WORD_0 src1_sel:DWORD
	v_xor_b32_e32 v28, v28, v33
	v_lshrrev_b32_e32 v33, 16, v28
	v_and_b32_e32 v35, 0xffffff00, v28
	v_lshlrev_b16 v28, 8, v28
	v_sub_nc_i16 v32, v35, v32 clamp
	v_sub_nc_i16 v27, v28, v27 clamp
	v_and_b32_e32 v28, 0xffffff00, v33
	v_perm_b32 v27, v27, v32, 0xc0c0105
	v_lshlrev_b16 v32, 8, v33
	v_sub_nc_i16 v28, v28, v34 clamp
	v_sub_nc_i16 v31, v32, v31 clamp
	v_perm_b32 v28, v31, v28, 0xc0c0105
	v_lshl_or_b32 v27, v28, 16, v27
	v_or_b32_e32 v28, 1, v26
	global_load_ushort v26, v[29:30], off
	s_clause 0x2
	global_load_dwordx4 v[29:32], v[5:6], off offset:-16
	global_load_dword v37, v[5:6], off offset:16
	global_load_dwordx4 v[33:36], v[5:6], off
	v_add_co_u32 v5, vcc_lo, 0x480, v5
	v_add_co_ci_u32_e64 v6, null, 0, v6, vcc_lo
	v_cmp_le_u32_e32 vcc_lo, s10, v11
	s_or_b32 s3, vcc_lo, s3
	s_waitcnt vmcnt(2)
	v_dot4c_i32_i8 v38, v19, v30
	v_cvt_f32_f16_e32 v26, v26
	v_cvt_f32_f16_e32 v29, v29
	v_dot4c_i32_i8 v38, v20, v31
	v_mul_f32_e32 v29, v26, v29
	v_dot4c_i32_i8 v38, v21, v32
	s_waitcnt vmcnt(0)
	v_dot4c_i32_i8 v38, v22, v33
	v_dot4c_i32_i8 v38, v23, v34
	v_mad_u64_u32 v[33:34], null, v14, 36, v[2:3]
	v_add_nc_u32_e32 v14, 32, v14
	v_dot4c_i32_i8 v38, v24, v35
	v_dot4c_i32_i8 v38, v25, v36
	v_dot4c_i32_i8 v38, v27, v37
	v_mul_lo_u32 v30, v38, v28
	v_mov_b32_e32 v38, 0
	v_ashrrev_i32_e32 v31, 31, v30
	v_lshrrev_b32_e32 v31, 29, v31
	v_add_nc_u32_e32 v30, v30, v31
	v_ashrrev_i32_e32 v30, 3, v30
	v_cvt_f32_i32_e32 v30, v30
	v_fmac_f32_e32 v12, v29, v30
	s_clause 0x2
	global_load_dwordx4 v[29:32], v[33:34], off
	global_load_dword v37, v[33:34], off offset:32
	global_load_dwordx4 v[33:36], v[33:34], off offset:16
	s_waitcnt vmcnt(2)
	v_dot4c_i32_i8 v38, v19, v30
	v_cvt_f32_f16_e32 v29, v29
	v_dot4c_i32_i8 v38, v20, v31
	v_mul_f32_e32 v29, v26, v29
	v_dot4c_i32_i8 v38, v21, v32
	s_waitcnt vmcnt(0)
	v_dot4c_i32_i8 v38, v22, v33
	v_dot4c_i32_i8 v38, v23, v34
	v_mad_u64_u32 v[33:34], null, v16, 36, v[2:3]
	v_add_nc_u32_e32 v16, 32, v16
	v_dot4c_i32_i8 v38, v24, v35
	v_dot4c_i32_i8 v38, v25, v36
	v_dot4c_i32_i8 v38, v27, v37
	v_mul_lo_u32 v30, v38, v28
	v_mov_b32_e32 v38, 0
	v_ashrrev_i32_e32 v31, 31, v30
	v_lshrrev_b32_e32 v31, 29, v31
	v_add_nc_u32_e32 v30, v30, v31
	v_ashrrev_i32_e32 v30, 3, v30
	v_cvt_f32_i32_e32 v30, v30
	v_fmac_f32_e32 v10, v29, v30
	s_clause 0x2
	global_load_dwordx4 v[29:32], v[33:34], off
	global_load_dword v37, v[33:34], off offset:32
	global_load_dwordx4 v[33:36], v[33:34], off offset:16
	s_waitcnt vmcnt(2)
	v_dot4c_i32_i8 v38, v19, v30
	;; [unrolled: 26-line block ×4, first 2 shown]
	v_dot4c_i32_i8 v38, v20, v31
	v_dot4c_i32_i8 v38, v21, v32
	s_waitcnt vmcnt(0)
	v_dot4c_i32_i8 v38, v22, v33
	v_dot4c_i32_i8 v38, v23, v34
	;; [unrolled: 1-line block ×5, first 2 shown]
	v_mul_lo_u32 v19, v38, v28
	v_ashrrev_i32_e32 v20, 31, v19
	v_lshrrev_b32_e32 v20, 29, v20
	v_add_nc_u32_e32 v19, v19, v20
	v_cvt_f32_f16_e32 v20, v29
	v_ashrrev_i32_e32 v19, 3, v19
	v_mul_f32_e32 v20, v26, v20
	v_cvt_f32_i32_e32 v19, v19
	v_fmac_f32_e32 v7, v20, v19
	s_andn2_b32 exec_lo, exec_lo, s3
	s_cbranch_execnz .LBB164_2
; %bb.3:
	s_or_b32 exec_lo, exec_lo, s3
.LBB164_4:
	s_or_b32 exec_lo, exec_lo, s9
	s_mov_b32 s1, 0
	; wave barrier
	buffer_gl0_inv
	s_mov_b32 s0, exec_lo
	v_cmpx_eq_u32_e32 0, v1
	s_cbranch_execz .LBB164_15
; %bb.5:
	v_mbcnt_lo_u32_b32 v5, -1, 0
	s_load_dwordx2 s[4:5], s[4:5], 0x38
	s_mul_i32 s0, s14, s7
	s_mul_i32 s3, s18, s8
	s_add_i32 s0, s0, s6
	v_xor_b32_e32 v1, 16, v5
	v_xor_b32_e32 v2, 8, v5
	s_add_i32 s0, s0, s3
	s_lshl_b64 s[0:1], s[0:1], 2
	v_cmp_gt_i32_e32 vcc_lo, 32, v1
	v_cndmask_b32_e32 v1, v5, v1, vcc_lo
	v_cmp_gt_i32_e32 vcc_lo, 32, v2
	v_lshlrev_b32_e32 v1, 2, v1
	v_cndmask_b32_e32 v2, v5, v2, vcc_lo
	s_waitcnt lgkmcnt(0)
	s_add_u32 s0, s4, s0
	s_addc_u32 s1, s5, s1
	ds_bpermute_b32 v3, v1, v12
	v_lshlrev_b32_e32 v2, 2, v2
	s_waitcnt lgkmcnt(0)
	v_add_f32_e32 v4, v12, v3
	v_xor_b32_e32 v3, 4, v5
	v_xor_b32_e32 v12, 1, v5
	ds_bpermute_b32 v6, v2, v4
	v_cmp_gt_i32_e32 vcc_lo, 32, v3
	v_cndmask_b32_e32 v3, v5, v3, vcc_lo
	v_lshlrev_b32_e32 v3, 2, v3
	s_waitcnt lgkmcnt(0)
	v_add_f32_e32 v6, v4, v6
	v_xor_b32_e32 v4, 2, v5
	ds_bpermute_b32 v11, v3, v6
	v_cmp_gt_i32_e32 vcc_lo, 32, v4
	v_cndmask_b32_e32 v4, v5, v4, vcc_lo
	v_cmp_gt_i32_e32 vcc_lo, 32, v12
	v_lshlrev_b32_e32 v4, 2, v4
	v_cndmask_b32_e32 v5, v5, v12, vcc_lo
	v_cmp_eq_u32_e32 vcc_lo, 0, v0
	v_lshlrev_b32_e32 v5, 2, v5
	s_waitcnt lgkmcnt(0)
	v_add_f32_e32 v6, v6, v11
	ds_bpermute_b32 v11, v4, v6
	s_waitcnt lgkmcnt(0)
	v_add_f32_e32 v6, v6, v11
	ds_bpermute_b32 v11, v5, v6
	s_and_saveexec_b32 s3, vcc_lo
	s_cbranch_execz .LBB164_7
; %bb.6:
	s_waitcnt lgkmcnt(0)
	v_add_f32_e32 v0, v6, v11
	v_mov_b32_e32 v6, 0
	global_store_dword v6, v0, s[0:1]
.LBB164_7:
	s_or_b32 exec_lo, exec_lo, s3
	ds_bpermute_b32 v0, v1, v10
	s_waitcnt lgkmcnt(0)
	v_add_f32_e32 v0, v10, v0
	ds_bpermute_b32 v6, v2, v0
	s_waitcnt lgkmcnt(0)
	v_add_f32_e32 v0, v0, v6
	;; [unrolled: 3-line block ×4, first 2 shown]
	ds_bpermute_b32 v6, v5, v0
	s_and_saveexec_b32 s4, vcc_lo
	s_cbranch_execz .LBB164_9
; %bb.8:
	s_mov_b32 s3, 0
	s_waitcnt lgkmcnt(0)
	v_add_f32_e32 v0, v0, v6
	s_lshl_b64 s[6:7], s[2:3], 2
	v_mov_b32_e32 v6, 0
	s_add_u32 s6, s0, s6
	s_addc_u32 s7, s1, s7
	global_store_dword v6, v0, s[6:7]
.LBB164_9:
	s_or_b32 exec_lo, exec_lo, s4
	ds_bpermute_b32 v0, v1, v9
	s_waitcnt lgkmcnt(0)
	v_add_f32_e32 v0, v9, v0
	ds_bpermute_b32 v6, v2, v0
	s_waitcnt lgkmcnt(0)
	v_add_f32_e32 v0, v0, v6
	;; [unrolled: 3-line block ×4, first 2 shown]
	ds_bpermute_b32 v6, v5, v0
	s_and_saveexec_b32 s3, vcc_lo
	s_cbranch_execz .LBB164_11
; %bb.10:
	s_lshl_b32 s4, s2, 1
	s_mov_b32 s5, 0
	s_waitcnt lgkmcnt(0)
	v_add_f32_e32 v0, v0, v6
	s_lshl_b64 s[4:5], s[4:5], 2
	v_mov_b32_e32 v6, 0
	s_add_u32 s4, s0, s4
	s_addc_u32 s5, s1, s5
	global_store_dword v6, v0, s[4:5]
.LBB164_11:
	s_or_b32 exec_lo, exec_lo, s3
	ds_bpermute_b32 v0, v1, v8
	s_waitcnt lgkmcnt(0)
	v_add_f32_e32 v0, v8, v0
	ds_bpermute_b32 v6, v2, v0
	s_waitcnt lgkmcnt(0)
	v_add_f32_e32 v0, v0, v6
	;; [unrolled: 3-line block ×4, first 2 shown]
	ds_bpermute_b32 v6, v5, v0
	s_and_saveexec_b32 s3, vcc_lo
	s_cbranch_execz .LBB164_13
; %bb.12:
	s_mul_i32 s4, s2, 3
	s_mov_b32 s5, 0
	s_waitcnt lgkmcnt(0)
	v_add_f32_e32 v0, v0, v6
	s_lshl_b64 s[4:5], s[4:5], 2
	v_mov_b32_e32 v6, 0
	s_add_u32 s4, s0, s4
	s_addc_u32 s5, s1, s5
	global_store_dword v6, v0, s[4:5]
.LBB164_13:
	s_or_b32 exec_lo, exec_lo, s3
	ds_bpermute_b32 v0, v1, v7
	s_waitcnt lgkmcnt(0)
	v_add_f32_e32 v0, v7, v0
	ds_bpermute_b32 v1, v2, v0
	s_waitcnt lgkmcnt(0)
	v_add_f32_e32 v0, v0, v1
	;; [unrolled: 3-line block ×4, first 2 shown]
	ds_bpermute_b32 v1, v5, v0
	s_and_b32 exec_lo, exec_lo, vcc_lo
	s_cbranch_execz .LBB164_15
; %bb.14:
	s_lshl_b32 s2, s2, 2
	s_mov_b32 s3, 0
	s_waitcnt lgkmcnt(0)
	v_add_f32_e32 v0, v0, v1
	s_lshl_b64 s[2:3], s[2:3], 2
	v_mov_b32_e32 v1, 0
	s_add_u32 s0, s0, s2
	s_addc_u32 s1, s1, s3
	global_store_dword v1, v0, s[0:1]
.LBB164_15:
	s_endpgm
	.section	.rodata,"a",@progbits
	.p2align	6, 0x0
	.amdhsa_kernel _ZL13mul_mat_vec_qIL9ggml_type16ELi5ELb0ELb0EEvPKvS2_PKi31ggml_cuda_mm_fusion_args_devicePfj15HIP_vector_typeIjLj3EEjjjS8_jjjS8_jjjj
		.amdhsa_group_segment_fixed_size 0
		.amdhsa_private_segment_fixed_size 0
		.amdhsa_kernarg_size 144
		.amdhsa_user_sgpr_count 6
		.amdhsa_user_sgpr_private_segment_buffer 1
		.amdhsa_user_sgpr_dispatch_ptr 0
		.amdhsa_user_sgpr_queue_ptr 0
		.amdhsa_user_sgpr_kernarg_segment_ptr 1
		.amdhsa_user_sgpr_dispatch_id 0
		.amdhsa_user_sgpr_flat_scratch_init 0
		.amdhsa_user_sgpr_private_segment_size 0
		.amdhsa_wavefront_size32 1
		.amdhsa_uses_dynamic_stack 0
		.amdhsa_system_sgpr_private_segment_wavefront_offset 0
		.amdhsa_system_sgpr_workgroup_id_x 1
		.amdhsa_system_sgpr_workgroup_id_y 1
		.amdhsa_system_sgpr_workgroup_id_z 1
		.amdhsa_system_sgpr_workgroup_info 0
		.amdhsa_system_vgpr_workitem_id 1
		.amdhsa_next_free_vgpr 39
		.amdhsa_next_free_sgpr 28
		.amdhsa_reserve_vcc 1
		.amdhsa_reserve_flat_scratch 0
		.amdhsa_float_round_mode_32 0
		.amdhsa_float_round_mode_16_64 0
		.amdhsa_float_denorm_mode_32 3
		.amdhsa_float_denorm_mode_16_64 3
		.amdhsa_dx10_clamp 1
		.amdhsa_ieee_mode 1
		.amdhsa_fp16_overflow 0
		.amdhsa_workgroup_processor_mode 1
		.amdhsa_memory_ordered 1
		.amdhsa_forward_progress 1
		.amdhsa_shared_vgpr_count 0
		.amdhsa_exception_fp_ieee_invalid_op 0
		.amdhsa_exception_fp_denorm_src 0
		.amdhsa_exception_fp_ieee_div_zero 0
		.amdhsa_exception_fp_ieee_overflow 0
		.amdhsa_exception_fp_ieee_underflow 0
		.amdhsa_exception_fp_ieee_inexact 0
		.amdhsa_exception_int_div_zero 0
	.end_amdhsa_kernel
	.section	.text._ZL13mul_mat_vec_qIL9ggml_type16ELi5ELb0ELb0EEvPKvS2_PKi31ggml_cuda_mm_fusion_args_devicePfj15HIP_vector_typeIjLj3EEjjjS8_jjjS8_jjjj,"axG",@progbits,_ZL13mul_mat_vec_qIL9ggml_type16ELi5ELb0ELb0EEvPKvS2_PKi31ggml_cuda_mm_fusion_args_devicePfj15HIP_vector_typeIjLj3EEjjjS8_jjjS8_jjjj,comdat
.Lfunc_end164:
	.size	_ZL13mul_mat_vec_qIL9ggml_type16ELi5ELb0ELb0EEvPKvS2_PKi31ggml_cuda_mm_fusion_args_devicePfj15HIP_vector_typeIjLj3EEjjjS8_jjjS8_jjjj, .Lfunc_end164-_ZL13mul_mat_vec_qIL9ggml_type16ELi5ELb0ELb0EEvPKvS2_PKi31ggml_cuda_mm_fusion_args_devicePfj15HIP_vector_typeIjLj3EEjjjS8_jjjS8_jjjj
                                        ; -- End function
	.set _ZL13mul_mat_vec_qIL9ggml_type16ELi5ELb0ELb0EEvPKvS2_PKi31ggml_cuda_mm_fusion_args_devicePfj15HIP_vector_typeIjLj3EEjjjS8_jjjS8_jjjj.num_vgpr, 39
	.set _ZL13mul_mat_vec_qIL9ggml_type16ELi5ELb0ELb0EEvPKvS2_PKi31ggml_cuda_mm_fusion_args_devicePfj15HIP_vector_typeIjLj3EEjjjS8_jjjS8_jjjj.num_agpr, 0
	.set _ZL13mul_mat_vec_qIL9ggml_type16ELi5ELb0ELb0EEvPKvS2_PKi31ggml_cuda_mm_fusion_args_devicePfj15HIP_vector_typeIjLj3EEjjjS8_jjjS8_jjjj.numbered_sgpr, 28
	.set _ZL13mul_mat_vec_qIL9ggml_type16ELi5ELb0ELb0EEvPKvS2_PKi31ggml_cuda_mm_fusion_args_devicePfj15HIP_vector_typeIjLj3EEjjjS8_jjjS8_jjjj.num_named_barrier, 0
	.set _ZL13mul_mat_vec_qIL9ggml_type16ELi5ELb0ELb0EEvPKvS2_PKi31ggml_cuda_mm_fusion_args_devicePfj15HIP_vector_typeIjLj3EEjjjS8_jjjS8_jjjj.private_seg_size, 0
	.set _ZL13mul_mat_vec_qIL9ggml_type16ELi5ELb0ELb0EEvPKvS2_PKi31ggml_cuda_mm_fusion_args_devicePfj15HIP_vector_typeIjLj3EEjjjS8_jjjS8_jjjj.uses_vcc, 1
	.set _ZL13mul_mat_vec_qIL9ggml_type16ELi5ELb0ELb0EEvPKvS2_PKi31ggml_cuda_mm_fusion_args_devicePfj15HIP_vector_typeIjLj3EEjjjS8_jjjS8_jjjj.uses_flat_scratch, 0
	.set _ZL13mul_mat_vec_qIL9ggml_type16ELi5ELb0ELb0EEvPKvS2_PKi31ggml_cuda_mm_fusion_args_devicePfj15HIP_vector_typeIjLj3EEjjjS8_jjjS8_jjjj.has_dyn_sized_stack, 0
	.set _ZL13mul_mat_vec_qIL9ggml_type16ELi5ELb0ELb0EEvPKvS2_PKi31ggml_cuda_mm_fusion_args_devicePfj15HIP_vector_typeIjLj3EEjjjS8_jjjS8_jjjj.has_recursion, 0
	.set _ZL13mul_mat_vec_qIL9ggml_type16ELi5ELb0ELb0EEvPKvS2_PKi31ggml_cuda_mm_fusion_args_devicePfj15HIP_vector_typeIjLj3EEjjjS8_jjjS8_jjjj.has_indirect_call, 0
	.section	.AMDGPU.csdata,"",@progbits
; Kernel info:
; codeLenInByte = 3880
; TotalNumSgprs: 30
; NumVgprs: 39
; ScratchSize: 0
; MemoryBound: 0
; FloatMode: 240
; IeeeMode: 1
; LDSByteSize: 0 bytes/workgroup (compile time only)
; SGPRBlocks: 0
; VGPRBlocks: 4
; NumSGPRsForWavesPerEU: 30
; NumVGPRsForWavesPerEU: 39
; Occupancy: 16
; WaveLimiterHint : 0
; COMPUTE_PGM_RSRC2:SCRATCH_EN: 0
; COMPUTE_PGM_RSRC2:USER_SGPR: 6
; COMPUTE_PGM_RSRC2:TRAP_HANDLER: 0
; COMPUTE_PGM_RSRC2:TGID_X_EN: 1
; COMPUTE_PGM_RSRC2:TGID_Y_EN: 1
; COMPUTE_PGM_RSRC2:TGID_Z_EN: 1
; COMPUTE_PGM_RSRC2:TIDIG_COMP_CNT: 1
	.section	.text._ZL13mul_mat_vec_qIL9ggml_type16ELi6ELb0ELb0EEvPKvS2_PKi31ggml_cuda_mm_fusion_args_devicePfj15HIP_vector_typeIjLj3EEjjjS8_jjjS8_jjjj,"axG",@progbits,_ZL13mul_mat_vec_qIL9ggml_type16ELi6ELb0ELb0EEvPKvS2_PKi31ggml_cuda_mm_fusion_args_devicePfj15HIP_vector_typeIjLj3EEjjjS8_jjjS8_jjjj,comdat
	.globl	_ZL13mul_mat_vec_qIL9ggml_type16ELi6ELb0ELb0EEvPKvS2_PKi31ggml_cuda_mm_fusion_args_devicePfj15HIP_vector_typeIjLj3EEjjjS8_jjjS8_jjjj ; -- Begin function _ZL13mul_mat_vec_qIL9ggml_type16ELi6ELb0ELb0EEvPKvS2_PKi31ggml_cuda_mm_fusion_args_devicePfj15HIP_vector_typeIjLj3EEjjjS8_jjjS8_jjjj
	.p2align	8
	.type	_ZL13mul_mat_vec_qIL9ggml_type16ELi6ELb0ELb0EEvPKvS2_PKi31ggml_cuda_mm_fusion_args_devicePfj15HIP_vector_typeIjLj3EEjjjS8_jjjS8_jjjj,@function
_ZL13mul_mat_vec_qIL9ggml_type16ELi6ELb0ELb0EEvPKvS2_PKi31ggml_cuda_mm_fusion_args_devicePfj15HIP_vector_typeIjLj3EEjjjS8_jjjS8_jjjj: ; @_ZL13mul_mat_vec_qIL9ggml_type16ELi6ELb0ELb0EEvPKvS2_PKi31ggml_cuda_mm_fusion_args_devicePfj15HIP_vector_typeIjLj3EEjjjS8_jjjS8_jjjj
; %bb.0:
	s_clause 0x5
	s_load_dword s9, s[4:5], 0x40
	s_load_dwordx4 s[0:3], s[4:5], 0x50
	s_load_dword s11, s[4:5], 0x60
	s_load_dwordx4 s[12:15], s[4:5], 0x68
	;; [unrolled: 2-line block ×3, first 2 shown]
	v_lshl_or_b32 v2, v1, 5, v0
	v_mov_b32_e32 v8, 0
	v_mov_b32_e32 v9, 0
	v_mov_b32_e32 v10, 0
	v_mov_b32_e32 v11, 0
	v_lshrrev_b32_e32 v13, 3, v2
	v_mov_b32_e32 v12, 0
	v_mov_b32_e32 v14, 0
	s_waitcnt lgkmcnt(0)
	s_lshr_b32 s10, s9, 8
	s_mov_b32 s9, exec_lo
	v_cmpx_gt_u32_e64 s10, v13
	s_cbranch_execz .LBB165_4
; %bb.1:
	s_load_dwordx4 s[20:23], s[4:5], 0x0
	s_mul_i32 s13, s13, s7
	v_lshlrev_b32_e32 v4, 1, v0
	s_mul_hi_u32 s27, s13, 36
	s_mul_i32 s26, s13, 36
	s_mul_hi_u32 s3, s3, s7
	v_mad_u64_u32 v[2:3], null, 0x120, v13, s[26:27]
	s_mul_hi_u32 s15, s15, s8
	s_mul_i32 s17, s17, s8
	s_add_i32 s3, s7, s3
	s_add_i32 s15, s8, s15
	v_and_b32_e32 v6, 14, v4
	s_mul_i32 s25, s17, 36
	v_mad_u64_u32 v[4:5], null, s17, 36, v[2:3]
	s_lshr_b32 s3, s3, s11
	s_mul_hi_u32 s19, s17, 36
	s_lshr_b32 s11, s15, s24
	s_mul_i32 s3, s3, s12
	s_waitcnt lgkmcnt(0)
	s_add_u32 s12, s22, s25
	v_and_b32_e32 v8, 7, v0
	s_addc_u32 s13, s23, s19
	s_add_u32 s12, s12, s26
	s_addc_u32 s13, s13, s27
	v_lshlrev_b32_e32 v7, 3, v13
	v_mad_u64_u32 v[2:3], null, v8, 36, s[12:13]
	v_mad_u64_u32 v[8:9], null, v8, 36, v[4:5]
	v_lshlrev_b32_e32 v10, 1, v6
	s_mul_i32 s0, s0, s6
	v_mov_b32_e32 v15, 0
	v_add_nc_u32_e32 v16, s1, v7
	v_lshl_add_u32 v17, s1, 2, v7
	v_lshl_add_u32 v18, s1, 1, v7
	v_mad_u64_u32 v[4:5], null, s1, 5, v[7:8]
	v_mad_u64_u32 v[5:6], null, s1, 3, v[7:8]
	v_add_co_u32 v6, vcc_lo, s22, v8
	v_add_co_ci_u32_e64 v8, null, s23, v9, vcc_lo
	v_lshlrev_b32_e32 v19, 1, v10
	v_add_co_u32 v6, vcc_lo, v6, 16
	v_add_co_ci_u32_e64 v7, null, 0, v8, vcc_lo
	v_mov_b32_e32 v20, 3
	v_mov_b32_e32 v8, 0
	;; [unrolled: 1-line block ×7, first 2 shown]
	s_mul_i32 s11, s11, s16
	s_add_i32 s3, s3, s0
	s_add_i32 s11, s11, s3
	s_mov_b32 s3, 0
.LBB165_2:                              ; =>This Inner Loop Header: Depth=1
	v_add_nc_u32_e32 v21, s11, v13
	s_getpc_b64 s[0:1]
	s_add_u32 s0, s0, _ZL11iq2xxs_grid@rel32@lo+4
	s_addc_u32 s1, s1, _ZL11iq2xxs_grid@rel32@hi+12
	v_mov_b32_e32 v40, 0
	v_add_nc_u32_e32 v13, 4, v13
	v_mad_i64_i32 v[31:32], null, 0x42, v21, s[20:21]
	v_add_co_u32 v21, vcc_lo, v31, v19
	v_add_co_ci_u32_e64 v22, null, 0, v32, vcc_lo
	global_load_dwordx2 v[29:30], v[21:22], off offset:2
	s_waitcnt vmcnt(0)
	v_lshlrev_b32_sdwa v21, v20, v29 dst_sel:DWORD dst_unused:UNUSED_PAD src0_sel:DWORD src1_sel:BYTE_0
	v_and_b32_e32 v23, 0xff, v30
	global_load_dwordx2 v[21:22], v21, s[0:1]
	v_bcnt_u32_b32 v24, v23, 0
	v_and_b32_e32 v24, 1, v24
	v_lshlrev_b32_e32 v24, 7, v24
	v_xor_b32_e32 v23, v24, v23
	v_mul_lo_u32 v23, 0x1010101, v23
	v_and_b32_e32 v24, 0x8040201, v23
	v_lshrrev_b32_e32 v25, 18, v23
	v_cmp_ne_u16_sdwa s12, v24, v15 src0_sel:BYTE_3 src1_sel:DWORD
	v_cmp_ne_u16_sdwa s13, v24, v15 src0_sel:BYTE_1 src1_sel:DWORD
	v_bfe_i32 v24, v23, 0, 1
	v_bfe_i32 v25, v25, 0, 1
	v_cndmask_b32_e64 v28, 0, -1, s12
	v_cndmask_b32_e64 v26, 0, -1, s13
	v_lshlrev_b16 v28, 8, v28
	v_lshlrev_b16 v26, 8, v26
	v_or_b32_sdwa v33, v25, v28 dst_sel:WORD_1 dst_unused:UNUSED_PAD src0_sel:BYTE_0 src1_sel:DWORD
	v_or_b32_sdwa v27, v24, v26 dst_sel:DWORD dst_unused:UNUSED_PAD src0_sel:BYTE_0 src1_sel:DWORD
	v_lshlrev_b16 v24, 8, v24
	v_lshlrev_b16 v25, 8, v25
	v_or_b32_sdwa v27, v27, v33 dst_sel:DWORD dst_unused:UNUSED_PAD src0_sel:WORD_0 src1_sel:DWORD
	s_waitcnt vmcnt(0)
	v_xor_b32_e32 v21, v21, v27
	v_lshrrev_b32_e32 v27, 16, v21
	v_and_b32_e32 v33, 0xffffff00, v21
	v_lshlrev_b16 v21, 8, v21
	v_sub_nc_i16 v26, v33, v26 clamp
	v_sub_nc_i16 v21, v21, v24 clamp
	v_and_b32_e32 v24, 0xffffff00, v27
	v_perm_b32 v21, v21, v26, 0xc0c0105
	v_lshlrev_b16 v26, 8, v27
	v_sub_nc_i16 v24, v24, v28 clamp
	v_sub_nc_i16 v25, v26, v25 clamp
	v_perm_b32 v24, v25, v24, 0xc0c0105
	v_lshl_or_b32 v21, v24, 16, v21
	v_and_b32_e32 v24, 0x80402010, v23
	v_lshrrev_b32_e32 v23, 22, v23
	v_cmp_ne_u16_sdwa s12, v24, v15 src0_sel:BYTE_3 src1_sel:DWORD
	v_cmp_ne_u16_sdwa s13, v24, v15 src0_sel:BYTE_1 src1_sel:DWORD
	v_lshrrev_b16 v24, 4, v24
	v_bfe_i32 v23, v23, 0, 1
	v_cndmask_b32_e64 v27, 0, -1, s12
	v_cndmask_b32_e64 v25, 0, -1, s13
	v_bfe_i32 v24, v24, 0, 1
	v_lshlrev_b16 v27, 8, v27
	v_lshlrev_b16 v25, 8, v25
	v_or_b32_sdwa v28, v23, v27 dst_sel:WORD_1 dst_unused:UNUSED_PAD src0_sel:BYTE_0 src1_sel:DWORD
	v_or_b32_sdwa v26, v24, v25 dst_sel:DWORD dst_unused:UNUSED_PAD src0_sel:BYTE_0 src1_sel:DWORD
	v_lshlrev_b16 v24, 8, v24
	v_lshlrev_b16 v23, 8, v23
	v_or_b32_sdwa v26, v26, v28 dst_sel:DWORD dst_unused:UNUSED_PAD src0_sel:WORD_0 src1_sel:DWORD
	v_xor_b32_e32 v22, v22, v26
	v_lshrrev_b32_e32 v26, 16, v22
	v_and_b32_e32 v28, 0xffffff00, v22
	v_lshlrev_b16 v22, 8, v22
	v_sub_nc_i16 v25, v28, v25 clamp
	v_sub_nc_i16 v22, v22, v24 clamp
	v_and_b32_e32 v24, 0xffffff00, v26
	v_perm_b32 v22, v22, v25, 0xc0c0105
	v_lshlrev_b16 v25, 8, v26
	v_sub_nc_i16 v24, v24, v27 clamp
	v_sub_nc_i16 v23, v25, v23 clamp
	v_bfe_u32 v25, v30, 7, 8
	v_perm_b32 v23, v23, v24, 0xc0c0105
	v_bcnt_u32_b32 v26, v25, 0
	v_lshl_or_b32 v22, v23, 16, v22
	v_lshlrev_b32_sdwa v23, v20, v29 dst_sel:DWORD dst_unused:UNUSED_PAD src0_sel:DWORD src1_sel:BYTE_1
	v_and_b32_e32 v26, 1, v26
	global_load_dwordx2 v[23:24], v23, s[0:1]
	v_lshlrev_b32_e32 v26, 7, v26
	v_xor_b32_e32 v25, v26, v25
	v_mul_lo_u32 v25, 0x1010101, v25
	v_and_b32_e32 v26, 0x8040201, v25
	v_lshrrev_b32_e32 v27, 18, v25
	v_cmp_ne_u16_sdwa s12, v26, v15 src0_sel:BYTE_3 src1_sel:DWORD
	v_cmp_ne_u16_sdwa s13, v26, v15 src0_sel:BYTE_1 src1_sel:DWORD
	v_bfe_i32 v26, v25, 0, 1
	v_bfe_i32 v27, v27, 0, 1
	v_cndmask_b32_e64 v34, 0, -1, s12
	v_cndmask_b32_e64 v28, 0, -1, s13
	v_lshlrev_b16 v34, 8, v34
	v_lshlrev_b16 v28, 8, v28
	v_or_b32_sdwa v35, v27, v34 dst_sel:WORD_1 dst_unused:UNUSED_PAD src0_sel:BYTE_0 src1_sel:DWORD
	v_or_b32_sdwa v33, v26, v28 dst_sel:DWORD dst_unused:UNUSED_PAD src0_sel:BYTE_0 src1_sel:DWORD
	v_lshlrev_b16 v26, 8, v26
	v_lshlrev_b16 v27, 8, v27
	v_or_b32_sdwa v33, v33, v35 dst_sel:DWORD dst_unused:UNUSED_PAD src0_sel:WORD_0 src1_sel:DWORD
	s_waitcnt vmcnt(0)
	v_xor_b32_e32 v23, v23, v33
	v_lshrrev_b32_e32 v33, 16, v23
	v_and_b32_e32 v35, 0xffffff00, v23
	v_lshlrev_b16 v23, 8, v23
	v_sub_nc_i16 v28, v35, v28 clamp
	v_sub_nc_i16 v23, v23, v26 clamp
	v_and_b32_e32 v26, 0xffffff00, v33
	v_perm_b32 v23, v23, v28, 0xc0c0105
	v_lshlrev_b16 v28, 8, v33
	v_sub_nc_i16 v26, v26, v34 clamp
	v_sub_nc_i16 v27, v28, v27 clamp
	v_perm_b32 v26, v27, v26, 0xc0c0105
	v_lshl_or_b32 v23, v26, 16, v23
	v_and_b32_e32 v26, 0x80402010, v25
	v_lshrrev_b32_e32 v25, 22, v25
	v_cmp_ne_u16_sdwa s12, v26, v15 src0_sel:BYTE_3 src1_sel:DWORD
	v_cmp_ne_u16_sdwa s13, v26, v15 src0_sel:BYTE_1 src1_sel:DWORD
	v_lshrrev_b16 v26, 4, v26
	v_bfe_i32 v25, v25, 0, 1
	v_cndmask_b32_e64 v33, 0, -1, s12
	v_cndmask_b32_e64 v27, 0, -1, s13
	v_bfe_i32 v26, v26, 0, 1
	v_lshlrev_b16 v33, 8, v33
	v_lshlrev_b16 v27, 8, v27
	v_or_b32_sdwa v34, v25, v33 dst_sel:WORD_1 dst_unused:UNUSED_PAD src0_sel:BYTE_0 src1_sel:DWORD
	v_or_b32_sdwa v28, v26, v27 dst_sel:DWORD dst_unused:UNUSED_PAD src0_sel:BYTE_0 src1_sel:DWORD
	v_lshlrev_b16 v26, 8, v26
	v_lshlrev_b16 v25, 8, v25
	v_or_b32_sdwa v28, v28, v34 dst_sel:DWORD dst_unused:UNUSED_PAD src0_sel:WORD_0 src1_sel:DWORD
	v_xor_b32_e32 v24, v24, v28
	v_lshrrev_b32_e32 v28, 16, v24
	v_and_b32_e32 v34, 0xffffff00, v24
	v_lshlrev_b16 v24, 8, v24
	v_sub_nc_i16 v27, v34, v27 clamp
	v_sub_nc_i16 v24, v24, v26 clamp
	v_and_b32_e32 v26, 0xffffff00, v28
	v_perm_b32 v24, v24, v27, 0xc0c0105
	v_lshlrev_b16 v27, 8, v28
	v_sub_nc_i16 v26, v26, v33 clamp
	v_sub_nc_i16 v25, v27, v25 clamp
	v_bfe_u32 v27, v30, 14, 8
	v_perm_b32 v25, v25, v26, 0xc0c0105
	v_bcnt_u32_b32 v28, v27, 0
	v_lshl_or_b32 v24, v25, 16, v24
	v_lshlrev_b32_sdwa v25, v20, v29 dst_sel:DWORD dst_unused:UNUSED_PAD src0_sel:DWORD src1_sel:BYTE_2
	v_and_b32_e32 v28, 1, v28
	global_load_dwordx2 v[25:26], v25, s[0:1]
	v_lshlrev_b32_e32 v28, 7, v28
	v_xor_b32_e32 v27, v28, v27
	v_mul_lo_u32 v27, 0x1010101, v27
	v_and_b32_e32 v28, 0x8040201, v27
	v_lshrrev_b32_e32 v33, 18, v27
	v_cmp_ne_u16_sdwa s12, v28, v15 src0_sel:BYTE_3 src1_sel:DWORD
	v_cmp_ne_u16_sdwa s13, v28, v15 src0_sel:BYTE_1 src1_sel:DWORD
	v_bfe_i32 v28, v27, 0, 1
	v_bfe_i32 v33, v33, 0, 1
	v_cndmask_b32_e64 v36, 0, -1, s12
	v_cndmask_b32_e64 v34, 0, -1, s13
	v_lshlrev_b16 v36, 8, v36
	v_lshlrev_b16 v34, 8, v34
	v_or_b32_sdwa v37, v33, v36 dst_sel:WORD_1 dst_unused:UNUSED_PAD src0_sel:BYTE_0 src1_sel:DWORD
	v_or_b32_sdwa v35, v28, v34 dst_sel:DWORD dst_unused:UNUSED_PAD src0_sel:BYTE_0 src1_sel:DWORD
	v_lshlrev_b16 v28, 8, v28
	v_lshlrev_b16 v33, 8, v33
	v_or_b32_sdwa v35, v35, v37 dst_sel:DWORD dst_unused:UNUSED_PAD src0_sel:WORD_0 src1_sel:DWORD
	s_waitcnt vmcnt(0)
	v_xor_b32_e32 v25, v25, v35
	v_lshrrev_b32_e32 v35, 16, v25
	v_and_b32_e32 v37, 0xffffff00, v25
	v_lshlrev_b16 v25, 8, v25
	v_sub_nc_i16 v34, v37, v34 clamp
	v_sub_nc_i16 v25, v25, v28 clamp
	v_and_b32_e32 v28, 0xffffff00, v35
	v_perm_b32 v25, v25, v34, 0xc0c0105
	v_lshlrev_b16 v34, 8, v35
	v_sub_nc_i16 v28, v28, v36 clamp
	v_sub_nc_i16 v33, v34, v33 clamp
	v_perm_b32 v28, v33, v28, 0xc0c0105
	v_lshl_or_b32 v25, v28, 16, v25
	v_and_b32_e32 v28, 0x80402010, v27
	v_lshrrev_b32_e32 v27, 22, v27
	v_cmp_ne_u16_sdwa s12, v28, v15 src0_sel:BYTE_3 src1_sel:DWORD
	v_cmp_ne_u16_sdwa s13, v28, v15 src0_sel:BYTE_1 src1_sel:DWORD
	v_lshrrev_b16 v28, 4, v28
	v_bfe_i32 v27, v27, 0, 1
	v_cndmask_b32_e64 v35, 0, -1, s12
	v_cndmask_b32_e64 v33, 0, -1, s13
	v_bfe_i32 v28, v28, 0, 1
	v_lshlrev_b16 v35, 8, v35
	v_lshlrev_b16 v33, 8, v33
	v_or_b32_sdwa v36, v27, v35 dst_sel:WORD_1 dst_unused:UNUSED_PAD src0_sel:BYTE_0 src1_sel:DWORD
	v_or_b32_sdwa v34, v28, v33 dst_sel:DWORD dst_unused:UNUSED_PAD src0_sel:BYTE_0 src1_sel:DWORD
	v_lshlrev_b16 v28, 8, v28
	v_lshlrev_b16 v27, 8, v27
	v_or_b32_sdwa v34, v34, v36 dst_sel:DWORD dst_unused:UNUSED_PAD src0_sel:WORD_0 src1_sel:DWORD
	v_xor_b32_e32 v26, v26, v34
	v_lshrrev_b32_e32 v34, 16, v26
	v_and_b32_e32 v36, 0xffffff00, v26
	v_lshlrev_b16 v26, 8, v26
	v_sub_nc_i16 v33, v36, v33 clamp
	v_sub_nc_i16 v26, v26, v28 clamp
	v_and_b32_e32 v28, 0xffffff00, v34
	v_perm_b32 v26, v26, v33, 0xc0c0105
	v_lshlrev_b16 v33, 8, v34
	v_sub_nc_i16 v28, v28, v35 clamp
	v_sub_nc_i16 v27, v33, v27 clamp
	v_perm_b32 v27, v27, v28, 0xc0c0105
	v_lshl_or_b32 v26, v27, 16, v26
	v_lshlrev_b32_sdwa v27, v20, v29 dst_sel:DWORD dst_unused:UNUSED_PAD src0_sel:DWORD src1_sel:BYTE_3
	global_load_dwordx2 v[28:29], v27, s[0:1]
	v_bfe_u32 v27, v30, 21, 8
	v_bcnt_u32_b32 v33, v27, 0
	v_and_b32_e32 v33, 1, v33
	v_lshlrev_b32_e32 v33, 7, v33
	v_xor_b32_e32 v27, v33, v27
	v_mul_lo_u32 v27, 0x1010101, v27
	v_and_b32_e32 v33, 0x8040201, v27
	v_lshrrev_b32_e32 v34, 18, v27
	v_cmp_ne_u16_sdwa s0, v33, v15 src0_sel:BYTE_3 src1_sel:DWORD
	v_cmp_ne_u16_sdwa s1, v33, v15 src0_sel:BYTE_1 src1_sel:DWORD
	v_bfe_i32 v33, v27, 0, 1
	v_bfe_i32 v34, v34, 0, 1
	v_cndmask_b32_e64 v37, 0, -1, s0
	v_cndmask_b32_e64 v35, 0, -1, s1
	v_lshlrev_b16 v37, 8, v37
	v_lshlrev_b16 v35, 8, v35
	v_or_b32_sdwa v38, v34, v37 dst_sel:WORD_1 dst_unused:UNUSED_PAD src0_sel:BYTE_0 src1_sel:DWORD
	v_or_b32_sdwa v36, v33, v35 dst_sel:DWORD dst_unused:UNUSED_PAD src0_sel:BYTE_0 src1_sel:DWORD
	v_lshlrev_b16 v33, 8, v33
	v_lshlrev_b16 v34, 8, v34
	v_or_b32_sdwa v36, v36, v38 dst_sel:DWORD dst_unused:UNUSED_PAD src0_sel:WORD_0 src1_sel:DWORD
	s_waitcnt vmcnt(0)
	v_xor_b32_e32 v28, v28, v36
	v_lshrrev_b32_e32 v36, 16, v28
	v_and_b32_e32 v38, 0xffffff00, v28
	v_lshlrev_b16 v28, 8, v28
	v_sub_nc_i16 v35, v38, v35 clamp
	v_sub_nc_i16 v28, v28, v33 clamp
	v_and_b32_e32 v33, 0xffffff00, v36
	v_perm_b32 v28, v28, v35, 0xc0c0105
	v_lshlrev_b16 v35, 8, v36
	v_sub_nc_i16 v33, v33, v37 clamp
	v_sub_nc_i16 v34, v35, v34 clamp
	v_perm_b32 v33, v34, v33, 0xc0c0105
	v_lshl_or_b32 v28, v33, 16, v28
	v_and_b32_e32 v33, 0x80402010, v27
	v_lshrrev_b32_e32 v27, 22, v27
	v_cmp_ne_u16_sdwa s0, v33, v15 src0_sel:BYTE_3 src1_sel:DWORD
	v_cmp_ne_u16_sdwa s1, v33, v15 src0_sel:BYTE_1 src1_sel:DWORD
	v_lshrrev_b16 v33, 4, v33
	v_bfe_i32 v27, v27, 0, 1
	v_cndmask_b32_e64 v36, 0, -1, s0
	v_cndmask_b32_e64 v34, 0, -1, s1
	v_bfe_i32 v33, v33, 0, 1
	v_lshlrev_b16 v36, 8, v36
	v_lshlrev_b16 v34, 8, v34
	v_or_b32_sdwa v37, v27, v36 dst_sel:WORD_1 dst_unused:UNUSED_PAD src0_sel:BYTE_0 src1_sel:DWORD
	v_or_b32_sdwa v35, v33, v34 dst_sel:DWORD dst_unused:UNUSED_PAD src0_sel:BYTE_0 src1_sel:DWORD
	v_lshlrev_b16 v33, 8, v33
	v_lshlrev_b16 v27, 8, v27
	v_or_b32_sdwa v35, v35, v37 dst_sel:DWORD dst_unused:UNUSED_PAD src0_sel:WORD_0 src1_sel:DWORD
	v_xor_b32_e32 v29, v29, v35
	v_lshrrev_b32_e32 v35, 16, v29
	v_and_b32_e32 v37, 0xffffff00, v29
	v_lshlrev_b16 v29, 8, v29
	v_sub_nc_i16 v34, v37, v34 clamp
	v_sub_nc_i16 v29, v29, v33 clamp
	v_and_b32_e32 v33, 0xffffff00, v35
	v_perm_b32 v29, v29, v34, 0xc0c0105
	v_lshlrev_b16 v34, 8, v35
	v_sub_nc_i16 v33, v33, v36 clamp
	v_sub_nc_i16 v27, v34, v27 clamp
	v_perm_b32 v27, v27, v33, 0xc0c0105
	v_lshl_or_b32 v29, v27, 16, v29
	v_lshrrev_b32_e32 v27, 27, v30
	v_or_b32_e32 v30, 1, v27
	global_load_ushort v27, v[31:32], off
	s_clause 0x2
	global_load_dwordx4 v[31:34], v[6:7], off offset:-16
	global_load_dword v39, v[6:7], off offset:16
	global_load_dwordx4 v[35:38], v[6:7], off
	v_add_co_u32 v6, vcc_lo, 0x480, v6
	v_add_co_ci_u32_e64 v7, null, 0, v7, vcc_lo
	v_cmp_le_u32_e32 vcc_lo, s10, v13
	s_or_b32 s3, vcc_lo, s3
	s_waitcnt vmcnt(2)
	v_dot4c_i32_i8 v40, v21, v32
	v_cvt_f32_f16_e32 v27, v27
	v_cvt_f32_f16_e32 v31, v31
	v_dot4c_i32_i8 v40, v22, v33
	v_mul_f32_e32 v31, v27, v31
	v_dot4c_i32_i8 v40, v23, v34
	s_waitcnt vmcnt(0)
	v_dot4c_i32_i8 v40, v24, v35
	v_dot4c_i32_i8 v40, v25, v36
	v_mad_u64_u32 v[35:36], null, v16, 36, v[2:3]
	v_add_nc_u32_e32 v16, 32, v16
	v_dot4c_i32_i8 v40, v26, v37
	v_dot4c_i32_i8 v40, v28, v38
	v_dot4c_i32_i8 v40, v29, v39
	v_mul_lo_u32 v32, v40, v30
	v_mov_b32_e32 v40, 0
	v_ashrrev_i32_e32 v33, 31, v32
	v_lshrrev_b32_e32 v33, 29, v33
	v_add_nc_u32_e32 v32, v32, v33
	v_ashrrev_i32_e32 v32, 3, v32
	v_cvt_f32_i32_e32 v32, v32
	v_fmac_f32_e32 v14, v31, v32
	s_clause 0x2
	global_load_dwordx4 v[31:34], v[35:36], off
	global_load_dword v39, v[35:36], off offset:32
	global_load_dwordx4 v[35:38], v[35:36], off offset:16
	s_waitcnt vmcnt(2)
	v_dot4c_i32_i8 v40, v21, v32
	v_cvt_f32_f16_e32 v31, v31
	v_dot4c_i32_i8 v40, v22, v33
	v_mul_f32_e32 v31, v27, v31
	v_dot4c_i32_i8 v40, v23, v34
	s_waitcnt vmcnt(0)
	v_dot4c_i32_i8 v40, v24, v35
	v_dot4c_i32_i8 v40, v25, v36
	v_mad_u64_u32 v[35:36], null, v18, 36, v[2:3]
	v_add_nc_u32_e32 v18, 32, v18
	v_dot4c_i32_i8 v40, v26, v37
	v_dot4c_i32_i8 v40, v28, v38
	v_dot4c_i32_i8 v40, v29, v39
	v_mul_lo_u32 v32, v40, v30
	v_mov_b32_e32 v40, 0
	v_ashrrev_i32_e32 v33, 31, v32
	v_lshrrev_b32_e32 v33, 29, v33
	v_add_nc_u32_e32 v32, v32, v33
	v_ashrrev_i32_e32 v32, 3, v32
	v_cvt_f32_i32_e32 v32, v32
	v_fmac_f32_e32 v12, v31, v32
	s_clause 0x2
	global_load_dwordx4 v[31:34], v[35:36], off
	global_load_dword v39, v[35:36], off offset:32
	global_load_dwordx4 v[35:38], v[35:36], off offset:16
	s_waitcnt vmcnt(2)
	v_dot4c_i32_i8 v40, v21, v32
	;; [unrolled: 26-line block ×5, first 2 shown]
	v_dot4c_i32_i8 v40, v22, v33
	v_dot4c_i32_i8 v40, v23, v34
	s_waitcnt vmcnt(0)
	v_dot4c_i32_i8 v40, v24, v35
	v_dot4c_i32_i8 v40, v25, v36
	;; [unrolled: 1-line block ×5, first 2 shown]
	v_mul_lo_u32 v21, v40, v30
	v_ashrrev_i32_e32 v22, 31, v21
	v_lshrrev_b32_e32 v22, 29, v22
	v_add_nc_u32_e32 v21, v21, v22
	v_cvt_f32_f16_e32 v22, v31
	v_ashrrev_i32_e32 v21, 3, v21
	v_mul_f32_e32 v22, v27, v22
	v_cvt_f32_i32_e32 v21, v21
	v_fmac_f32_e32 v8, v22, v21
	s_andn2_b32 exec_lo, exec_lo, s3
	s_cbranch_execnz .LBB165_2
; %bb.3:
	s_or_b32 exec_lo, exec_lo, s3
.LBB165_4:
	s_or_b32 exec_lo, exec_lo, s9
	s_mov_b32 s1, 0
	; wave barrier
	buffer_gl0_inv
	s_mov_b32 s0, exec_lo
	v_cmpx_eq_u32_e32 0, v1
	s_cbranch_execz .LBB165_17
; %bb.5:
	v_mbcnt_lo_u32_b32 v5, -1, 0
	s_load_dwordx2 s[4:5], s[4:5], 0x38
	s_mul_i32 s0, s14, s7
	s_mul_i32 s3, s18, s8
	s_add_i32 s0, s0, s6
	v_xor_b32_e32 v1, 16, v5
	v_xor_b32_e32 v2, 8, v5
	;; [unrolled: 1-line block ×3, first 2 shown]
	s_add_i32 s0, s0, s3
	s_lshl_b64 s[0:1], s[0:1], 2
	v_cmp_gt_i32_e32 vcc_lo, 32, v1
	v_cndmask_b32_e32 v1, v5, v1, vcc_lo
	v_cmp_gt_i32_e32 vcc_lo, 32, v2
	v_lshlrev_b32_e32 v1, 2, v1
	v_cndmask_b32_e32 v2, v5, v2, vcc_lo
	s_waitcnt lgkmcnt(0)
	s_add_u32 s0, s4, s0
	s_addc_u32 s1, s5, s1
	ds_bpermute_b32 v3, v1, v14
	v_lshlrev_b32_e32 v2, 2, v2
	s_waitcnt lgkmcnt(0)
	v_add_f32_e32 v4, v14, v3
	v_xor_b32_e32 v3, 4, v5
	ds_bpermute_b32 v6, v2, v4
	v_cmp_gt_i32_e32 vcc_lo, 32, v3
	v_cndmask_b32_e32 v3, v5, v3, vcc_lo
	v_lshlrev_b32_e32 v3, 2, v3
	s_waitcnt lgkmcnt(0)
	v_add_f32_e32 v6, v4, v6
	v_xor_b32_e32 v4, 2, v5
	ds_bpermute_b32 v7, v3, v6
	v_cmp_gt_i32_e32 vcc_lo, 32, v4
	v_cndmask_b32_e32 v4, v5, v4, vcc_lo
	v_cmp_gt_i32_e32 vcc_lo, 32, v13
	v_lshlrev_b32_e32 v4, 2, v4
	v_cndmask_b32_e32 v5, v5, v13, vcc_lo
	v_cmp_eq_u32_e32 vcc_lo, 0, v0
	v_lshlrev_b32_e32 v5, 2, v5
	s_waitcnt lgkmcnt(0)
	v_add_f32_e32 v6, v6, v7
	ds_bpermute_b32 v7, v4, v6
	s_waitcnt lgkmcnt(0)
	v_add_f32_e32 v6, v6, v7
	ds_bpermute_b32 v7, v5, v6
	s_and_saveexec_b32 s3, vcc_lo
	s_cbranch_execz .LBB165_7
; %bb.6:
	s_waitcnt lgkmcnt(0)
	v_add_f32_e32 v0, v6, v7
	v_mov_b32_e32 v6, 0
	global_store_dword v6, v0, s[0:1]
.LBB165_7:
	s_or_b32 exec_lo, exec_lo, s3
	ds_bpermute_b32 v0, v1, v12
	s_waitcnt lgkmcnt(0)
	v_add_f32_e32 v0, v12, v0
	ds_bpermute_b32 v6, v2, v0
	s_waitcnt lgkmcnt(0)
	v_add_f32_e32 v0, v0, v6
	;; [unrolled: 3-line block ×4, first 2 shown]
	ds_bpermute_b32 v6, v5, v0
	s_and_saveexec_b32 s4, vcc_lo
	s_cbranch_execz .LBB165_9
; %bb.8:
	s_mov_b32 s3, 0
	s_waitcnt lgkmcnt(0)
	v_add_f32_e32 v0, v0, v6
	s_lshl_b64 s[6:7], s[2:3], 2
	v_mov_b32_e32 v6, 0
	s_add_u32 s6, s0, s6
	s_addc_u32 s7, s1, s7
	global_store_dword v6, v0, s[6:7]
.LBB165_9:
	s_or_b32 exec_lo, exec_lo, s4
	ds_bpermute_b32 v0, v1, v11
	s_waitcnt lgkmcnt(0)
	v_add_f32_e32 v0, v11, v0
	ds_bpermute_b32 v6, v2, v0
	s_waitcnt lgkmcnt(0)
	v_add_f32_e32 v0, v0, v6
	;; [unrolled: 3-line block ×4, first 2 shown]
	ds_bpermute_b32 v6, v5, v0
	s_and_saveexec_b32 s3, vcc_lo
	s_cbranch_execz .LBB165_11
; %bb.10:
	s_lshl_b32 s4, s2, 1
	s_mov_b32 s5, 0
	s_waitcnt lgkmcnt(0)
	v_add_f32_e32 v0, v0, v6
	s_lshl_b64 s[4:5], s[4:5], 2
	v_mov_b32_e32 v6, 0
	s_add_u32 s4, s0, s4
	s_addc_u32 s5, s1, s5
	global_store_dword v6, v0, s[4:5]
.LBB165_11:
	s_or_b32 exec_lo, exec_lo, s3
	ds_bpermute_b32 v0, v1, v10
	s_waitcnt lgkmcnt(0)
	v_add_f32_e32 v0, v10, v0
	ds_bpermute_b32 v6, v2, v0
	s_waitcnt lgkmcnt(0)
	v_add_f32_e32 v0, v0, v6
	;; [unrolled: 3-line block ×4, first 2 shown]
	ds_bpermute_b32 v6, v5, v0
	s_and_saveexec_b32 s3, vcc_lo
	s_cbranch_execz .LBB165_13
; %bb.12:
	s_mul_i32 s4, s2, 3
	s_mov_b32 s5, 0
	s_waitcnt lgkmcnt(0)
	v_add_f32_e32 v0, v0, v6
	s_lshl_b64 s[4:5], s[4:5], 2
	v_mov_b32_e32 v6, 0
	s_add_u32 s4, s0, s4
	s_addc_u32 s5, s1, s5
	global_store_dword v6, v0, s[4:5]
.LBB165_13:
	s_or_b32 exec_lo, exec_lo, s3
	ds_bpermute_b32 v0, v1, v9
	s_waitcnt lgkmcnt(0)
	v_add_f32_e32 v0, v9, v0
	ds_bpermute_b32 v6, v2, v0
	s_waitcnt lgkmcnt(0)
	v_add_f32_e32 v0, v0, v6
	;; [unrolled: 3-line block ×4, first 2 shown]
	ds_bpermute_b32 v6, v5, v0
	s_and_saveexec_b32 s3, vcc_lo
	s_cbranch_execz .LBB165_15
; %bb.14:
	s_lshl_b32 s4, s2, 2
	s_mov_b32 s5, 0
	s_waitcnt lgkmcnt(0)
	v_add_f32_e32 v0, v0, v6
	s_lshl_b64 s[4:5], s[4:5], 2
	v_mov_b32_e32 v6, 0
	s_add_u32 s4, s0, s4
	s_addc_u32 s5, s1, s5
	global_store_dword v6, v0, s[4:5]
.LBB165_15:
	s_or_b32 exec_lo, exec_lo, s3
	ds_bpermute_b32 v0, v1, v8
	s_waitcnt lgkmcnt(0)
	v_add_f32_e32 v0, v8, v0
	ds_bpermute_b32 v1, v2, v0
	s_waitcnt lgkmcnt(0)
	v_add_f32_e32 v0, v0, v1
	;; [unrolled: 3-line block ×4, first 2 shown]
	ds_bpermute_b32 v1, v5, v0
	s_and_b32 exec_lo, exec_lo, vcc_lo
	s_cbranch_execz .LBB165_17
; %bb.16:
	s_mul_i32 s2, s2, 5
	s_mov_b32 s3, 0
	s_waitcnt lgkmcnt(0)
	v_add_f32_e32 v0, v0, v1
	s_lshl_b64 s[2:3], s[2:3], 2
	v_mov_b32_e32 v1, 0
	s_add_u32 s0, s0, s2
	s_addc_u32 s1, s1, s3
	global_store_dword v1, v0, s[0:1]
.LBB165_17:
	s_endpgm
	.section	.rodata,"a",@progbits
	.p2align	6, 0x0
	.amdhsa_kernel _ZL13mul_mat_vec_qIL9ggml_type16ELi6ELb0ELb0EEvPKvS2_PKi31ggml_cuda_mm_fusion_args_devicePfj15HIP_vector_typeIjLj3EEjjjS8_jjjS8_jjjj
		.amdhsa_group_segment_fixed_size 0
		.amdhsa_private_segment_fixed_size 0
		.amdhsa_kernarg_size 144
		.amdhsa_user_sgpr_count 6
		.amdhsa_user_sgpr_private_segment_buffer 1
		.amdhsa_user_sgpr_dispatch_ptr 0
		.amdhsa_user_sgpr_queue_ptr 0
		.amdhsa_user_sgpr_kernarg_segment_ptr 1
		.amdhsa_user_sgpr_dispatch_id 0
		.amdhsa_user_sgpr_flat_scratch_init 0
		.amdhsa_user_sgpr_private_segment_size 0
		.amdhsa_wavefront_size32 1
		.amdhsa_uses_dynamic_stack 0
		.amdhsa_system_sgpr_private_segment_wavefront_offset 0
		.amdhsa_system_sgpr_workgroup_id_x 1
		.amdhsa_system_sgpr_workgroup_id_y 1
		.amdhsa_system_sgpr_workgroup_id_z 1
		.amdhsa_system_sgpr_workgroup_info 0
		.amdhsa_system_vgpr_workitem_id 1
		.amdhsa_next_free_vgpr 41
		.amdhsa_next_free_sgpr 28
		.amdhsa_reserve_vcc 1
		.amdhsa_reserve_flat_scratch 0
		.amdhsa_float_round_mode_32 0
		.amdhsa_float_round_mode_16_64 0
		.amdhsa_float_denorm_mode_32 3
		.amdhsa_float_denorm_mode_16_64 3
		.amdhsa_dx10_clamp 1
		.amdhsa_ieee_mode 1
		.amdhsa_fp16_overflow 0
		.amdhsa_workgroup_processor_mode 1
		.amdhsa_memory_ordered 1
		.amdhsa_forward_progress 1
		.amdhsa_shared_vgpr_count 0
		.amdhsa_exception_fp_ieee_invalid_op 0
		.amdhsa_exception_fp_denorm_src 0
		.amdhsa_exception_fp_ieee_div_zero 0
		.amdhsa_exception_fp_ieee_overflow 0
		.amdhsa_exception_fp_ieee_underflow 0
		.amdhsa_exception_fp_ieee_inexact 0
		.amdhsa_exception_int_div_zero 0
	.end_amdhsa_kernel
	.section	.text._ZL13mul_mat_vec_qIL9ggml_type16ELi6ELb0ELb0EEvPKvS2_PKi31ggml_cuda_mm_fusion_args_devicePfj15HIP_vector_typeIjLj3EEjjjS8_jjjS8_jjjj,"axG",@progbits,_ZL13mul_mat_vec_qIL9ggml_type16ELi6ELb0ELb0EEvPKvS2_PKi31ggml_cuda_mm_fusion_args_devicePfj15HIP_vector_typeIjLj3EEjjjS8_jjjS8_jjjj,comdat
.Lfunc_end165:
	.size	_ZL13mul_mat_vec_qIL9ggml_type16ELi6ELb0ELb0EEvPKvS2_PKi31ggml_cuda_mm_fusion_args_devicePfj15HIP_vector_typeIjLj3EEjjjS8_jjjS8_jjjj, .Lfunc_end165-_ZL13mul_mat_vec_qIL9ggml_type16ELi6ELb0ELb0EEvPKvS2_PKi31ggml_cuda_mm_fusion_args_devicePfj15HIP_vector_typeIjLj3EEjjjS8_jjjS8_jjjj
                                        ; -- End function
	.set _ZL13mul_mat_vec_qIL9ggml_type16ELi6ELb0ELb0EEvPKvS2_PKi31ggml_cuda_mm_fusion_args_devicePfj15HIP_vector_typeIjLj3EEjjjS8_jjjS8_jjjj.num_vgpr, 41
	.set _ZL13mul_mat_vec_qIL9ggml_type16ELi6ELb0ELb0EEvPKvS2_PKi31ggml_cuda_mm_fusion_args_devicePfj15HIP_vector_typeIjLj3EEjjjS8_jjjS8_jjjj.num_agpr, 0
	.set _ZL13mul_mat_vec_qIL9ggml_type16ELi6ELb0ELb0EEvPKvS2_PKi31ggml_cuda_mm_fusion_args_devicePfj15HIP_vector_typeIjLj3EEjjjS8_jjjS8_jjjj.numbered_sgpr, 28
	.set _ZL13mul_mat_vec_qIL9ggml_type16ELi6ELb0ELb0EEvPKvS2_PKi31ggml_cuda_mm_fusion_args_devicePfj15HIP_vector_typeIjLj3EEjjjS8_jjjS8_jjjj.num_named_barrier, 0
	.set _ZL13mul_mat_vec_qIL9ggml_type16ELi6ELb0ELb0EEvPKvS2_PKi31ggml_cuda_mm_fusion_args_devicePfj15HIP_vector_typeIjLj3EEjjjS8_jjjS8_jjjj.private_seg_size, 0
	.set _ZL13mul_mat_vec_qIL9ggml_type16ELi6ELb0ELb0EEvPKvS2_PKi31ggml_cuda_mm_fusion_args_devicePfj15HIP_vector_typeIjLj3EEjjjS8_jjjS8_jjjj.uses_vcc, 1
	.set _ZL13mul_mat_vec_qIL9ggml_type16ELi6ELb0ELb0EEvPKvS2_PKi31ggml_cuda_mm_fusion_args_devicePfj15HIP_vector_typeIjLj3EEjjjS8_jjjS8_jjjj.uses_flat_scratch, 0
	.set _ZL13mul_mat_vec_qIL9ggml_type16ELi6ELb0ELb0EEvPKvS2_PKi31ggml_cuda_mm_fusion_args_devicePfj15HIP_vector_typeIjLj3EEjjjS8_jjjS8_jjjj.has_dyn_sized_stack, 0
	.set _ZL13mul_mat_vec_qIL9ggml_type16ELi6ELb0ELb0EEvPKvS2_PKi31ggml_cuda_mm_fusion_args_devicePfj15HIP_vector_typeIjLj3EEjjjS8_jjjS8_jjjj.has_recursion, 0
	.set _ZL13mul_mat_vec_qIL9ggml_type16ELi6ELb0ELb0EEvPKvS2_PKi31ggml_cuda_mm_fusion_args_devicePfj15HIP_vector_typeIjLj3EEjjjS8_jjjS8_jjjj.has_indirect_call, 0
	.section	.AMDGPU.csdata,"",@progbits
; Kernel info:
; codeLenInByte = 4144
; TotalNumSgprs: 30
; NumVgprs: 41
; ScratchSize: 0
; MemoryBound: 0
; FloatMode: 240
; IeeeMode: 1
; LDSByteSize: 0 bytes/workgroup (compile time only)
; SGPRBlocks: 0
; VGPRBlocks: 5
; NumSGPRsForWavesPerEU: 30
; NumVGPRsForWavesPerEU: 41
; Occupancy: 16
; WaveLimiterHint : 0
; COMPUTE_PGM_RSRC2:SCRATCH_EN: 0
; COMPUTE_PGM_RSRC2:USER_SGPR: 6
; COMPUTE_PGM_RSRC2:TRAP_HANDLER: 0
; COMPUTE_PGM_RSRC2:TGID_X_EN: 1
; COMPUTE_PGM_RSRC2:TGID_Y_EN: 1
; COMPUTE_PGM_RSRC2:TGID_Z_EN: 1
; COMPUTE_PGM_RSRC2:TIDIG_COMP_CNT: 1
	.section	.text._ZL13mul_mat_vec_qIL9ggml_type16ELi7ELb0ELb0EEvPKvS2_PKi31ggml_cuda_mm_fusion_args_devicePfj15HIP_vector_typeIjLj3EEjjjS8_jjjS8_jjjj,"axG",@progbits,_ZL13mul_mat_vec_qIL9ggml_type16ELi7ELb0ELb0EEvPKvS2_PKi31ggml_cuda_mm_fusion_args_devicePfj15HIP_vector_typeIjLj3EEjjjS8_jjjS8_jjjj,comdat
	.globl	_ZL13mul_mat_vec_qIL9ggml_type16ELi7ELb0ELb0EEvPKvS2_PKi31ggml_cuda_mm_fusion_args_devicePfj15HIP_vector_typeIjLj3EEjjjS8_jjjS8_jjjj ; -- Begin function _ZL13mul_mat_vec_qIL9ggml_type16ELi7ELb0ELb0EEvPKvS2_PKi31ggml_cuda_mm_fusion_args_devicePfj15HIP_vector_typeIjLj3EEjjjS8_jjjS8_jjjj
	.p2align	8
	.type	_ZL13mul_mat_vec_qIL9ggml_type16ELi7ELb0ELb0EEvPKvS2_PKi31ggml_cuda_mm_fusion_args_devicePfj15HIP_vector_typeIjLj3EEjjjS8_jjjS8_jjjj,@function
_ZL13mul_mat_vec_qIL9ggml_type16ELi7ELb0ELb0EEvPKvS2_PKi31ggml_cuda_mm_fusion_args_devicePfj15HIP_vector_typeIjLj3EEjjjS8_jjjS8_jjjj: ; @_ZL13mul_mat_vec_qIL9ggml_type16ELi7ELb0ELb0EEvPKvS2_PKi31ggml_cuda_mm_fusion_args_devicePfj15HIP_vector_typeIjLj3EEjjjS8_jjjS8_jjjj
; %bb.0:
	s_clause 0x5
	s_load_dword s9, s[4:5], 0x40
	s_load_dwordx4 s[0:3], s[4:5], 0x50
	s_load_dword s11, s[4:5], 0x60
	s_load_dwordx4 s[12:15], s[4:5], 0x68
	;; [unrolled: 2-line block ×3, first 2 shown]
	v_lshl_or_b32 v2, v1, 5, v0
	v_mov_b32_e32 v9, 0
	v_mov_b32_e32 v10, 0
	;; [unrolled: 1-line block ×4, first 2 shown]
	v_lshrrev_b32_e32 v15, 3, v2
	v_mov_b32_e32 v13, 0
	v_mov_b32_e32 v14, 0
	;; [unrolled: 1-line block ×3, first 2 shown]
	s_waitcnt lgkmcnt(0)
	s_lshr_b32 s10, s9, 8
	s_mov_b32 s9, exec_lo
	v_cmpx_gt_u32_e64 s10, v15
	s_cbranch_execz .LBB166_4
; %bb.1:
	s_mul_i32 s13, s13, s7
	s_load_dwordx4 s[20:23], s[4:5], 0x0
	s_mul_hi_u32 s27, s13, 36
	s_mul_i32 s26, s13, 36
	v_lshlrev_b32_e32 v4, 1, v0
	v_mad_u64_u32 v[2:3], null, 0x120, v15, s[26:27]
	s_mul_i32 s17, s17, s8
	v_and_b32_e32 v7, 7, v0
	v_and_b32_e32 v6, 14, v4
	s_mul_hi_u32 s3, s3, s7
	s_mul_hi_u32 s15, s15, s8
	s_add_i32 s3, s7, s3
	v_mad_u64_u32 v[4:5], null, s17, 36, v[2:3]
	s_add_i32 s15, s8, s15
	s_mul_i32 s25, s17, 36
	s_lshr_b32 s3, s3, s11
	v_lshlrev_b32_e32 v8, 3, v15
	s_mul_hi_u32 s19, s17, 36
	s_lshr_b32 s11, s15, s24
	v_mad_u64_u32 v[9:10], null, v7, 36, v[4:5]
	s_mul_i32 s3, s3, s12
	s_waitcnt lgkmcnt(0)
	s_add_u32 s12, s22, s25
	s_addc_u32 s13, s23, s19
	s_add_u32 s12, s12, s26
	s_addc_u32 s13, s13, s27
	v_lshlrev_b32_e32 v11, 1, v6
	v_mad_u64_u32 v[4:5], null, s1, 6, v[8:9]
	v_mad_u64_u32 v[5:6], null, s1, 5, v[8:9]
	;; [unrolled: 1-line block ×4, first 2 shown]
	v_add_co_u32 v7, vcc_lo, s22, v9
	v_add_co_ci_u32_e64 v9, null, s23, v10, vcc_lo
	s_mul_i32 s0, s0, s6
	v_add_co_u32 v7, vcc_lo, v7, 16
	v_mov_b32_e32 v17, 0
	v_add_nc_u32_e32 v18, s1, v8
	v_lshl_add_u32 v19, s1, 2, v8
	v_lshl_add_u32 v20, s1, 1, v8
	v_add_co_ci_u32_e64 v8, null, 0, v9, vcc_lo
	v_lshlrev_b32_e32 v21, 1, v11
	v_mov_b32_e32 v22, 3
	v_mov_b32_e32 v9, 0
	;; [unrolled: 1-line block ×8, first 2 shown]
	s_mul_i32 s11, s11, s16
	s_add_i32 s3, s3, s0
	s_add_i32 s11, s11, s3
	s_mov_b32 s3, 0
.LBB166_2:                              ; =>This Inner Loop Header: Depth=1
	v_add_nc_u32_e32 v23, s11, v15
	s_getpc_b64 s[0:1]
	s_add_u32 s0, s0, _ZL11iq2xxs_grid@rel32@lo+4
	s_addc_u32 s1, s1, _ZL11iq2xxs_grid@rel32@hi+12
	v_mov_b32_e32 v42, 0
	v_add_nc_u32_e32 v15, 4, v15
	v_mad_i64_i32 v[33:34], null, 0x42, v23, s[20:21]
	v_add_co_u32 v23, vcc_lo, v33, v21
	v_add_co_ci_u32_e64 v24, null, 0, v34, vcc_lo
	global_load_dwordx2 v[31:32], v[23:24], off offset:2
	s_waitcnt vmcnt(0)
	v_lshlrev_b32_sdwa v23, v22, v31 dst_sel:DWORD dst_unused:UNUSED_PAD src0_sel:DWORD src1_sel:BYTE_0
	v_and_b32_e32 v25, 0xff, v32
	global_load_dwordx2 v[23:24], v23, s[0:1]
	v_bcnt_u32_b32 v26, v25, 0
	v_and_b32_e32 v26, 1, v26
	v_lshlrev_b32_e32 v26, 7, v26
	v_xor_b32_e32 v25, v26, v25
	v_mul_lo_u32 v25, 0x1010101, v25
	v_and_b32_e32 v26, 0x8040201, v25
	v_lshrrev_b32_e32 v27, 18, v25
	v_cmp_ne_u16_sdwa s12, v26, v17 src0_sel:BYTE_3 src1_sel:DWORD
	v_cmp_ne_u16_sdwa s13, v26, v17 src0_sel:BYTE_1 src1_sel:DWORD
	v_bfe_i32 v26, v25, 0, 1
	v_bfe_i32 v27, v27, 0, 1
	v_cndmask_b32_e64 v30, 0, -1, s12
	v_cndmask_b32_e64 v28, 0, -1, s13
	v_lshlrev_b16 v30, 8, v30
	v_lshlrev_b16 v28, 8, v28
	v_or_b32_sdwa v35, v27, v30 dst_sel:WORD_1 dst_unused:UNUSED_PAD src0_sel:BYTE_0 src1_sel:DWORD
	v_or_b32_sdwa v29, v26, v28 dst_sel:DWORD dst_unused:UNUSED_PAD src0_sel:BYTE_0 src1_sel:DWORD
	v_lshlrev_b16 v26, 8, v26
	v_lshlrev_b16 v27, 8, v27
	v_or_b32_sdwa v29, v29, v35 dst_sel:DWORD dst_unused:UNUSED_PAD src0_sel:WORD_0 src1_sel:DWORD
	s_waitcnt vmcnt(0)
	v_xor_b32_e32 v23, v23, v29
	v_lshrrev_b32_e32 v29, 16, v23
	v_and_b32_e32 v35, 0xffffff00, v23
	v_lshlrev_b16 v23, 8, v23
	v_sub_nc_i16 v28, v35, v28 clamp
	v_sub_nc_i16 v23, v23, v26 clamp
	v_and_b32_e32 v26, 0xffffff00, v29
	v_perm_b32 v23, v23, v28, 0xc0c0105
	v_lshlrev_b16 v28, 8, v29
	v_sub_nc_i16 v26, v26, v30 clamp
	v_sub_nc_i16 v27, v28, v27 clamp
	v_perm_b32 v26, v27, v26, 0xc0c0105
	v_lshl_or_b32 v23, v26, 16, v23
	v_and_b32_e32 v26, 0x80402010, v25
	v_lshrrev_b32_e32 v25, 22, v25
	v_cmp_ne_u16_sdwa s12, v26, v17 src0_sel:BYTE_3 src1_sel:DWORD
	v_cmp_ne_u16_sdwa s13, v26, v17 src0_sel:BYTE_1 src1_sel:DWORD
	v_lshrrev_b16 v26, 4, v26
	v_bfe_i32 v25, v25, 0, 1
	v_cndmask_b32_e64 v29, 0, -1, s12
	v_cndmask_b32_e64 v27, 0, -1, s13
	v_bfe_i32 v26, v26, 0, 1
	v_lshlrev_b16 v29, 8, v29
	v_lshlrev_b16 v27, 8, v27
	v_or_b32_sdwa v30, v25, v29 dst_sel:WORD_1 dst_unused:UNUSED_PAD src0_sel:BYTE_0 src1_sel:DWORD
	v_or_b32_sdwa v28, v26, v27 dst_sel:DWORD dst_unused:UNUSED_PAD src0_sel:BYTE_0 src1_sel:DWORD
	v_lshlrev_b16 v26, 8, v26
	v_lshlrev_b16 v25, 8, v25
	v_or_b32_sdwa v28, v28, v30 dst_sel:DWORD dst_unused:UNUSED_PAD src0_sel:WORD_0 src1_sel:DWORD
	v_xor_b32_e32 v24, v24, v28
	v_lshrrev_b32_e32 v28, 16, v24
	v_and_b32_e32 v30, 0xffffff00, v24
	v_lshlrev_b16 v24, 8, v24
	v_sub_nc_i16 v27, v30, v27 clamp
	v_sub_nc_i16 v24, v24, v26 clamp
	v_and_b32_e32 v26, 0xffffff00, v28
	v_perm_b32 v24, v24, v27, 0xc0c0105
	v_lshlrev_b16 v27, 8, v28
	v_sub_nc_i16 v26, v26, v29 clamp
	v_sub_nc_i16 v25, v27, v25 clamp
	v_bfe_u32 v27, v32, 7, 8
	v_perm_b32 v25, v25, v26, 0xc0c0105
	v_bcnt_u32_b32 v28, v27, 0
	v_lshl_or_b32 v24, v25, 16, v24
	v_lshlrev_b32_sdwa v25, v22, v31 dst_sel:DWORD dst_unused:UNUSED_PAD src0_sel:DWORD src1_sel:BYTE_1
	v_and_b32_e32 v28, 1, v28
	global_load_dwordx2 v[25:26], v25, s[0:1]
	v_lshlrev_b32_e32 v28, 7, v28
	v_xor_b32_e32 v27, v28, v27
	v_mul_lo_u32 v27, 0x1010101, v27
	v_and_b32_e32 v28, 0x8040201, v27
	v_lshrrev_b32_e32 v29, 18, v27
	v_cmp_ne_u16_sdwa s12, v28, v17 src0_sel:BYTE_3 src1_sel:DWORD
	v_cmp_ne_u16_sdwa s13, v28, v17 src0_sel:BYTE_1 src1_sel:DWORD
	v_bfe_i32 v28, v27, 0, 1
	v_bfe_i32 v29, v29, 0, 1
	v_cndmask_b32_e64 v36, 0, -1, s12
	v_cndmask_b32_e64 v30, 0, -1, s13
	v_lshlrev_b16 v36, 8, v36
	v_lshlrev_b16 v30, 8, v30
	v_or_b32_sdwa v37, v29, v36 dst_sel:WORD_1 dst_unused:UNUSED_PAD src0_sel:BYTE_0 src1_sel:DWORD
	v_or_b32_sdwa v35, v28, v30 dst_sel:DWORD dst_unused:UNUSED_PAD src0_sel:BYTE_0 src1_sel:DWORD
	v_lshlrev_b16 v28, 8, v28
	v_lshlrev_b16 v29, 8, v29
	v_or_b32_sdwa v35, v35, v37 dst_sel:DWORD dst_unused:UNUSED_PAD src0_sel:WORD_0 src1_sel:DWORD
	s_waitcnt vmcnt(0)
	v_xor_b32_e32 v25, v25, v35
	v_lshrrev_b32_e32 v35, 16, v25
	v_and_b32_e32 v37, 0xffffff00, v25
	v_lshlrev_b16 v25, 8, v25
	v_sub_nc_i16 v30, v37, v30 clamp
	v_sub_nc_i16 v25, v25, v28 clamp
	v_and_b32_e32 v28, 0xffffff00, v35
	v_perm_b32 v25, v25, v30, 0xc0c0105
	v_lshlrev_b16 v30, 8, v35
	v_sub_nc_i16 v28, v28, v36 clamp
	v_sub_nc_i16 v29, v30, v29 clamp
	v_perm_b32 v28, v29, v28, 0xc0c0105
	v_lshl_or_b32 v25, v28, 16, v25
	v_and_b32_e32 v28, 0x80402010, v27
	v_lshrrev_b32_e32 v27, 22, v27
	v_cmp_ne_u16_sdwa s12, v28, v17 src0_sel:BYTE_3 src1_sel:DWORD
	v_cmp_ne_u16_sdwa s13, v28, v17 src0_sel:BYTE_1 src1_sel:DWORD
	v_lshrrev_b16 v28, 4, v28
	v_bfe_i32 v27, v27, 0, 1
	v_cndmask_b32_e64 v35, 0, -1, s12
	v_cndmask_b32_e64 v29, 0, -1, s13
	v_bfe_i32 v28, v28, 0, 1
	v_lshlrev_b16 v35, 8, v35
	v_lshlrev_b16 v29, 8, v29
	v_or_b32_sdwa v36, v27, v35 dst_sel:WORD_1 dst_unused:UNUSED_PAD src0_sel:BYTE_0 src1_sel:DWORD
	v_or_b32_sdwa v30, v28, v29 dst_sel:DWORD dst_unused:UNUSED_PAD src0_sel:BYTE_0 src1_sel:DWORD
	v_lshlrev_b16 v28, 8, v28
	v_lshlrev_b16 v27, 8, v27
	v_or_b32_sdwa v30, v30, v36 dst_sel:DWORD dst_unused:UNUSED_PAD src0_sel:WORD_0 src1_sel:DWORD
	v_xor_b32_e32 v26, v26, v30
	v_lshrrev_b32_e32 v30, 16, v26
	v_and_b32_e32 v36, 0xffffff00, v26
	v_lshlrev_b16 v26, 8, v26
	v_sub_nc_i16 v29, v36, v29 clamp
	v_sub_nc_i16 v26, v26, v28 clamp
	v_and_b32_e32 v28, 0xffffff00, v30
	v_perm_b32 v26, v26, v29, 0xc0c0105
	v_lshlrev_b16 v29, 8, v30
	v_sub_nc_i16 v28, v28, v35 clamp
	v_sub_nc_i16 v27, v29, v27 clamp
	v_bfe_u32 v29, v32, 14, 8
	v_perm_b32 v27, v27, v28, 0xc0c0105
	v_bcnt_u32_b32 v30, v29, 0
	v_lshl_or_b32 v26, v27, 16, v26
	v_lshlrev_b32_sdwa v27, v22, v31 dst_sel:DWORD dst_unused:UNUSED_PAD src0_sel:DWORD src1_sel:BYTE_2
	v_and_b32_e32 v30, 1, v30
	global_load_dwordx2 v[27:28], v27, s[0:1]
	v_lshlrev_b32_e32 v30, 7, v30
	v_xor_b32_e32 v29, v30, v29
	v_mul_lo_u32 v29, 0x1010101, v29
	v_and_b32_e32 v30, 0x8040201, v29
	v_lshrrev_b32_e32 v35, 18, v29
	v_cmp_ne_u16_sdwa s12, v30, v17 src0_sel:BYTE_3 src1_sel:DWORD
	v_cmp_ne_u16_sdwa s13, v30, v17 src0_sel:BYTE_1 src1_sel:DWORD
	v_bfe_i32 v30, v29, 0, 1
	v_bfe_i32 v35, v35, 0, 1
	v_cndmask_b32_e64 v38, 0, -1, s12
	v_cndmask_b32_e64 v36, 0, -1, s13
	v_lshlrev_b16 v38, 8, v38
	v_lshlrev_b16 v36, 8, v36
	v_or_b32_sdwa v39, v35, v38 dst_sel:WORD_1 dst_unused:UNUSED_PAD src0_sel:BYTE_0 src1_sel:DWORD
	v_or_b32_sdwa v37, v30, v36 dst_sel:DWORD dst_unused:UNUSED_PAD src0_sel:BYTE_0 src1_sel:DWORD
	v_lshlrev_b16 v30, 8, v30
	v_lshlrev_b16 v35, 8, v35
	v_or_b32_sdwa v37, v37, v39 dst_sel:DWORD dst_unused:UNUSED_PAD src0_sel:WORD_0 src1_sel:DWORD
	s_waitcnt vmcnt(0)
	v_xor_b32_e32 v27, v27, v37
	v_lshrrev_b32_e32 v37, 16, v27
	v_and_b32_e32 v39, 0xffffff00, v27
	v_lshlrev_b16 v27, 8, v27
	v_sub_nc_i16 v36, v39, v36 clamp
	v_sub_nc_i16 v27, v27, v30 clamp
	v_and_b32_e32 v30, 0xffffff00, v37
	v_perm_b32 v27, v27, v36, 0xc0c0105
	v_lshlrev_b16 v36, 8, v37
	v_sub_nc_i16 v30, v30, v38 clamp
	v_sub_nc_i16 v35, v36, v35 clamp
	v_perm_b32 v30, v35, v30, 0xc0c0105
	v_lshl_or_b32 v27, v30, 16, v27
	v_and_b32_e32 v30, 0x80402010, v29
	v_lshrrev_b32_e32 v29, 22, v29
	v_cmp_ne_u16_sdwa s12, v30, v17 src0_sel:BYTE_3 src1_sel:DWORD
	v_cmp_ne_u16_sdwa s13, v30, v17 src0_sel:BYTE_1 src1_sel:DWORD
	v_lshrrev_b16 v30, 4, v30
	v_bfe_i32 v29, v29, 0, 1
	v_cndmask_b32_e64 v37, 0, -1, s12
	v_cndmask_b32_e64 v35, 0, -1, s13
	v_bfe_i32 v30, v30, 0, 1
	v_lshlrev_b16 v37, 8, v37
	v_lshlrev_b16 v35, 8, v35
	v_or_b32_sdwa v38, v29, v37 dst_sel:WORD_1 dst_unused:UNUSED_PAD src0_sel:BYTE_0 src1_sel:DWORD
	v_or_b32_sdwa v36, v30, v35 dst_sel:DWORD dst_unused:UNUSED_PAD src0_sel:BYTE_0 src1_sel:DWORD
	v_lshlrev_b16 v30, 8, v30
	v_lshlrev_b16 v29, 8, v29
	v_or_b32_sdwa v36, v36, v38 dst_sel:DWORD dst_unused:UNUSED_PAD src0_sel:WORD_0 src1_sel:DWORD
	v_xor_b32_e32 v28, v28, v36
	v_lshrrev_b32_e32 v36, 16, v28
	v_and_b32_e32 v38, 0xffffff00, v28
	v_lshlrev_b16 v28, 8, v28
	v_sub_nc_i16 v35, v38, v35 clamp
	v_sub_nc_i16 v28, v28, v30 clamp
	v_and_b32_e32 v30, 0xffffff00, v36
	v_perm_b32 v28, v28, v35, 0xc0c0105
	v_lshlrev_b16 v35, 8, v36
	v_sub_nc_i16 v30, v30, v37 clamp
	v_sub_nc_i16 v29, v35, v29 clamp
	v_perm_b32 v29, v29, v30, 0xc0c0105
	v_lshl_or_b32 v28, v29, 16, v28
	v_lshlrev_b32_sdwa v29, v22, v31 dst_sel:DWORD dst_unused:UNUSED_PAD src0_sel:DWORD src1_sel:BYTE_3
	global_load_dwordx2 v[30:31], v29, s[0:1]
	v_bfe_u32 v29, v32, 21, 8
	v_bcnt_u32_b32 v35, v29, 0
	v_and_b32_e32 v35, 1, v35
	v_lshlrev_b32_e32 v35, 7, v35
	v_xor_b32_e32 v29, v35, v29
	v_mul_lo_u32 v29, 0x1010101, v29
	v_and_b32_e32 v35, 0x8040201, v29
	v_lshrrev_b32_e32 v36, 18, v29
	v_cmp_ne_u16_sdwa s0, v35, v17 src0_sel:BYTE_3 src1_sel:DWORD
	v_cmp_ne_u16_sdwa s1, v35, v17 src0_sel:BYTE_1 src1_sel:DWORD
	v_bfe_i32 v35, v29, 0, 1
	v_bfe_i32 v36, v36, 0, 1
	v_cndmask_b32_e64 v39, 0, -1, s0
	v_cndmask_b32_e64 v37, 0, -1, s1
	v_lshlrev_b16 v39, 8, v39
	v_lshlrev_b16 v37, 8, v37
	v_or_b32_sdwa v40, v36, v39 dst_sel:WORD_1 dst_unused:UNUSED_PAD src0_sel:BYTE_0 src1_sel:DWORD
	v_or_b32_sdwa v38, v35, v37 dst_sel:DWORD dst_unused:UNUSED_PAD src0_sel:BYTE_0 src1_sel:DWORD
	v_lshlrev_b16 v35, 8, v35
	v_lshlrev_b16 v36, 8, v36
	v_or_b32_sdwa v38, v38, v40 dst_sel:DWORD dst_unused:UNUSED_PAD src0_sel:WORD_0 src1_sel:DWORD
	s_waitcnt vmcnt(0)
	v_xor_b32_e32 v30, v30, v38
	v_lshrrev_b32_e32 v38, 16, v30
	v_and_b32_e32 v40, 0xffffff00, v30
	v_lshlrev_b16 v30, 8, v30
	v_sub_nc_i16 v37, v40, v37 clamp
	v_sub_nc_i16 v30, v30, v35 clamp
	v_and_b32_e32 v35, 0xffffff00, v38
	v_perm_b32 v30, v30, v37, 0xc0c0105
	v_lshlrev_b16 v37, 8, v38
	v_sub_nc_i16 v35, v35, v39 clamp
	v_sub_nc_i16 v36, v37, v36 clamp
	v_perm_b32 v35, v36, v35, 0xc0c0105
	v_lshl_or_b32 v30, v35, 16, v30
	v_and_b32_e32 v35, 0x80402010, v29
	v_lshrrev_b32_e32 v29, 22, v29
	v_cmp_ne_u16_sdwa s0, v35, v17 src0_sel:BYTE_3 src1_sel:DWORD
	v_cmp_ne_u16_sdwa s1, v35, v17 src0_sel:BYTE_1 src1_sel:DWORD
	v_lshrrev_b16 v35, 4, v35
	v_bfe_i32 v29, v29, 0, 1
	v_cndmask_b32_e64 v38, 0, -1, s0
	v_cndmask_b32_e64 v36, 0, -1, s1
	v_bfe_i32 v35, v35, 0, 1
	v_lshlrev_b16 v38, 8, v38
	v_lshlrev_b16 v36, 8, v36
	v_or_b32_sdwa v39, v29, v38 dst_sel:WORD_1 dst_unused:UNUSED_PAD src0_sel:BYTE_0 src1_sel:DWORD
	v_or_b32_sdwa v37, v35, v36 dst_sel:DWORD dst_unused:UNUSED_PAD src0_sel:BYTE_0 src1_sel:DWORD
	v_lshlrev_b16 v35, 8, v35
	v_lshlrev_b16 v29, 8, v29
	v_or_b32_sdwa v37, v37, v39 dst_sel:DWORD dst_unused:UNUSED_PAD src0_sel:WORD_0 src1_sel:DWORD
	v_xor_b32_e32 v31, v31, v37
	v_lshrrev_b32_e32 v37, 16, v31
	v_and_b32_e32 v39, 0xffffff00, v31
	v_lshlrev_b16 v31, 8, v31
	v_sub_nc_i16 v36, v39, v36 clamp
	v_sub_nc_i16 v31, v31, v35 clamp
	v_and_b32_e32 v35, 0xffffff00, v37
	v_perm_b32 v31, v31, v36, 0xc0c0105
	v_lshlrev_b16 v36, 8, v37
	v_sub_nc_i16 v35, v35, v38 clamp
	v_sub_nc_i16 v29, v36, v29 clamp
	v_perm_b32 v29, v29, v35, 0xc0c0105
	v_lshl_or_b32 v31, v29, 16, v31
	v_lshrrev_b32_e32 v29, 27, v32
	v_or_b32_e32 v32, 1, v29
	global_load_ushort v29, v[33:34], off
	s_clause 0x2
	global_load_dwordx4 v[33:36], v[7:8], off offset:-16
	global_load_dword v41, v[7:8], off offset:16
	global_load_dwordx4 v[37:40], v[7:8], off
	v_add_co_u32 v7, vcc_lo, 0x480, v7
	v_add_co_ci_u32_e64 v8, null, 0, v8, vcc_lo
	v_cmp_le_u32_e32 vcc_lo, s10, v15
	s_or_b32 s3, vcc_lo, s3
	s_waitcnt vmcnt(2)
	v_dot4c_i32_i8 v42, v23, v34
	v_cvt_f32_f16_e32 v29, v29
	v_cvt_f32_f16_e32 v33, v33
	v_dot4c_i32_i8 v42, v24, v35
	v_mul_f32_e32 v33, v29, v33
	v_dot4c_i32_i8 v42, v25, v36
	s_waitcnt vmcnt(0)
	v_dot4c_i32_i8 v42, v26, v37
	v_dot4c_i32_i8 v42, v27, v38
	v_mad_u64_u32 v[37:38], null, v18, 36, v[2:3]
	v_add_nc_u32_e32 v18, 32, v18
	v_dot4c_i32_i8 v42, v28, v39
	v_dot4c_i32_i8 v42, v30, v40
	v_dot4c_i32_i8 v42, v31, v41
	v_mul_lo_u32 v34, v42, v32
	v_mov_b32_e32 v42, 0
	v_ashrrev_i32_e32 v35, 31, v34
	v_lshrrev_b32_e32 v35, 29, v35
	v_add_nc_u32_e32 v34, v34, v35
	v_ashrrev_i32_e32 v34, 3, v34
	v_cvt_f32_i32_e32 v34, v34
	v_fmac_f32_e32 v16, v33, v34
	s_clause 0x2
	global_load_dwordx4 v[33:36], v[37:38], off
	global_load_dword v41, v[37:38], off offset:32
	global_load_dwordx4 v[37:40], v[37:38], off offset:16
	s_waitcnt vmcnt(2)
	v_dot4c_i32_i8 v42, v23, v34
	v_cvt_f32_f16_e32 v33, v33
	v_dot4c_i32_i8 v42, v24, v35
	v_mul_f32_e32 v33, v29, v33
	v_dot4c_i32_i8 v42, v25, v36
	s_waitcnt vmcnt(0)
	v_dot4c_i32_i8 v42, v26, v37
	v_dot4c_i32_i8 v42, v27, v38
	v_mad_u64_u32 v[37:38], null, v20, 36, v[2:3]
	v_add_nc_u32_e32 v20, 32, v20
	v_dot4c_i32_i8 v42, v28, v39
	v_dot4c_i32_i8 v42, v30, v40
	v_dot4c_i32_i8 v42, v31, v41
	v_mul_lo_u32 v34, v42, v32
	v_mov_b32_e32 v42, 0
	v_ashrrev_i32_e32 v35, 31, v34
	v_lshrrev_b32_e32 v35, 29, v35
	v_add_nc_u32_e32 v34, v34, v35
	v_ashrrev_i32_e32 v34, 3, v34
	v_cvt_f32_i32_e32 v34, v34
	v_fmac_f32_e32 v14, v33, v34
	s_clause 0x2
	global_load_dwordx4 v[33:36], v[37:38], off
	global_load_dword v41, v[37:38], off offset:32
	global_load_dwordx4 v[37:40], v[37:38], off offset:16
	s_waitcnt vmcnt(2)
	v_dot4c_i32_i8 v42, v23, v34
	;; [unrolled: 26-line block ×6, first 2 shown]
	v_dot4c_i32_i8 v42, v24, v35
	v_dot4c_i32_i8 v42, v25, v36
	s_waitcnt vmcnt(0)
	v_dot4c_i32_i8 v42, v26, v37
	v_dot4c_i32_i8 v42, v27, v38
	;; [unrolled: 1-line block ×5, first 2 shown]
	v_mul_lo_u32 v23, v42, v32
	v_ashrrev_i32_e32 v24, 31, v23
	v_lshrrev_b32_e32 v24, 29, v24
	v_add_nc_u32_e32 v23, v23, v24
	v_cvt_f32_f16_e32 v24, v33
	v_ashrrev_i32_e32 v23, 3, v23
	v_mul_f32_e32 v24, v29, v24
	v_cvt_f32_i32_e32 v23, v23
	v_fmac_f32_e32 v9, v24, v23
	s_andn2_b32 exec_lo, exec_lo, s3
	s_cbranch_execnz .LBB166_2
; %bb.3:
	s_or_b32 exec_lo, exec_lo, s3
.LBB166_4:
	s_or_b32 exec_lo, exec_lo, s9
	s_mov_b32 s1, 0
	; wave barrier
	buffer_gl0_inv
	s_mov_b32 s0, exec_lo
	v_cmpx_eq_u32_e32 0, v1
	s_cbranch_execz .LBB166_19
; %bb.5:
	v_mbcnt_lo_u32_b32 v5, -1, 0
	s_load_dwordx2 s[4:5], s[4:5], 0x38
	s_mul_i32 s0, s14, s7
	s_mul_i32 s3, s18, s8
	s_add_i32 s0, s0, s6
	v_xor_b32_e32 v1, 16, v5
	v_xor_b32_e32 v2, 8, v5
	;; [unrolled: 1-line block ×3, first 2 shown]
	s_add_i32 s0, s0, s3
	s_lshl_b64 s[0:1], s[0:1], 2
	v_cmp_gt_i32_e32 vcc_lo, 32, v1
	v_cndmask_b32_e32 v1, v5, v1, vcc_lo
	v_cmp_gt_i32_e32 vcc_lo, 32, v2
	v_lshlrev_b32_e32 v1, 2, v1
	v_cndmask_b32_e32 v2, v5, v2, vcc_lo
	s_waitcnt lgkmcnt(0)
	s_add_u32 s0, s4, s0
	s_addc_u32 s1, s5, s1
	ds_bpermute_b32 v3, v1, v16
	v_lshlrev_b32_e32 v2, 2, v2
	s_waitcnt lgkmcnt(0)
	v_add_f32_e32 v4, v16, v3
	v_xor_b32_e32 v3, 4, v5
	ds_bpermute_b32 v6, v2, v4
	v_cmp_gt_i32_e32 vcc_lo, 32, v3
	v_cndmask_b32_e32 v3, v5, v3, vcc_lo
	v_lshlrev_b32_e32 v3, 2, v3
	s_waitcnt lgkmcnt(0)
	v_add_f32_e32 v6, v4, v6
	v_xor_b32_e32 v4, 2, v5
	ds_bpermute_b32 v7, v3, v6
	v_cmp_gt_i32_e32 vcc_lo, 32, v4
	v_cndmask_b32_e32 v4, v5, v4, vcc_lo
	v_cmp_gt_i32_e32 vcc_lo, 32, v8
	v_lshlrev_b32_e32 v4, 2, v4
	v_cndmask_b32_e32 v5, v5, v8, vcc_lo
	v_cmp_eq_u32_e32 vcc_lo, 0, v0
	v_lshlrev_b32_e32 v5, 2, v5
	s_waitcnt lgkmcnt(0)
	v_add_f32_e32 v6, v6, v7
	ds_bpermute_b32 v7, v4, v6
	s_waitcnt lgkmcnt(0)
	v_add_f32_e32 v6, v6, v7
	ds_bpermute_b32 v7, v5, v6
	s_and_saveexec_b32 s3, vcc_lo
	s_cbranch_execz .LBB166_7
; %bb.6:
	s_waitcnt lgkmcnt(0)
	v_add_f32_e32 v0, v6, v7
	v_mov_b32_e32 v6, 0
	global_store_dword v6, v0, s[0:1]
.LBB166_7:
	s_or_b32 exec_lo, exec_lo, s3
	ds_bpermute_b32 v0, v1, v14
	s_waitcnt lgkmcnt(0)
	v_add_f32_e32 v0, v14, v0
	ds_bpermute_b32 v6, v2, v0
	s_waitcnt lgkmcnt(0)
	v_add_f32_e32 v0, v0, v6
	;; [unrolled: 3-line block ×4, first 2 shown]
	ds_bpermute_b32 v6, v5, v0
	s_and_saveexec_b32 s4, vcc_lo
	s_cbranch_execz .LBB166_9
; %bb.8:
	s_mov_b32 s3, 0
	s_waitcnt lgkmcnt(0)
	v_add_f32_e32 v0, v0, v6
	s_lshl_b64 s[6:7], s[2:3], 2
	v_mov_b32_e32 v6, 0
	s_add_u32 s6, s0, s6
	s_addc_u32 s7, s1, s7
	global_store_dword v6, v0, s[6:7]
.LBB166_9:
	s_or_b32 exec_lo, exec_lo, s4
	ds_bpermute_b32 v0, v1, v13
	s_waitcnt lgkmcnt(0)
	v_add_f32_e32 v0, v13, v0
	ds_bpermute_b32 v6, v2, v0
	s_waitcnt lgkmcnt(0)
	v_add_f32_e32 v0, v0, v6
	;; [unrolled: 3-line block ×4, first 2 shown]
	ds_bpermute_b32 v6, v5, v0
	s_and_saveexec_b32 s3, vcc_lo
	s_cbranch_execz .LBB166_11
; %bb.10:
	s_lshl_b32 s4, s2, 1
	s_mov_b32 s5, 0
	s_waitcnt lgkmcnt(0)
	v_add_f32_e32 v0, v0, v6
	s_lshl_b64 s[4:5], s[4:5], 2
	v_mov_b32_e32 v6, 0
	s_add_u32 s4, s0, s4
	s_addc_u32 s5, s1, s5
	global_store_dword v6, v0, s[4:5]
.LBB166_11:
	s_or_b32 exec_lo, exec_lo, s3
	ds_bpermute_b32 v0, v1, v12
	s_waitcnt lgkmcnt(0)
	v_add_f32_e32 v0, v12, v0
	ds_bpermute_b32 v6, v2, v0
	s_waitcnt lgkmcnt(0)
	v_add_f32_e32 v0, v0, v6
	ds_bpermute_b32 v6, v3, v0
	s_waitcnt lgkmcnt(0)
	v_add_f32_e32 v0, v0, v6
	ds_bpermute_b32 v6, v4, v0
	s_waitcnt lgkmcnt(0)
	v_add_f32_e32 v0, v0, v6
	ds_bpermute_b32 v6, v5, v0
	s_and_saveexec_b32 s3, vcc_lo
	s_cbranch_execz .LBB166_13
; %bb.12:
	s_mul_i32 s4, s2, 3
	s_mov_b32 s5, 0
	s_waitcnt lgkmcnt(0)
	v_add_f32_e32 v0, v0, v6
	s_lshl_b64 s[4:5], s[4:5], 2
	v_mov_b32_e32 v6, 0
	s_add_u32 s4, s0, s4
	s_addc_u32 s5, s1, s5
	global_store_dword v6, v0, s[4:5]
.LBB166_13:
	s_or_b32 exec_lo, exec_lo, s3
	ds_bpermute_b32 v0, v1, v11
	s_waitcnt lgkmcnt(0)
	v_add_f32_e32 v0, v11, v0
	ds_bpermute_b32 v6, v2, v0
	s_waitcnt lgkmcnt(0)
	v_add_f32_e32 v0, v0, v6
	ds_bpermute_b32 v6, v3, v0
	s_waitcnt lgkmcnt(0)
	v_add_f32_e32 v0, v0, v6
	ds_bpermute_b32 v6, v4, v0
	s_waitcnt lgkmcnt(0)
	v_add_f32_e32 v0, v0, v6
	ds_bpermute_b32 v6, v5, v0
	s_and_saveexec_b32 s3, vcc_lo
	s_cbranch_execz .LBB166_15
; %bb.14:
	s_lshl_b32 s4, s2, 2
	s_mov_b32 s5, 0
	s_waitcnt lgkmcnt(0)
	v_add_f32_e32 v0, v0, v6
	s_lshl_b64 s[4:5], s[4:5], 2
	v_mov_b32_e32 v6, 0
	s_add_u32 s4, s0, s4
	s_addc_u32 s5, s1, s5
	global_store_dword v6, v0, s[4:5]
.LBB166_15:
	s_or_b32 exec_lo, exec_lo, s3
	ds_bpermute_b32 v0, v1, v10
	s_waitcnt lgkmcnt(0)
	v_add_f32_e32 v0, v10, v0
	ds_bpermute_b32 v6, v2, v0
	s_waitcnt lgkmcnt(0)
	v_add_f32_e32 v0, v0, v6
	;; [unrolled: 3-line block ×4, first 2 shown]
	ds_bpermute_b32 v6, v5, v0
	s_and_saveexec_b32 s3, vcc_lo
	s_cbranch_execz .LBB166_17
; %bb.16:
	s_mul_i32 s4, s2, 5
	s_mov_b32 s5, 0
	s_waitcnt lgkmcnt(0)
	v_add_f32_e32 v0, v0, v6
	s_lshl_b64 s[4:5], s[4:5], 2
	v_mov_b32_e32 v6, 0
	s_add_u32 s4, s0, s4
	s_addc_u32 s5, s1, s5
	global_store_dword v6, v0, s[4:5]
.LBB166_17:
	s_or_b32 exec_lo, exec_lo, s3
	ds_bpermute_b32 v0, v1, v9
	s_waitcnt lgkmcnt(0)
	v_add_f32_e32 v0, v9, v0
	ds_bpermute_b32 v1, v2, v0
	s_waitcnt lgkmcnt(0)
	v_add_f32_e32 v0, v0, v1
	;; [unrolled: 3-line block ×4, first 2 shown]
	ds_bpermute_b32 v1, v5, v0
	s_and_b32 exec_lo, exec_lo, vcc_lo
	s_cbranch_execz .LBB166_19
; %bb.18:
	s_mul_i32 s2, s2, 6
	s_mov_b32 s3, 0
	s_waitcnt lgkmcnt(0)
	v_add_f32_e32 v0, v0, v1
	s_lshl_b64 s[2:3], s[2:3], 2
	v_mov_b32_e32 v1, 0
	s_add_u32 s0, s0, s2
	s_addc_u32 s1, s1, s3
	global_store_dword v1, v0, s[0:1]
.LBB166_19:
	s_endpgm
	.section	.rodata,"a",@progbits
	.p2align	6, 0x0
	.amdhsa_kernel _ZL13mul_mat_vec_qIL9ggml_type16ELi7ELb0ELb0EEvPKvS2_PKi31ggml_cuda_mm_fusion_args_devicePfj15HIP_vector_typeIjLj3EEjjjS8_jjjS8_jjjj
		.amdhsa_group_segment_fixed_size 0
		.amdhsa_private_segment_fixed_size 0
		.amdhsa_kernarg_size 144
		.amdhsa_user_sgpr_count 6
		.amdhsa_user_sgpr_private_segment_buffer 1
		.amdhsa_user_sgpr_dispatch_ptr 0
		.amdhsa_user_sgpr_queue_ptr 0
		.amdhsa_user_sgpr_kernarg_segment_ptr 1
		.amdhsa_user_sgpr_dispatch_id 0
		.amdhsa_user_sgpr_flat_scratch_init 0
		.amdhsa_user_sgpr_private_segment_size 0
		.amdhsa_wavefront_size32 1
		.amdhsa_uses_dynamic_stack 0
		.amdhsa_system_sgpr_private_segment_wavefront_offset 0
		.amdhsa_system_sgpr_workgroup_id_x 1
		.amdhsa_system_sgpr_workgroup_id_y 1
		.amdhsa_system_sgpr_workgroup_id_z 1
		.amdhsa_system_sgpr_workgroup_info 0
		.amdhsa_system_vgpr_workitem_id 1
		.amdhsa_next_free_vgpr 43
		.amdhsa_next_free_sgpr 28
		.amdhsa_reserve_vcc 1
		.amdhsa_reserve_flat_scratch 0
		.amdhsa_float_round_mode_32 0
		.amdhsa_float_round_mode_16_64 0
		.amdhsa_float_denorm_mode_32 3
		.amdhsa_float_denorm_mode_16_64 3
		.amdhsa_dx10_clamp 1
		.amdhsa_ieee_mode 1
		.amdhsa_fp16_overflow 0
		.amdhsa_workgroup_processor_mode 1
		.amdhsa_memory_ordered 1
		.amdhsa_forward_progress 1
		.amdhsa_shared_vgpr_count 0
		.amdhsa_exception_fp_ieee_invalid_op 0
		.amdhsa_exception_fp_denorm_src 0
		.amdhsa_exception_fp_ieee_div_zero 0
		.amdhsa_exception_fp_ieee_overflow 0
		.amdhsa_exception_fp_ieee_underflow 0
		.amdhsa_exception_fp_ieee_inexact 0
		.amdhsa_exception_int_div_zero 0
	.end_amdhsa_kernel
	.section	.text._ZL13mul_mat_vec_qIL9ggml_type16ELi7ELb0ELb0EEvPKvS2_PKi31ggml_cuda_mm_fusion_args_devicePfj15HIP_vector_typeIjLj3EEjjjS8_jjjS8_jjjj,"axG",@progbits,_ZL13mul_mat_vec_qIL9ggml_type16ELi7ELb0ELb0EEvPKvS2_PKi31ggml_cuda_mm_fusion_args_devicePfj15HIP_vector_typeIjLj3EEjjjS8_jjjS8_jjjj,comdat
.Lfunc_end166:
	.size	_ZL13mul_mat_vec_qIL9ggml_type16ELi7ELb0ELb0EEvPKvS2_PKi31ggml_cuda_mm_fusion_args_devicePfj15HIP_vector_typeIjLj3EEjjjS8_jjjS8_jjjj, .Lfunc_end166-_ZL13mul_mat_vec_qIL9ggml_type16ELi7ELb0ELb0EEvPKvS2_PKi31ggml_cuda_mm_fusion_args_devicePfj15HIP_vector_typeIjLj3EEjjjS8_jjjS8_jjjj
                                        ; -- End function
	.set _ZL13mul_mat_vec_qIL9ggml_type16ELi7ELb0ELb0EEvPKvS2_PKi31ggml_cuda_mm_fusion_args_devicePfj15HIP_vector_typeIjLj3EEjjjS8_jjjS8_jjjj.num_vgpr, 43
	.set _ZL13mul_mat_vec_qIL9ggml_type16ELi7ELb0ELb0EEvPKvS2_PKi31ggml_cuda_mm_fusion_args_devicePfj15HIP_vector_typeIjLj3EEjjjS8_jjjS8_jjjj.num_agpr, 0
	.set _ZL13mul_mat_vec_qIL9ggml_type16ELi7ELb0ELb0EEvPKvS2_PKi31ggml_cuda_mm_fusion_args_devicePfj15HIP_vector_typeIjLj3EEjjjS8_jjjS8_jjjj.numbered_sgpr, 28
	.set _ZL13mul_mat_vec_qIL9ggml_type16ELi7ELb0ELb0EEvPKvS2_PKi31ggml_cuda_mm_fusion_args_devicePfj15HIP_vector_typeIjLj3EEjjjS8_jjjS8_jjjj.num_named_barrier, 0
	.set _ZL13mul_mat_vec_qIL9ggml_type16ELi7ELb0ELb0EEvPKvS2_PKi31ggml_cuda_mm_fusion_args_devicePfj15HIP_vector_typeIjLj3EEjjjS8_jjjS8_jjjj.private_seg_size, 0
	.set _ZL13mul_mat_vec_qIL9ggml_type16ELi7ELb0ELb0EEvPKvS2_PKi31ggml_cuda_mm_fusion_args_devicePfj15HIP_vector_typeIjLj3EEjjjS8_jjjS8_jjjj.uses_vcc, 1
	.set _ZL13mul_mat_vec_qIL9ggml_type16ELi7ELb0ELb0EEvPKvS2_PKi31ggml_cuda_mm_fusion_args_devicePfj15HIP_vector_typeIjLj3EEjjjS8_jjjS8_jjjj.uses_flat_scratch, 0
	.set _ZL13mul_mat_vec_qIL9ggml_type16ELi7ELb0ELb0EEvPKvS2_PKi31ggml_cuda_mm_fusion_args_devicePfj15HIP_vector_typeIjLj3EEjjjS8_jjjS8_jjjj.has_dyn_sized_stack, 0
	.set _ZL13mul_mat_vec_qIL9ggml_type16ELi7ELb0ELb0EEvPKvS2_PKi31ggml_cuda_mm_fusion_args_devicePfj15HIP_vector_typeIjLj3EEjjjS8_jjjS8_jjjj.has_recursion, 0
	.set _ZL13mul_mat_vec_qIL9ggml_type16ELi7ELb0ELb0EEvPKvS2_PKi31ggml_cuda_mm_fusion_args_devicePfj15HIP_vector_typeIjLj3EEjjjS8_jjjS8_jjjj.has_indirect_call, 0
	.section	.AMDGPU.csdata,"",@progbits
; Kernel info:
; codeLenInByte = 4408
; TotalNumSgprs: 30
; NumVgprs: 43
; ScratchSize: 0
; MemoryBound: 0
; FloatMode: 240
; IeeeMode: 1
; LDSByteSize: 0 bytes/workgroup (compile time only)
; SGPRBlocks: 0
; VGPRBlocks: 5
; NumSGPRsForWavesPerEU: 30
; NumVGPRsForWavesPerEU: 43
; Occupancy: 16
; WaveLimiterHint : 0
; COMPUTE_PGM_RSRC2:SCRATCH_EN: 0
; COMPUTE_PGM_RSRC2:USER_SGPR: 6
; COMPUTE_PGM_RSRC2:TRAP_HANDLER: 0
; COMPUTE_PGM_RSRC2:TGID_X_EN: 1
; COMPUTE_PGM_RSRC2:TGID_Y_EN: 1
; COMPUTE_PGM_RSRC2:TGID_Z_EN: 1
; COMPUTE_PGM_RSRC2:TIDIG_COMP_CNT: 1
	.section	.text._ZL13mul_mat_vec_qIL9ggml_type16ELi8ELb0ELb0EEvPKvS2_PKi31ggml_cuda_mm_fusion_args_devicePfj15HIP_vector_typeIjLj3EEjjjS8_jjjS8_jjjj,"axG",@progbits,_ZL13mul_mat_vec_qIL9ggml_type16ELi8ELb0ELb0EEvPKvS2_PKi31ggml_cuda_mm_fusion_args_devicePfj15HIP_vector_typeIjLj3EEjjjS8_jjjS8_jjjj,comdat
	.globl	_ZL13mul_mat_vec_qIL9ggml_type16ELi8ELb0ELb0EEvPKvS2_PKi31ggml_cuda_mm_fusion_args_devicePfj15HIP_vector_typeIjLj3EEjjjS8_jjjS8_jjjj ; -- Begin function _ZL13mul_mat_vec_qIL9ggml_type16ELi8ELb0ELb0EEvPKvS2_PKi31ggml_cuda_mm_fusion_args_devicePfj15HIP_vector_typeIjLj3EEjjjS8_jjjS8_jjjj
	.p2align	8
	.type	_ZL13mul_mat_vec_qIL9ggml_type16ELi8ELb0ELb0EEvPKvS2_PKi31ggml_cuda_mm_fusion_args_devicePfj15HIP_vector_typeIjLj3EEjjjS8_jjjS8_jjjj,@function
_ZL13mul_mat_vec_qIL9ggml_type16ELi8ELb0ELb0EEvPKvS2_PKi31ggml_cuda_mm_fusion_args_devicePfj15HIP_vector_typeIjLj3EEjjjS8_jjjS8_jjjj: ; @_ZL13mul_mat_vec_qIL9ggml_type16ELi8ELb0ELb0EEvPKvS2_PKi31ggml_cuda_mm_fusion_args_devicePfj15HIP_vector_typeIjLj3EEjjjS8_jjjS8_jjjj
; %bb.0:
	s_clause 0x5
	s_load_dword s9, s[4:5], 0x40
	s_load_dwordx4 s[0:3], s[4:5], 0x50
	s_load_dword s10, s[4:5], 0x60
	s_load_dwordx4 s[12:15], s[4:5], 0x68
	;; [unrolled: 2-line block ×3, first 2 shown]
	v_lshl_or_b32 v2, v1, 5, v0
	v_mov_b32_e32 v6, 0
	v_mov_b32_e32 v7, 0
	;; [unrolled: 1-line block ×4, first 2 shown]
	v_lshrrev_b32_e32 v13, 3, v2
	v_mov_b32_e32 v10, 0
	v_mov_b32_e32 v11, 0
	;; [unrolled: 1-line block ×4, first 2 shown]
	s_waitcnt lgkmcnt(0)
	s_lshr_b32 s19, s9, 8
	s_mov_b32 s9, exec_lo
	v_cmpx_gt_u32_e64 s19, v13
	s_cbranch_execz .LBB167_4
; %bb.1:
	s_mul_i32 s13, s13, s7
	s_load_dwordx4 s[20:23], s[4:5], 0x0
	s_mul_hi_u32 s25, s13, 36
	s_mul_i32 s24, s13, 36
	s_mul_i32 s17, s17, s8
	v_mad_u64_u32 v[2:3], null, 0x120, v13, s[24:25]
	v_lshlrev_b32_e32 v4, 1, v0
	v_and_b32_e32 v6, 7, v0
	s_mul_hi_u32 s3, s3, s7
	s_mul_hi_u32 s15, s15, s8
	s_add_i32 s3, s7, s3
	v_and_b32_e32 v4, 14, v4
	v_mad_u64_u32 v[2:3], null, s17, 36, v[2:3]
	s_add_i32 s15, s8, s15
	s_mul_i32 s27, s17, 36
	v_lshlrev_b32_e32 v7, 1, v4
	s_lshr_b32 s3, s3, s10
	s_lshr_b32 s10, s15, s11
	s_mul_hi_u32 s26, s17, 36
	v_mad_u64_u32 v[4:5], null, v6, 36, v[2:3]
	s_mul_i32 s3, s3, s12
	s_mul_i32 s12, s10, s16
	s_waitcnt lgkmcnt(0)
	s_add_u32 s10, s22, s27
	s_addc_u32 s11, s23, s26
	s_add_u32 s10, s10, s24
	s_addc_u32 s11, s11, s25
	v_add_co_u32 v4, vcc_lo, s22, v4
	v_add_co_ci_u32_e64 v5, null, s23, v5, vcc_lo
	v_mad_u64_u32 v[2:3], null, v6, 36, s[10:11]
	v_add_co_u32 v4, vcc_lo, v4, 16
	s_mul_i32 s0, s0, s6
	v_mov_b32_e32 v15, 0
	v_lshlrev_b32_e32 v16, 3, v13
	v_add_co_ci_u32_e64 v5, null, 0, v5, vcc_lo
	v_lshlrev_b32_e32 v17, 1, v7
	v_mov_b32_e32 v18, 3
	v_mov_b32_e32 v6, 0
	;; [unrolled: 1-line block ×9, first 2 shown]
	s_add_i32 s3, s3, s0
	s_mul_i32 s13, s1, 5
	s_add_i32 s0, s12, s3
	s_mul_i32 s3, s1, 7
	s_mul_i32 s12, s1, 6
	s_lshl_b32 s15, s1, 2
	s_mul_i32 s16, s1, 3
	s_lshl_b32 s22, s1, 1
	s_mov_b32 s17, 0
.LBB167_2:                              ; =>This Inner Loop Header: Depth=1
	v_add_nc_u32_e32 v19, s0, v13
	s_getpc_b64 s[10:11]
	s_add_u32 s10, s10, _ZL11iq2xxs_grid@rel32@lo+4
	s_addc_u32 s11, s11, _ZL11iq2xxs_grid@rel32@hi+12
	v_mov_b32_e32 v38, 0
	v_add_nc_u32_e32 v13, 4, v13
	v_mad_i64_i32 v[29:30], null, 0x42, v19, s[20:21]
	v_add_co_u32 v19, vcc_lo, v29, v17
	v_add_co_ci_u32_e64 v20, null, 0, v30, vcc_lo
	global_load_dwordx2 v[27:28], v[19:20], off offset:2
	s_waitcnt vmcnt(0)
	v_lshlrev_b32_sdwa v19, v18, v27 dst_sel:DWORD dst_unused:UNUSED_PAD src0_sel:DWORD src1_sel:BYTE_0
	v_and_b32_e32 v21, 0xff, v28
	global_load_dwordx2 v[19:20], v19, s[10:11]
	v_bcnt_u32_b32 v22, v21, 0
	v_and_b32_e32 v22, 1, v22
	v_lshlrev_b32_e32 v22, 7, v22
	v_xor_b32_e32 v21, v22, v21
	v_mul_lo_u32 v21, 0x1010101, v21
	v_and_b32_e32 v22, 0x8040201, v21
	v_lshrrev_b32_e32 v23, 18, v21
	v_cmp_ne_u16_sdwa s23, v22, v15 src0_sel:BYTE_3 src1_sel:DWORD
	v_cmp_ne_u16_sdwa s24, v22, v15 src0_sel:BYTE_1 src1_sel:DWORD
	v_bfe_i32 v22, v21, 0, 1
	v_bfe_i32 v23, v23, 0, 1
	v_cndmask_b32_e64 v26, 0, -1, s23
	v_cndmask_b32_e64 v24, 0, -1, s24
	v_lshlrev_b16 v26, 8, v26
	v_lshlrev_b16 v24, 8, v24
	v_or_b32_sdwa v31, v23, v26 dst_sel:WORD_1 dst_unused:UNUSED_PAD src0_sel:BYTE_0 src1_sel:DWORD
	v_or_b32_sdwa v25, v22, v24 dst_sel:DWORD dst_unused:UNUSED_PAD src0_sel:BYTE_0 src1_sel:DWORD
	v_lshlrev_b16 v22, 8, v22
	v_lshlrev_b16 v23, 8, v23
	v_or_b32_sdwa v25, v25, v31 dst_sel:DWORD dst_unused:UNUSED_PAD src0_sel:WORD_0 src1_sel:DWORD
	s_waitcnt vmcnt(0)
	v_xor_b32_e32 v19, v19, v25
	v_lshrrev_b32_e32 v25, 16, v19
	v_and_b32_e32 v31, 0xffffff00, v19
	v_lshlrev_b16 v19, 8, v19
	v_sub_nc_i16 v24, v31, v24 clamp
	v_sub_nc_i16 v19, v19, v22 clamp
	v_and_b32_e32 v22, 0xffffff00, v25
	v_perm_b32 v19, v19, v24, 0xc0c0105
	v_lshlrev_b16 v24, 8, v25
	v_sub_nc_i16 v22, v22, v26 clamp
	v_sub_nc_i16 v23, v24, v23 clamp
	v_perm_b32 v22, v23, v22, 0xc0c0105
	v_lshl_or_b32 v19, v22, 16, v19
	v_and_b32_e32 v22, 0x80402010, v21
	v_lshrrev_b32_e32 v21, 22, v21
	v_cmp_ne_u16_sdwa s23, v22, v15 src0_sel:BYTE_3 src1_sel:DWORD
	v_cmp_ne_u16_sdwa s24, v22, v15 src0_sel:BYTE_1 src1_sel:DWORD
	v_lshrrev_b16 v22, 4, v22
	v_bfe_i32 v21, v21, 0, 1
	v_cndmask_b32_e64 v25, 0, -1, s23
	v_cndmask_b32_e64 v23, 0, -1, s24
	v_bfe_i32 v22, v22, 0, 1
	v_lshlrev_b16 v25, 8, v25
	v_lshlrev_b16 v23, 8, v23
	v_or_b32_sdwa v26, v21, v25 dst_sel:WORD_1 dst_unused:UNUSED_PAD src0_sel:BYTE_0 src1_sel:DWORD
	v_or_b32_sdwa v24, v22, v23 dst_sel:DWORD dst_unused:UNUSED_PAD src0_sel:BYTE_0 src1_sel:DWORD
	v_lshlrev_b16 v22, 8, v22
	v_lshlrev_b16 v21, 8, v21
	v_or_b32_sdwa v24, v24, v26 dst_sel:DWORD dst_unused:UNUSED_PAD src0_sel:WORD_0 src1_sel:DWORD
	v_xor_b32_e32 v20, v20, v24
	v_lshrrev_b32_e32 v24, 16, v20
	v_and_b32_e32 v26, 0xffffff00, v20
	v_lshlrev_b16 v20, 8, v20
	v_sub_nc_i16 v23, v26, v23 clamp
	v_sub_nc_i16 v20, v20, v22 clamp
	v_and_b32_e32 v22, 0xffffff00, v24
	v_perm_b32 v20, v20, v23, 0xc0c0105
	v_lshlrev_b16 v23, 8, v24
	v_sub_nc_i16 v22, v22, v25 clamp
	v_sub_nc_i16 v21, v23, v21 clamp
	v_bfe_u32 v23, v28, 7, 8
	v_perm_b32 v21, v21, v22, 0xc0c0105
	v_bcnt_u32_b32 v24, v23, 0
	v_lshl_or_b32 v20, v21, 16, v20
	v_lshlrev_b32_sdwa v21, v18, v27 dst_sel:DWORD dst_unused:UNUSED_PAD src0_sel:DWORD src1_sel:BYTE_1
	v_and_b32_e32 v24, 1, v24
	global_load_dwordx2 v[21:22], v21, s[10:11]
	v_lshlrev_b32_e32 v24, 7, v24
	v_xor_b32_e32 v23, v24, v23
	v_mul_lo_u32 v23, 0x1010101, v23
	v_and_b32_e32 v24, 0x8040201, v23
	v_lshrrev_b32_e32 v25, 18, v23
	v_cmp_ne_u16_sdwa s23, v24, v15 src0_sel:BYTE_3 src1_sel:DWORD
	v_cmp_ne_u16_sdwa s24, v24, v15 src0_sel:BYTE_1 src1_sel:DWORD
	v_bfe_i32 v24, v23, 0, 1
	v_bfe_i32 v25, v25, 0, 1
	v_cndmask_b32_e64 v32, 0, -1, s23
	v_cndmask_b32_e64 v26, 0, -1, s24
	v_lshlrev_b16 v32, 8, v32
	v_lshlrev_b16 v26, 8, v26
	v_or_b32_sdwa v33, v25, v32 dst_sel:WORD_1 dst_unused:UNUSED_PAD src0_sel:BYTE_0 src1_sel:DWORD
	v_or_b32_sdwa v31, v24, v26 dst_sel:DWORD dst_unused:UNUSED_PAD src0_sel:BYTE_0 src1_sel:DWORD
	v_lshlrev_b16 v24, 8, v24
	v_lshlrev_b16 v25, 8, v25
	v_or_b32_sdwa v31, v31, v33 dst_sel:DWORD dst_unused:UNUSED_PAD src0_sel:WORD_0 src1_sel:DWORD
	s_waitcnt vmcnt(0)
	v_xor_b32_e32 v21, v21, v31
	v_lshrrev_b32_e32 v31, 16, v21
	v_and_b32_e32 v33, 0xffffff00, v21
	v_lshlrev_b16 v21, 8, v21
	v_sub_nc_i16 v26, v33, v26 clamp
	v_sub_nc_i16 v21, v21, v24 clamp
	v_and_b32_e32 v24, 0xffffff00, v31
	v_perm_b32 v21, v21, v26, 0xc0c0105
	v_lshlrev_b16 v26, 8, v31
	v_sub_nc_i16 v24, v24, v32 clamp
	v_sub_nc_i16 v25, v26, v25 clamp
	v_perm_b32 v24, v25, v24, 0xc0c0105
	v_lshl_or_b32 v21, v24, 16, v21
	v_and_b32_e32 v24, 0x80402010, v23
	v_lshrrev_b32_e32 v23, 22, v23
	v_cmp_ne_u16_sdwa s23, v24, v15 src0_sel:BYTE_3 src1_sel:DWORD
	v_cmp_ne_u16_sdwa s24, v24, v15 src0_sel:BYTE_1 src1_sel:DWORD
	v_lshrrev_b16 v24, 4, v24
	v_bfe_i32 v23, v23, 0, 1
	v_cndmask_b32_e64 v31, 0, -1, s23
	v_cndmask_b32_e64 v25, 0, -1, s24
	v_bfe_i32 v24, v24, 0, 1
	v_lshlrev_b16 v31, 8, v31
	v_lshlrev_b16 v25, 8, v25
	v_or_b32_sdwa v32, v23, v31 dst_sel:WORD_1 dst_unused:UNUSED_PAD src0_sel:BYTE_0 src1_sel:DWORD
	v_or_b32_sdwa v26, v24, v25 dst_sel:DWORD dst_unused:UNUSED_PAD src0_sel:BYTE_0 src1_sel:DWORD
	v_lshlrev_b16 v24, 8, v24
	v_lshlrev_b16 v23, 8, v23
	v_or_b32_sdwa v26, v26, v32 dst_sel:DWORD dst_unused:UNUSED_PAD src0_sel:WORD_0 src1_sel:DWORD
	v_xor_b32_e32 v22, v22, v26
	v_lshrrev_b32_e32 v26, 16, v22
	v_and_b32_e32 v32, 0xffffff00, v22
	v_lshlrev_b16 v22, 8, v22
	v_sub_nc_i16 v25, v32, v25 clamp
	v_sub_nc_i16 v22, v22, v24 clamp
	v_and_b32_e32 v24, 0xffffff00, v26
	v_perm_b32 v22, v22, v25, 0xc0c0105
	v_lshlrev_b16 v25, 8, v26
	v_sub_nc_i16 v24, v24, v31 clamp
	v_sub_nc_i16 v23, v25, v23 clamp
	v_bfe_u32 v25, v28, 14, 8
	v_perm_b32 v23, v23, v24, 0xc0c0105
	v_bcnt_u32_b32 v26, v25, 0
	v_lshl_or_b32 v22, v23, 16, v22
	v_lshlrev_b32_sdwa v23, v18, v27 dst_sel:DWORD dst_unused:UNUSED_PAD src0_sel:DWORD src1_sel:BYTE_2
	v_and_b32_e32 v26, 1, v26
	global_load_dwordx2 v[23:24], v23, s[10:11]
	v_lshlrev_b32_e32 v26, 7, v26
	v_xor_b32_e32 v25, v26, v25
	v_mul_lo_u32 v25, 0x1010101, v25
	v_and_b32_e32 v26, 0x8040201, v25
	v_lshrrev_b32_e32 v31, 18, v25
	v_cmp_ne_u16_sdwa s23, v26, v15 src0_sel:BYTE_3 src1_sel:DWORD
	v_cmp_ne_u16_sdwa s24, v26, v15 src0_sel:BYTE_1 src1_sel:DWORD
	v_bfe_i32 v26, v25, 0, 1
	v_bfe_i32 v31, v31, 0, 1
	v_cndmask_b32_e64 v34, 0, -1, s23
	v_cndmask_b32_e64 v32, 0, -1, s24
	v_lshlrev_b16 v34, 8, v34
	v_lshlrev_b16 v32, 8, v32
	v_or_b32_sdwa v35, v31, v34 dst_sel:WORD_1 dst_unused:UNUSED_PAD src0_sel:BYTE_0 src1_sel:DWORD
	v_or_b32_sdwa v33, v26, v32 dst_sel:DWORD dst_unused:UNUSED_PAD src0_sel:BYTE_0 src1_sel:DWORD
	v_lshlrev_b16 v26, 8, v26
	v_lshlrev_b16 v31, 8, v31
	v_or_b32_sdwa v33, v33, v35 dst_sel:DWORD dst_unused:UNUSED_PAD src0_sel:WORD_0 src1_sel:DWORD
	s_waitcnt vmcnt(0)
	v_xor_b32_e32 v23, v23, v33
	v_lshrrev_b32_e32 v33, 16, v23
	v_and_b32_e32 v35, 0xffffff00, v23
	v_lshlrev_b16 v23, 8, v23
	v_sub_nc_i16 v32, v35, v32 clamp
	v_sub_nc_i16 v23, v23, v26 clamp
	v_and_b32_e32 v26, 0xffffff00, v33
	v_perm_b32 v23, v23, v32, 0xc0c0105
	v_lshlrev_b16 v32, 8, v33
	v_sub_nc_i16 v26, v26, v34 clamp
	v_sub_nc_i16 v31, v32, v31 clamp
	v_perm_b32 v26, v31, v26, 0xc0c0105
	v_lshl_or_b32 v23, v26, 16, v23
	v_and_b32_e32 v26, 0x80402010, v25
	v_lshrrev_b32_e32 v25, 22, v25
	v_cmp_ne_u16_sdwa s23, v26, v15 src0_sel:BYTE_3 src1_sel:DWORD
	v_cmp_ne_u16_sdwa s24, v26, v15 src0_sel:BYTE_1 src1_sel:DWORD
	v_lshrrev_b16 v26, 4, v26
	v_bfe_i32 v25, v25, 0, 1
	v_cndmask_b32_e64 v33, 0, -1, s23
	v_cndmask_b32_e64 v31, 0, -1, s24
	v_bfe_i32 v26, v26, 0, 1
	v_lshlrev_b16 v33, 8, v33
	v_lshlrev_b16 v31, 8, v31
	v_or_b32_sdwa v34, v25, v33 dst_sel:WORD_1 dst_unused:UNUSED_PAD src0_sel:BYTE_0 src1_sel:DWORD
	v_or_b32_sdwa v32, v26, v31 dst_sel:DWORD dst_unused:UNUSED_PAD src0_sel:BYTE_0 src1_sel:DWORD
	v_lshlrev_b16 v26, 8, v26
	v_lshlrev_b16 v25, 8, v25
	v_or_b32_sdwa v32, v32, v34 dst_sel:DWORD dst_unused:UNUSED_PAD src0_sel:WORD_0 src1_sel:DWORD
	v_xor_b32_e32 v24, v24, v32
	v_lshrrev_b32_e32 v32, 16, v24
	v_and_b32_e32 v34, 0xffffff00, v24
	v_lshlrev_b16 v24, 8, v24
	v_sub_nc_i16 v31, v34, v31 clamp
	v_sub_nc_i16 v24, v24, v26 clamp
	v_and_b32_e32 v26, 0xffffff00, v32
	v_perm_b32 v24, v24, v31, 0xc0c0105
	v_lshlrev_b16 v31, 8, v32
	v_sub_nc_i16 v26, v26, v33 clamp
	v_sub_nc_i16 v25, v31, v25 clamp
	v_perm_b32 v25, v25, v26, 0xc0c0105
	v_lshl_or_b32 v24, v25, 16, v24
	v_lshlrev_b32_sdwa v25, v18, v27 dst_sel:DWORD dst_unused:UNUSED_PAD src0_sel:DWORD src1_sel:BYTE_3
	global_load_dwordx2 v[26:27], v25, s[10:11]
	v_bfe_u32 v25, v28, 21, 8
	v_bcnt_u32_b32 v31, v25, 0
	v_and_b32_e32 v31, 1, v31
	v_lshlrev_b32_e32 v31, 7, v31
	v_xor_b32_e32 v25, v31, v25
	v_mul_lo_u32 v25, 0x1010101, v25
	v_and_b32_e32 v31, 0x8040201, v25
	v_lshrrev_b32_e32 v32, 18, v25
	v_cmp_ne_u16_sdwa s10, v31, v15 src0_sel:BYTE_3 src1_sel:DWORD
	v_cmp_ne_u16_sdwa s11, v31, v15 src0_sel:BYTE_1 src1_sel:DWORD
	v_bfe_i32 v31, v25, 0, 1
	v_bfe_i32 v32, v32, 0, 1
	v_cndmask_b32_e64 v35, 0, -1, s10
	v_cndmask_b32_e64 v33, 0, -1, s11
	v_lshlrev_b16 v35, 8, v35
	v_lshlrev_b16 v33, 8, v33
	v_or_b32_sdwa v36, v32, v35 dst_sel:WORD_1 dst_unused:UNUSED_PAD src0_sel:BYTE_0 src1_sel:DWORD
	v_or_b32_sdwa v34, v31, v33 dst_sel:DWORD dst_unused:UNUSED_PAD src0_sel:BYTE_0 src1_sel:DWORD
	v_lshlrev_b16 v31, 8, v31
	v_lshlrev_b16 v32, 8, v32
	v_or_b32_sdwa v34, v34, v36 dst_sel:DWORD dst_unused:UNUSED_PAD src0_sel:WORD_0 src1_sel:DWORD
	s_waitcnt vmcnt(0)
	v_xor_b32_e32 v26, v26, v34
	v_lshrrev_b32_e32 v34, 16, v26
	v_and_b32_e32 v36, 0xffffff00, v26
	v_lshlrev_b16 v26, 8, v26
	v_sub_nc_i16 v33, v36, v33 clamp
	v_sub_nc_i16 v26, v26, v31 clamp
	v_and_b32_e32 v31, 0xffffff00, v34
	v_perm_b32 v26, v26, v33, 0xc0c0105
	v_lshlrev_b16 v33, 8, v34
	v_sub_nc_i16 v31, v31, v35 clamp
	v_sub_nc_i16 v32, v33, v32 clamp
	v_perm_b32 v31, v32, v31, 0xc0c0105
	v_lshl_or_b32 v26, v31, 16, v26
	v_and_b32_e32 v31, 0x80402010, v25
	v_lshrrev_b32_e32 v25, 22, v25
	v_cmp_ne_u16_sdwa s10, v31, v15 src0_sel:BYTE_3 src1_sel:DWORD
	v_cmp_ne_u16_sdwa s11, v31, v15 src0_sel:BYTE_1 src1_sel:DWORD
	v_lshrrev_b16 v31, 4, v31
	v_bfe_i32 v25, v25, 0, 1
	v_cndmask_b32_e64 v34, 0, -1, s10
	v_cndmask_b32_e64 v32, 0, -1, s11
	v_bfe_i32 v31, v31, 0, 1
	v_lshlrev_b16 v34, 8, v34
	v_lshlrev_b16 v32, 8, v32
	v_or_b32_sdwa v35, v25, v34 dst_sel:WORD_1 dst_unused:UNUSED_PAD src0_sel:BYTE_0 src1_sel:DWORD
	v_or_b32_sdwa v33, v31, v32 dst_sel:DWORD dst_unused:UNUSED_PAD src0_sel:BYTE_0 src1_sel:DWORD
	v_lshlrev_b16 v31, 8, v31
	v_lshlrev_b16 v25, 8, v25
	v_or_b32_sdwa v33, v33, v35 dst_sel:DWORD dst_unused:UNUSED_PAD src0_sel:WORD_0 src1_sel:DWORD
	v_xor_b32_e32 v27, v27, v33
	v_lshrrev_b32_e32 v33, 16, v27
	v_and_b32_e32 v35, 0xffffff00, v27
	v_lshlrev_b16 v27, 8, v27
	v_sub_nc_i16 v32, v35, v32 clamp
	v_sub_nc_i16 v27, v27, v31 clamp
	v_and_b32_e32 v31, 0xffffff00, v33
	v_perm_b32 v27, v27, v32, 0xc0c0105
	v_lshlrev_b16 v32, 8, v33
	v_sub_nc_i16 v31, v31, v34 clamp
	v_sub_nc_i16 v25, v32, v25 clamp
	v_perm_b32 v25, v25, v31, 0xc0c0105
	v_lshl_or_b32 v27, v25, 16, v27
	v_lshrrev_b32_e32 v25, 27, v28
	v_or_b32_e32 v28, 1, v25
	global_load_ushort v25, v[29:30], off
	s_clause 0x2
	global_load_dwordx4 v[29:32], v[4:5], off offset:-16
	global_load_dword v37, v[4:5], off offset:16
	global_load_dwordx4 v[33:36], v[4:5], off
	v_add_co_u32 v4, vcc_lo, 0x480, v4
	v_add_co_ci_u32_e64 v5, null, 0, v5, vcc_lo
	v_cmp_le_u32_e32 vcc_lo, s19, v13
	s_or_b32 s17, vcc_lo, s17
	s_waitcnt vmcnt(2)
	v_dot4c_i32_i8 v38, v19, v30
	v_cvt_f32_f16_e32 v25, v25
	v_cvt_f32_f16_e32 v29, v29
	v_dot4c_i32_i8 v38, v20, v31
	v_mul_f32_e32 v29, v25, v29
	v_dot4c_i32_i8 v38, v21, v32
	s_waitcnt vmcnt(0)
	v_dot4c_i32_i8 v38, v22, v33
	v_dot4c_i32_i8 v38, v23, v34
	v_dot4c_i32_i8 v38, v24, v35
	v_dot4c_i32_i8 v38, v26, v36
	v_dot4c_i32_i8 v38, v27, v37
	v_mul_lo_u32 v30, v38, v28
	v_mov_b32_e32 v38, 0
	v_ashrrev_i32_e32 v31, 31, v30
	v_lshrrev_b32_e32 v31, 29, v31
	v_add_nc_u32_e32 v30, v30, v31
	v_ashrrev_i32_e32 v30, 3, v30
	v_cvt_f32_i32_e32 v30, v30
	v_fmac_f32_e32 v14, v29, v30
	v_add_nc_u32_e32 v29, s1, v16
	v_mad_u64_u32 v[33:34], null, v29, 36, v[2:3]
	s_clause 0x2
	global_load_dwordx4 v[29:32], v[33:34], off
	global_load_dword v37, v[33:34], off offset:32
	global_load_dwordx4 v[33:36], v[33:34], off offset:16
	s_waitcnt vmcnt(2)
	v_dot4c_i32_i8 v38, v19, v30
	v_cvt_f32_f16_e32 v29, v29
	v_dot4c_i32_i8 v38, v20, v31
	v_mul_f32_e32 v29, v25, v29
	v_dot4c_i32_i8 v38, v21, v32
	s_waitcnt vmcnt(0)
	v_dot4c_i32_i8 v38, v22, v33
	v_dot4c_i32_i8 v38, v23, v34
	v_dot4c_i32_i8 v38, v24, v35
	v_dot4c_i32_i8 v38, v26, v36
	v_dot4c_i32_i8 v38, v27, v37
	v_mul_lo_u32 v30, v38, v28
	v_mov_b32_e32 v38, 0
	v_ashrrev_i32_e32 v31, 31, v30
	v_lshrrev_b32_e32 v31, 29, v31
	v_add_nc_u32_e32 v30, v30, v31
	v_ashrrev_i32_e32 v30, 3, v30
	v_cvt_f32_i32_e32 v30, v30
	v_fmac_f32_e32 v12, v29, v30
	v_add_nc_u32_e32 v29, s22, v16
	v_mad_u64_u32 v[33:34], null, v29, 36, v[2:3]
	s_clause 0x2
	global_load_dwordx4 v[29:32], v[33:34], off
	global_load_dword v37, v[33:34], off offset:32
	global_load_dwordx4 v[33:36], v[33:34], off offset:16
	s_waitcnt vmcnt(2)
	v_dot4c_i32_i8 v38, v19, v30
	;; [unrolled: 26-line block ×6, first 2 shown]
	v_cvt_f32_f16_e32 v29, v29
	v_dot4c_i32_i8 v38, v20, v31
	v_mul_f32_e32 v29, v25, v29
	v_dot4c_i32_i8 v38, v21, v32
	s_waitcnt vmcnt(0)
	v_dot4c_i32_i8 v38, v22, v33
	v_dot4c_i32_i8 v38, v23, v34
	;; [unrolled: 1-line block ×5, first 2 shown]
	v_mul_lo_u32 v30, v38, v28
	v_mov_b32_e32 v38, 0
	v_ashrrev_i32_e32 v31, 31, v30
	v_lshrrev_b32_e32 v31, 29, v31
	v_add_nc_u32_e32 v30, v30, v31
	v_ashrrev_i32_e32 v30, 3, v30
	v_cvt_f32_i32_e32 v30, v30
	v_fmac_f32_e32 v7, v29, v30
	v_add_nc_u32_e32 v29, s3, v16
	v_add_nc_u32_e32 v16, 32, v16
	v_mad_u64_u32 v[33:34], null, v29, 36, v[2:3]
	s_clause 0x2
	global_load_dwordx4 v[29:32], v[33:34], off
	global_load_dword v37, v[33:34], off offset:32
	global_load_dwordx4 v[33:36], v[33:34], off offset:16
	s_waitcnt vmcnt(2)
	v_dot4c_i32_i8 v38, v19, v30
	v_dot4c_i32_i8 v38, v20, v31
	;; [unrolled: 1-line block ×3, first 2 shown]
	s_waitcnt vmcnt(0)
	v_dot4c_i32_i8 v38, v22, v33
	v_dot4c_i32_i8 v38, v23, v34
	;; [unrolled: 1-line block ×5, first 2 shown]
	v_mul_lo_u32 v19, v38, v28
	v_ashrrev_i32_e32 v20, 31, v19
	v_lshrrev_b32_e32 v20, 29, v20
	v_add_nc_u32_e32 v19, v19, v20
	v_cvt_f32_f16_e32 v20, v29
	v_ashrrev_i32_e32 v19, 3, v19
	v_mul_f32_e32 v20, v25, v20
	v_cvt_f32_i32_e32 v19, v19
	v_fmac_f32_e32 v6, v20, v19
	s_andn2_b32 exec_lo, exec_lo, s17
	s_cbranch_execnz .LBB167_2
; %bb.3:
	s_or_b32 exec_lo, exec_lo, s17
.LBB167_4:
	s_or_b32 exec_lo, exec_lo, s9
	s_mov_b32 s1, 0
	; wave barrier
	buffer_gl0_inv
	s_mov_b32 s0, exec_lo
	v_cmpx_eq_u32_e32 0, v1
	s_cbranch_execz .LBB167_21
; %bb.5:
	v_mbcnt_lo_u32_b32 v5, -1, 0
	s_load_dwordx2 s[4:5], s[4:5], 0x38
	s_mul_i32 s0, s14, s7
	s_mul_i32 s3, s18, s8
	s_add_i32 s0, s0, s6
	v_xor_b32_e32 v1, 16, v5
	v_xor_b32_e32 v2, 8, v5
	;; [unrolled: 1-line block ×3, first 2 shown]
	s_add_i32 s0, s0, s3
	s_lshl_b64 s[0:1], s[0:1], 2
	v_cmp_gt_i32_e32 vcc_lo, 32, v1
	v_cndmask_b32_e32 v1, v5, v1, vcc_lo
	v_cmp_gt_i32_e32 vcc_lo, 32, v2
	v_lshlrev_b32_e32 v1, 2, v1
	v_cndmask_b32_e32 v2, v5, v2, vcc_lo
	s_waitcnt lgkmcnt(0)
	s_add_u32 s0, s4, s0
	s_addc_u32 s1, s5, s1
	ds_bpermute_b32 v3, v1, v14
	v_lshlrev_b32_e32 v2, 2, v2
	s_waitcnt lgkmcnt(0)
	v_add_f32_e32 v4, v14, v3
	v_xor_b32_e32 v3, 4, v5
	ds_bpermute_b32 v13, v2, v4
	v_cmp_gt_i32_e32 vcc_lo, 32, v3
	v_cndmask_b32_e32 v3, v5, v3, vcc_lo
	v_lshlrev_b32_e32 v3, 2, v3
	s_waitcnt lgkmcnt(0)
	v_add_f32_e32 v13, v4, v13
	v_xor_b32_e32 v4, 2, v5
	ds_bpermute_b32 v14, v3, v13
	v_cmp_gt_i32_e32 vcc_lo, 32, v4
	v_cndmask_b32_e32 v4, v5, v4, vcc_lo
	v_cmp_gt_i32_e32 vcc_lo, 32, v15
	v_lshlrev_b32_e32 v4, 2, v4
	v_cndmask_b32_e32 v5, v5, v15, vcc_lo
	v_cmp_eq_u32_e32 vcc_lo, 0, v0
	v_lshlrev_b32_e32 v5, 2, v5
	s_waitcnt lgkmcnt(0)
	v_add_f32_e32 v13, v13, v14
	ds_bpermute_b32 v14, v4, v13
	s_waitcnt lgkmcnt(0)
	v_add_f32_e32 v13, v13, v14
	ds_bpermute_b32 v14, v5, v13
	s_and_saveexec_b32 s3, vcc_lo
	s_cbranch_execz .LBB167_7
; %bb.6:
	s_waitcnt lgkmcnt(0)
	v_add_f32_e32 v0, v13, v14
	v_mov_b32_e32 v13, 0
	global_store_dword v13, v0, s[0:1]
.LBB167_7:
	s_or_b32 exec_lo, exec_lo, s3
	ds_bpermute_b32 v0, v1, v12
	s_waitcnt lgkmcnt(0)
	v_add_f32_e32 v0, v12, v0
	ds_bpermute_b32 v12, v2, v0
	s_waitcnt lgkmcnt(0)
	v_add_f32_e32 v0, v0, v12
	;; [unrolled: 3-line block ×4, first 2 shown]
	ds_bpermute_b32 v12, v5, v0
	s_and_saveexec_b32 s4, vcc_lo
	s_cbranch_execz .LBB167_9
; %bb.8:
	s_mov_b32 s3, 0
	s_waitcnt lgkmcnt(0)
	v_add_f32_e32 v0, v0, v12
	s_lshl_b64 s[6:7], s[2:3], 2
	v_mov_b32_e32 v12, 0
	s_add_u32 s6, s0, s6
	s_addc_u32 s7, s1, s7
	global_store_dword v12, v0, s[6:7]
.LBB167_9:
	s_or_b32 exec_lo, exec_lo, s4
	ds_bpermute_b32 v0, v1, v11
	s_waitcnt lgkmcnt(0)
	v_add_f32_e32 v0, v11, v0
	ds_bpermute_b32 v11, v2, v0
	s_waitcnt lgkmcnt(0)
	v_add_f32_e32 v0, v0, v11
	;; [unrolled: 3-line block ×4, first 2 shown]
	ds_bpermute_b32 v11, v5, v0
	s_and_saveexec_b32 s3, vcc_lo
	s_cbranch_execz .LBB167_11
; %bb.10:
	s_lshl_b32 s4, s2, 1
	s_mov_b32 s5, 0
	s_waitcnt lgkmcnt(0)
	v_add_f32_e32 v0, v0, v11
	s_lshl_b64 s[4:5], s[4:5], 2
	v_mov_b32_e32 v11, 0
	s_add_u32 s4, s0, s4
	s_addc_u32 s5, s1, s5
	global_store_dword v11, v0, s[4:5]
.LBB167_11:
	s_or_b32 exec_lo, exec_lo, s3
	ds_bpermute_b32 v0, v1, v10
	s_waitcnt lgkmcnt(0)
	v_add_f32_e32 v0, v10, v0
	ds_bpermute_b32 v10, v2, v0
	s_waitcnt lgkmcnt(0)
	v_add_f32_e32 v0, v0, v10
	;; [unrolled: 3-line block ×4, first 2 shown]
	ds_bpermute_b32 v10, v5, v0
	s_and_saveexec_b32 s3, vcc_lo
	s_cbranch_execz .LBB167_13
; %bb.12:
	s_mul_i32 s4, s2, 3
	s_mov_b32 s5, 0
	s_waitcnt lgkmcnt(0)
	v_add_f32_e32 v0, v0, v10
	s_lshl_b64 s[4:5], s[4:5], 2
	v_mov_b32_e32 v10, 0
	s_add_u32 s4, s0, s4
	s_addc_u32 s5, s1, s5
	global_store_dword v10, v0, s[4:5]
.LBB167_13:
	s_or_b32 exec_lo, exec_lo, s3
	ds_bpermute_b32 v0, v1, v9
	s_waitcnt lgkmcnt(0)
	v_add_f32_e32 v0, v9, v0
	ds_bpermute_b32 v9, v2, v0
	s_waitcnt lgkmcnt(0)
	v_add_f32_e32 v0, v0, v9
	;; [unrolled: 3-line block ×4, first 2 shown]
	ds_bpermute_b32 v9, v5, v0
	s_and_saveexec_b32 s3, vcc_lo
	s_cbranch_execz .LBB167_15
; %bb.14:
	s_lshl_b32 s4, s2, 2
	s_mov_b32 s5, 0
	s_waitcnt lgkmcnt(0)
	v_add_f32_e32 v0, v0, v9
	s_lshl_b64 s[4:5], s[4:5], 2
	v_mov_b32_e32 v9, 0
	s_add_u32 s4, s0, s4
	s_addc_u32 s5, s1, s5
	global_store_dword v9, v0, s[4:5]
.LBB167_15:
	s_or_b32 exec_lo, exec_lo, s3
	ds_bpermute_b32 v0, v1, v8
	s_waitcnt lgkmcnt(0)
	v_add_f32_e32 v0, v8, v0
	ds_bpermute_b32 v8, v2, v0
	s_waitcnt lgkmcnt(0)
	v_add_f32_e32 v0, v0, v8
	;; [unrolled: 3-line block ×4, first 2 shown]
	ds_bpermute_b32 v8, v5, v0
	s_and_saveexec_b32 s3, vcc_lo
	s_cbranch_execz .LBB167_17
; %bb.16:
	s_mul_i32 s4, s2, 5
	s_mov_b32 s5, 0
	s_waitcnt lgkmcnt(0)
	v_add_f32_e32 v0, v0, v8
	s_lshl_b64 s[4:5], s[4:5], 2
	v_mov_b32_e32 v8, 0
	s_add_u32 s4, s0, s4
	s_addc_u32 s5, s1, s5
	global_store_dword v8, v0, s[4:5]
.LBB167_17:
	s_or_b32 exec_lo, exec_lo, s3
	ds_bpermute_b32 v0, v1, v7
	s_waitcnt lgkmcnt(0)
	v_add_f32_e32 v0, v7, v0
	ds_bpermute_b32 v7, v2, v0
	s_waitcnt lgkmcnt(0)
	v_add_f32_e32 v0, v0, v7
	;; [unrolled: 3-line block ×4, first 2 shown]
	ds_bpermute_b32 v7, v5, v0
	s_and_saveexec_b32 s3, vcc_lo
	s_cbranch_execz .LBB167_19
; %bb.18:
	s_mul_i32 s4, s2, 6
	s_mov_b32 s5, 0
	s_waitcnt lgkmcnt(0)
	v_add_f32_e32 v0, v0, v7
	s_lshl_b64 s[4:5], s[4:5], 2
	v_mov_b32_e32 v7, 0
	s_add_u32 s4, s0, s4
	s_addc_u32 s5, s1, s5
	global_store_dword v7, v0, s[4:5]
.LBB167_19:
	s_or_b32 exec_lo, exec_lo, s3
	ds_bpermute_b32 v0, v1, v6
	s_waitcnt lgkmcnt(0)
	v_add_f32_e32 v0, v6, v0
	ds_bpermute_b32 v1, v2, v0
	s_waitcnt lgkmcnt(0)
	v_add_f32_e32 v0, v0, v1
	;; [unrolled: 3-line block ×4, first 2 shown]
	ds_bpermute_b32 v1, v5, v0
	s_and_b32 exec_lo, exec_lo, vcc_lo
	s_cbranch_execz .LBB167_21
; %bb.20:
	s_mul_i32 s2, s2, 7
	s_mov_b32 s3, 0
	s_waitcnt lgkmcnt(0)
	v_add_f32_e32 v0, v0, v1
	s_lshl_b64 s[2:3], s[2:3], 2
	v_mov_b32_e32 v1, 0
	s_add_u32 s0, s0, s2
	s_addc_u32 s1, s1, s3
	global_store_dword v1, v0, s[0:1]
.LBB167_21:
	s_endpgm
	.section	.rodata,"a",@progbits
	.p2align	6, 0x0
	.amdhsa_kernel _ZL13mul_mat_vec_qIL9ggml_type16ELi8ELb0ELb0EEvPKvS2_PKi31ggml_cuda_mm_fusion_args_devicePfj15HIP_vector_typeIjLj3EEjjjS8_jjjS8_jjjj
		.amdhsa_group_segment_fixed_size 0
		.amdhsa_private_segment_fixed_size 0
		.amdhsa_kernarg_size 144
		.amdhsa_user_sgpr_count 6
		.amdhsa_user_sgpr_private_segment_buffer 1
		.amdhsa_user_sgpr_dispatch_ptr 0
		.amdhsa_user_sgpr_queue_ptr 0
		.amdhsa_user_sgpr_kernarg_segment_ptr 1
		.amdhsa_user_sgpr_dispatch_id 0
		.amdhsa_user_sgpr_flat_scratch_init 0
		.amdhsa_user_sgpr_private_segment_size 0
		.amdhsa_wavefront_size32 1
		.amdhsa_uses_dynamic_stack 0
		.amdhsa_system_sgpr_private_segment_wavefront_offset 0
		.amdhsa_system_sgpr_workgroup_id_x 1
		.amdhsa_system_sgpr_workgroup_id_y 1
		.amdhsa_system_sgpr_workgroup_id_z 1
		.amdhsa_system_sgpr_workgroup_info 0
		.amdhsa_system_vgpr_workitem_id 1
		.amdhsa_next_free_vgpr 39
		.amdhsa_next_free_sgpr 28
		.amdhsa_reserve_vcc 1
		.amdhsa_reserve_flat_scratch 0
		.amdhsa_float_round_mode_32 0
		.amdhsa_float_round_mode_16_64 0
		.amdhsa_float_denorm_mode_32 3
		.amdhsa_float_denorm_mode_16_64 3
		.amdhsa_dx10_clamp 1
		.amdhsa_ieee_mode 1
		.amdhsa_fp16_overflow 0
		.amdhsa_workgroup_processor_mode 1
		.amdhsa_memory_ordered 1
		.amdhsa_forward_progress 1
		.amdhsa_shared_vgpr_count 0
		.amdhsa_exception_fp_ieee_invalid_op 0
		.amdhsa_exception_fp_denorm_src 0
		.amdhsa_exception_fp_ieee_div_zero 0
		.amdhsa_exception_fp_ieee_overflow 0
		.amdhsa_exception_fp_ieee_underflow 0
		.amdhsa_exception_fp_ieee_inexact 0
		.amdhsa_exception_int_div_zero 0
	.end_amdhsa_kernel
	.section	.text._ZL13mul_mat_vec_qIL9ggml_type16ELi8ELb0ELb0EEvPKvS2_PKi31ggml_cuda_mm_fusion_args_devicePfj15HIP_vector_typeIjLj3EEjjjS8_jjjS8_jjjj,"axG",@progbits,_ZL13mul_mat_vec_qIL9ggml_type16ELi8ELb0ELb0EEvPKvS2_PKi31ggml_cuda_mm_fusion_args_devicePfj15HIP_vector_typeIjLj3EEjjjS8_jjjS8_jjjj,comdat
.Lfunc_end167:
	.size	_ZL13mul_mat_vec_qIL9ggml_type16ELi8ELb0ELb0EEvPKvS2_PKi31ggml_cuda_mm_fusion_args_devicePfj15HIP_vector_typeIjLj3EEjjjS8_jjjS8_jjjj, .Lfunc_end167-_ZL13mul_mat_vec_qIL9ggml_type16ELi8ELb0ELb0EEvPKvS2_PKi31ggml_cuda_mm_fusion_args_devicePfj15HIP_vector_typeIjLj3EEjjjS8_jjjS8_jjjj
                                        ; -- End function
	.set _ZL13mul_mat_vec_qIL9ggml_type16ELi8ELb0ELb0EEvPKvS2_PKi31ggml_cuda_mm_fusion_args_devicePfj15HIP_vector_typeIjLj3EEjjjS8_jjjS8_jjjj.num_vgpr, 39
	.set _ZL13mul_mat_vec_qIL9ggml_type16ELi8ELb0ELb0EEvPKvS2_PKi31ggml_cuda_mm_fusion_args_devicePfj15HIP_vector_typeIjLj3EEjjjS8_jjjS8_jjjj.num_agpr, 0
	.set _ZL13mul_mat_vec_qIL9ggml_type16ELi8ELb0ELb0EEvPKvS2_PKi31ggml_cuda_mm_fusion_args_devicePfj15HIP_vector_typeIjLj3EEjjjS8_jjjS8_jjjj.numbered_sgpr, 28
	.set _ZL13mul_mat_vec_qIL9ggml_type16ELi8ELb0ELb0EEvPKvS2_PKi31ggml_cuda_mm_fusion_args_devicePfj15HIP_vector_typeIjLj3EEjjjS8_jjjS8_jjjj.num_named_barrier, 0
	.set _ZL13mul_mat_vec_qIL9ggml_type16ELi8ELb0ELb0EEvPKvS2_PKi31ggml_cuda_mm_fusion_args_devicePfj15HIP_vector_typeIjLj3EEjjjS8_jjjS8_jjjj.private_seg_size, 0
	.set _ZL13mul_mat_vec_qIL9ggml_type16ELi8ELb0ELb0EEvPKvS2_PKi31ggml_cuda_mm_fusion_args_devicePfj15HIP_vector_typeIjLj3EEjjjS8_jjjS8_jjjj.uses_vcc, 1
	.set _ZL13mul_mat_vec_qIL9ggml_type16ELi8ELb0ELb0EEvPKvS2_PKi31ggml_cuda_mm_fusion_args_devicePfj15HIP_vector_typeIjLj3EEjjjS8_jjjS8_jjjj.uses_flat_scratch, 0
	.set _ZL13mul_mat_vec_qIL9ggml_type16ELi8ELb0ELb0EEvPKvS2_PKi31ggml_cuda_mm_fusion_args_devicePfj15HIP_vector_typeIjLj3EEjjjS8_jjjS8_jjjj.has_dyn_sized_stack, 0
	.set _ZL13mul_mat_vec_qIL9ggml_type16ELi8ELb0ELb0EEvPKvS2_PKi31ggml_cuda_mm_fusion_args_devicePfj15HIP_vector_typeIjLj3EEjjjS8_jjjS8_jjjj.has_recursion, 0
	.set _ZL13mul_mat_vec_qIL9ggml_type16ELi8ELb0ELb0EEvPKvS2_PKi31ggml_cuda_mm_fusion_args_devicePfj15HIP_vector_typeIjLj3EEjjjS8_jjjS8_jjjj.has_indirect_call, 0
	.section	.AMDGPU.csdata,"",@progbits
; Kernel info:
; codeLenInByte = 4648
; TotalNumSgprs: 30
; NumVgprs: 39
; ScratchSize: 0
; MemoryBound: 0
; FloatMode: 240
; IeeeMode: 1
; LDSByteSize: 0 bytes/workgroup (compile time only)
; SGPRBlocks: 0
; VGPRBlocks: 4
; NumSGPRsForWavesPerEU: 30
; NumVGPRsForWavesPerEU: 39
; Occupancy: 16
; WaveLimiterHint : 0
; COMPUTE_PGM_RSRC2:SCRATCH_EN: 0
; COMPUTE_PGM_RSRC2:USER_SGPR: 6
; COMPUTE_PGM_RSRC2:TRAP_HANDLER: 0
; COMPUTE_PGM_RSRC2:TGID_X_EN: 1
; COMPUTE_PGM_RSRC2:TGID_Y_EN: 1
; COMPUTE_PGM_RSRC2:TGID_Z_EN: 1
; COMPUTE_PGM_RSRC2:TIDIG_COMP_CNT: 1
	.section	.text._ZL17mul_mat_vec_q_moeIL9ggml_type17ELi2EEvPKvS2_PKiPfj15HIP_vector_typeIjLj3EEjjjjjjjjj,"axG",@progbits,_ZL17mul_mat_vec_q_moeIL9ggml_type17ELi2EEvPKvS2_PKiPfj15HIP_vector_typeIjLj3EEjjjjjjjjj,comdat
	.globl	_ZL17mul_mat_vec_q_moeIL9ggml_type17ELi2EEvPKvS2_PKiPfj15HIP_vector_typeIjLj3EEjjjjjjjjj ; -- Begin function _ZL17mul_mat_vec_q_moeIL9ggml_type17ELi2EEvPKvS2_PKiPfj15HIP_vector_typeIjLj3EEjjjjjjjjj
	.p2align	8
	.type	_ZL17mul_mat_vec_q_moeIL9ggml_type17ELi2EEvPKvS2_PKiPfj15HIP_vector_typeIjLj3EEjjjjjjjjj,@function
_ZL17mul_mat_vec_q_moeIL9ggml_type17ELi2EEvPKvS2_PKiPfj15HIP_vector_typeIjLj3EEjjjjjjjjj: ; @_ZL17mul_mat_vec_q_moeIL9ggml_type17ELi2EEvPKvS2_PKiPfj15HIP_vector_typeIjLj3EEjjjjjjjjj
; %bb.0:
	s_load_dwordx8 s[16:23], s[4:5], 0x30
	s_mov_b32 s0, exec_lo
	s_waitcnt lgkmcnt(0)
	v_cmpx_gt_u32_e64 s23, v1
	s_cbranch_execz .LBB168_7
; %bb.1:
	s_clause 0x2
	s_load_dword s1, s[4:5], 0x20
	s_load_dword s0, s[4:5], 0x50
	s_load_dwordx8 s[8:15], s[4:5], 0x0
	v_lshrrev_b32_e32 v16, 3, v0
	v_mov_b32_e32 v2, 0
	v_mov_b32_e32 v17, 0
	s_mov_b32 s2, s7
	s_lshl_b32 s3, s6, 1
	s_mov_b32 s6, exec_lo
	s_waitcnt lgkmcnt(0)
	s_lshr_b32 s7, s1, 8
	v_cmpx_gt_u32_e64 s7, v16
	s_cbranch_execz .LBB168_5
; %bb.2:
	v_mad_u64_u32 v[2:3], null, s0, v1, s[2:3]
	v_mov_b32_e32 v3, 0
	s_load_dwordx4 s[24:27], s[4:5], 0x24
	v_lshrrev_b32_e32 v6, 3, v0
	v_and_b32_e32 v18, 7, v0
	v_mov_b32_e32 v17, 0
	s_mov_b32 s4, 0
	v_lshlrev_b64 v[4:5], 2, v[2:3]
	v_add_co_u32 v4, vcc_lo, s12, v4
	v_add_co_ci_u32_e64 v5, null, s13, v5, vcc_lo
	global_load_dword v2, v[4:5], off
	v_mul_lo_u32 v4, s18, v1
	s_waitcnt lgkmcnt(0)
	s_mul_hi_u32 s0, s24, s2
	s_add_i32 s0, s2, s0
	s_lshr_b32 s0, s0, s25
	s_mul_i32 s0, s0, s26
	v_mad_u64_u32 v[4:5], null, v4, 36, 0
	s_sub_i32 s0, s2, s0
	s_mul_i32 s0, s0, s21
	v_mad_u64_u32 v[4:5], null, 0x120, v6, v[4:5]
	v_lshlrev_b32_e32 v6, 1, v0
	v_and_b32_e32 v6, 14, v6
	v_mad_u64_u32 v[4:5], null, s0, 36, v[4:5]
	s_add_i32 s0, s3, 1
	v_lshlrev_b32_e32 v8, 1, v6
	v_mad_u64_u32 v[4:5], null, v18, 36, v[4:5]
	v_lshlrev_b32_e32 v19, 1, v8
	v_add_co_u32 v7, vcc_lo, s10, v4
	v_add_co_ci_u32_e64 v9, null, s11, v5, vcc_lo
	s_waitcnt vmcnt(0)
	v_mul_lo_u32 v2, v2, s20
	v_mad_u64_u32 v[4:5], null, s3, s17, v[2:3]
	v_mad_u64_u32 v[5:6], null, s17, s0, v[2:3]
	v_add_co_u32 v6, vcc_lo, v7, 32
	v_add_co_ci_u32_e64 v7, null, 0, v9, vcc_lo
	v_mov_b32_e32 v2, 0
.LBB168_3:                              ; =>This Inner Loop Header: Depth=1
	v_add_nc_u32_e32 v8, v4, v16
	v_add_nc_u32_e32 v9, v5, v16
	s_getpc_b64 s[0:1]
	s_add_u32 s0, s0, _ZL10iq2xs_grid@rel32@lo+4
	s_addc_u32 s1, s1, _ZL10iq2xs_grid@rel32@hi+12
	v_add_nc_u32_e32 v16, 4, v16
	v_mad_i64_i32 v[10:11], null, 0x4a, v8, s[8:9]
	v_mad_i64_i32 v[8:9], null, 0x4a, v9, s[8:9]
	v_add_co_u32 v12, vcc_lo, v10, v19
	v_add_co_ci_u32_e64 v13, null, 0, v11, vcc_lo
	v_add_co_u32 v14, vcc_lo, v8, v19
	v_add_co_ci_u32_e64 v15, null, 0, v9, vcc_lo
	;; [unrolled: 2-line block ×4, first 2 shown]
	s_clause 0x4
	global_load_dwordx2 v[24:25], v[12:13], off offset:2
	global_load_dwordx2 v[13:14], v[14:15], off offset:2
	global_load_ubyte v12, v[22:23], off offset:66
	global_load_ushort v10, v[10:11], off
	global_load_ubyte v11, v[20:21], off offset:66
	s_waitcnt vmcnt(4)
	v_and_b32_e32 v15, 0x1ff, v24
	v_lshrrev_b32_e32 v21, 13, v24
	v_and_b32_e32 v23, 0x1ff, v25
	v_lshrrev_b32_e32 v27, 13, v25
	v_bfe_u32 v20, v24, 9, 7
	v_lshlrev_b32_e32 v15, 3, v15
	v_and_b32_e32 v21, 0xff8, v21
	v_lshlrev_b32_e32 v23, 3, v23
	v_and_b32_e32 v27, 0xff8, v27
	s_clause 0x3
	global_load_dwordx2 v[40:41], v15, s[0:1]
	global_load_dwordx2 v[42:43], v21, s[0:1]
	;; [unrolled: 1-line block ×4, first 2 shown]
	v_lshrrev_b32_e32 v22, 25, v24
	v_bfe_u32 v26, v25, 9, 7
	v_lshrrev_b32_e32 v28, 25, v25
	s_waitcnt vmcnt(7)
	v_bfe_u32 v29, v13, 9, 7
	v_bcnt_u32_b32 v37, v20, 0
	v_bcnt_u32_b32 v22, v22, 0
	;; [unrolled: 1-line block ×5, first 2 shown]
	v_and_b32_e32 v15, 1, v37
	v_and_b32_e32 v30, 0x1ff, v13
	v_lshrrev_b32_e32 v32, 25, v13
	v_bfe_u32 v33, v14, 9, 7
	v_lshrrev_b32_e32 v35, 25, v14
	v_lshrrev_b32_e32 v31, 13, v13
	v_and_b32_e32 v34, 0x1ff, v14
	v_and_b32_e32 v21, 1, v22
	;; [unrolled: 1-line block ×5, first 2 shown]
	v_lshl_or_b32 v15, v15, 7, v20
	v_lshlrev_b32_e32 v30, 3, v30
	v_bcnt_u32_b32 v32, v32, 0
	v_bcnt_u32_b32 v48, v33, 0
	;; [unrolled: 1-line block ×3, first 2 shown]
	v_and_b32_e32 v31, 0xff8, v31
	v_lshlrev_b32_e32 v34, 3, v34
	v_alignbit_b32 v20, v21, v24, 25
	v_lshl_or_b32 v21, v22, 7, v26
	v_alignbit_b32 v22, v23, v25, 25
	v_lshl_or_b32 v23, v27, 7, v29
	v_mul_lo_u32 v15, 0x1010101, v15
	v_and_b32_e32 v28, 1, v32
	v_and_b32_e32 v32, 1, v48
	s_clause 0x2
	global_load_dwordx2 v[48:49], v30, s[0:1]
	global_load_dwordx2 v[50:51], v31, s[0:1]
	;; [unrolled: 1-line block ×3, first 2 shown]
	v_and_b32_e32 v30, 1, v35
	v_mul_lo_u32 v23, 0x1010101, v23
	v_lshrrev_b32_e32 v36, 13, v14
	v_alignbit_b32 v13, v28, v13, 25
	v_lshrrev_b32_e32 v25, 18, v15
	v_alignbit_b32 v14, v30, v14, 25
	v_and_b32_e32 v30, 0x8040201, v15
	v_mul_lo_u32 v20, 0x1010101, v20
	v_mul_lo_u32 v13, 0x1010101, v13
	v_lshrrev_b32_e32 v62, 22, v23
	v_and_b32_e32 v31, 0x80402010, v15
	v_cmp_ne_u16_sdwa s5, v30, v3 src0_sel:BYTE_1 src1_sel:DWORD
	v_bfe_i32 v29, v25, 0, 1
	v_mul_lo_u32 v14, 0x1010101, v14
	v_bfe_i32 v25, v62, 0, 1
	v_lshrrev_b32_e32 v26, 18, v20
	v_cndmask_b32_e64 v62, 0, -1, s5
	v_cmp_ne_u16_sdwa s5, v30, v3 src0_sel:BYTE_3 src1_sel:DWORD
	v_lshrrev_b32_e32 v64, 18, v13
	v_mul_lo_u32 v21, 0x1010101, v21
	v_lshl_or_b32 v24, v32, 7, v33
	v_and_b32_e32 v32, 0x8040201, v20
	v_cndmask_b32_e64 v30, 0, -1, s5
	v_cmp_ne_u16_sdwa s5, v31, v3 src0_sel:BYTE_1 src1_sel:DWORD
	v_and_b32_e32 v73, 0x8040201, v14
	v_lshrrev_b32_e32 v74, 18, v14
	v_bfe_i32 v75, v14, 0, 1
	v_and_b32_e32 v76, 0x80402010, v14
	v_lshrrev_b32_e32 v77, 22, v14
	v_bfe_i32 v14, v26, 0, 1
	v_bfe_i32 v26, v64, 0, 1
	v_cndmask_b32_e64 v64, 0, -1, s5
	v_cmp_ne_u16_sdwa s5, v31, v3 src0_sel:BYTE_3 src1_sel:DWORD
	v_bfe_i32 v56, v15, 0, 1
	v_lshrrev_b32_e32 v15, 22, v15
	v_bfe_i32 v57, v20, 0, 1
	v_and_b32_e32 v33, 0x80402010, v20
	v_lshrrev_b32_e32 v20, 22, v20
	v_lshrrev_b32_e32 v27, 18, v21
	;; [unrolled: 1-line block ×3, first 2 shown]
	v_lshrrev_b16 v78, 4, v31
	v_cndmask_b32_e64 v31, 0, -1, s5
	v_cmp_ne_u16_sdwa s5, v32, v3 src0_sel:BYTE_1 src1_sel:DWORD
	v_mul_lo_u32 v22, 0x1010101, v22
	v_mul_lo_u32 v24, 0x1010101, v24
	v_and_b32_e32 v63, 0x8040201, v13
	v_bfe_i32 v65, v13, 0, 1
	v_and_b32_e32 v66, 0x80402010, v13
	v_bfe_i32 v13, v15, 0, 1
	v_bfe_i32 v15, v20, 0, 1
	v_bfe_i32 v20, v27, 0, 1
	v_bfe_i32 v27, v67, 0, 1
	v_cndmask_b32_e64 v67, 0, -1, s5
	v_cmp_ne_u16_sdwa s5, v32, v3 src0_sel:BYTE_3 src1_sel:DWORD
	v_lshrrev_b32_e32 v28, 18, v22
	v_lshrrev_b32_e32 v69, 18, v24
	v_and_b32_e32 v54, 0xff8, v36
	v_and_b32_e32 v34, 0x8040201, v21
	v_cndmask_b32_e64 v32, 0, -1, s5
	v_cmp_ne_u16_sdwa s5, v33, v3 src0_sel:BYTE_1 src1_sel:DWORD
	v_and_b32_e32 v36, 0x8040201, v22
	v_bfe_i32 v59, v22, 0, 1
	v_and_b32_e32 v37, 0x80402010, v22
	v_lshrrev_b32_e32 v38, 22, v22
	v_bfe_i32 v22, v28, 0, 1
	v_bfe_i32 v28, v69, 0, 1
	v_cndmask_b32_e64 v69, 0, -1, s5
	v_cmp_ne_u16_sdwa s5, v33, v3 src0_sel:BYTE_3 src1_sel:DWORD
	v_lshrrev_b16 v79, 4, v33
	v_and_b32_e32 v35, 0x80402010, v21
	v_and_b32_e32 v39, 0x8040201, v23
	v_lshrrev_b16 v81, 4, v37
	v_cndmask_b32_e64 v33, 0, -1, s5
	v_cmp_ne_u16_sdwa s5, v34, v3 src0_sel:BYTE_1 src1_sel:DWORD
	v_lshrrev_b16 v80, 4, v35
	v_and_b32_e32 v61, 0x80402010, v23
	v_lshrrev_b32_e32 v55, 18, v23
	v_bfe_i32 v60, v23, 0, 1
	v_cndmask_b32_e64 v82, 0, -1, s5
	v_cmp_ne_u16_sdwa s5, v34, v3 src0_sel:BYTE_3 src1_sel:DWORD
	v_bfe_i32 v23, v38, 0, 1
	v_lshrrev_b16 v38, 4, v61
	v_and_b32_e32 v68, 0x8040201, v24
	v_bfe_i32 v70, v24, 0, 1
	v_cndmask_b32_e64 v34, 0, -1, s5
	v_cmp_ne_u16_sdwa s5, v35, v3 src0_sel:BYTE_1 src1_sel:DWORD
	v_and_b32_e32 v71, 0x80402010, v24
	v_lshrrev_b32_e32 v72, 22, v24
	v_bfe_i32 v24, v55, 0, 1
	v_lshrrev_b16 v55, 4, v66
	v_cndmask_b32_e64 v83, 0, -1, s5
	v_cmp_ne_u16_sdwa s5, v35, v3 src0_sel:BYTE_3 src1_sel:DWORD
	v_lshrrev_b16 v92, 4, v71
	v_lshrrev_b16 v95, 4, v76
	v_lshlrev_b16 v62, 8, v62
	v_lshlrev_b16 v99, 8, v30
	v_cndmask_b32_e64 v35, 0, -1, s5
	v_cmp_ne_u16_sdwa s5, v36, v3 src0_sel:BYTE_1 src1_sel:DWORD
	v_bfe_i32 v58, v21, 0, 1
	v_lshrrev_b32_e32 v21, 22, v21
	v_bfe_i32 v78, v78, 0, 1
	v_bfe_i32 v98, v55, 0, 1
	v_cndmask_b32_e64 v84, 0, -1, s5
	v_cmp_ne_u16_sdwa s5, v36, v3 src0_sel:BYTE_3 src1_sel:DWORD
	v_lshlrev_b16 v64, 8, v64
	v_lshlrev_b16 v100, 8, v31
	v_lshlrev_b16 v67, 8, v67
	v_lshlrev_b16 v101, 8, v32
	v_cndmask_b32_e64 v36, 0, -1, s5
	v_cmp_ne_u16_sdwa s5, v37, v3 src0_sel:BYTE_1 src1_sel:DWORD
	v_or_b32_sdwa v55, v56, v62 dst_sel:DWORD dst_unused:UNUSED_PAD src0_sel:BYTE_0 src1_sel:DWORD
	v_bfe_i32 v21, v21, 0, 1
	v_bfe_i32 v79, v79, 0, 1
	;; [unrolled: 1-line block ×3, first 2 shown]
	v_cndmask_b32_e64 v85, 0, -1, s5
	v_cmp_ne_u16_sdwa s5, v37, v3 src0_sel:BYTE_3 src1_sel:DWORD
	v_bfe_i32 v97, v38, 0, 1
	v_lshlrev_b16 v69, 8, v69
	v_lshlrev_b16 v102, 8, v33
	;; [unrolled: 1-line block ×3, first 2 shown]
	v_cndmask_b32_e64 v37, 0, -1, s5
	v_cmp_ne_u16_sdwa s5, v39, v3 src0_sel:BYTE_1 src1_sel:DWORD
	v_lshlrev_b16 v103, 8, v34
	v_lshlrev_b16 v83, 8, v83
	;; [unrolled: 1-line block ×4, first 2 shown]
	v_cndmask_b32_e64 v86, 0, -1, s5
	v_cmp_ne_u16_sdwa s5, v39, v3 src0_sel:BYTE_3 src1_sel:DWORD
	v_bfe_i32 v81, v81, 0, 1
	v_lshlrev_b16 v84, 8, v84
	v_lshlrev_b16 v39, 8, v36
	;; [unrolled: 1-line block ×3, first 2 shown]
	v_cndmask_b32_e64 v87, 0, -1, s5
	v_cmp_ne_u16_sdwa s5, v61, v3 src0_sel:BYTE_1 src1_sel:DWORD
	v_or_b32_sdwa v105, v20, v103 dst_sel:WORD_1 dst_unused:UNUSED_PAD src0_sel:BYTE_0 src1_sel:DWORD
	v_or_b32_sdwa v106, v80, v83 dst_sel:DWORD dst_unused:UNUSED_PAD src0_sel:BYTE_0 src1_sel:DWORD
	v_lshlrev_b16 v86, 8, v86
	v_lshlrev_b16 v37, 8, v87
	v_cndmask_b32_e64 v88, 0, -1, s5
	v_cmp_ne_u16_sdwa s5, v61, v3 src0_sel:BYTE_3 src1_sel:DWORD
	v_bfe_i32 v72, v72, 0, 1
	v_bfe_i32 v74, v74, 0, 1
	;; [unrolled: 1-line block ×3, first 2 shown]
	v_lshlrev_b16 v87, 8, v88
	v_cndmask_b32_e64 v61, 0, -1, s5
	v_cmp_ne_u16_sdwa s5, v63, v3 src0_sel:BYTE_1 src1_sel:DWORD
	global_load_ushort v8, v[8:9], off
	v_lshlrev_b16 v9, 8, v56
	v_lshlrev_b16 v56, 8, v57
	v_lshlrev_b16 v36, 8, v61
	v_cndmask_b32_e64 v89, 0, -1, s5
	v_cmp_ne_u16_sdwa s5, v63, v3 src0_sel:BYTE_3 src1_sel:DWORD
	v_lshlrev_b16 v20, 8, v20
	s_waitcnt vmcnt(9)
	v_cvt_f32_f16_e32 v10, v10
	v_lshlrev_b16 v61, 8, v89
	v_cndmask_b32_e64 v63, 0, -1, s5
	v_cmp_ne_u16_sdwa s5, v66, v3 src0_sel:BYTE_1 src1_sel:DWORD
	v_lshlrev_b16 v35, 8, v63
	v_cndmask_b32_e64 v90, 0, -1, s5
	v_cmp_ne_u16_sdwa s5, v66, v3 src0_sel:BYTE_3 src1_sel:DWORD
	v_lshlrev_b16 v63, 8, v90
	v_cndmask_b32_e64 v66, 0, -1, s5
	v_cmp_ne_u16_sdwa s5, v68, v3 src0_sel:BYTE_1 src1_sel:DWORD
	v_or_b32_sdwa v90, v78, v64 dst_sel:DWORD dst_unused:UNUSED_PAD src0_sel:BYTE_0 src1_sel:DWORD
	v_lshlrev_b16 v34, 8, v66
	v_cndmask_b32_e64 v91, 0, -1, s5
	v_cmp_ne_u16_sdwa s5, v68, v3 src0_sel:BYTE_3 src1_sel:DWORD
	v_lshlrev_b16 v66, 8, v91
	v_cndmask_b32_e64 v68, 0, -1, s5
	v_cmp_ne_u16_sdwa s5, v71, v3 src0_sel:BYTE_1 src1_sel:DWORD
	v_or_b32_sdwa v91, v13, v100 dst_sel:WORD_1 dst_unused:UNUSED_PAD src0_sel:BYTE_0 src1_sel:DWORD
	v_lshlrev_b16 v13, 8, v13
	v_lshlrev_b16 v32, 8, v68
	v_cndmask_b32_e64 v93, 0, -1, s5
	v_cmp_ne_u16_sdwa s5, v71, v3 src0_sel:BYTE_3 src1_sel:DWORD
	v_bfe_i32 v68, v92, 0, 1
	v_or_b32_sdwa v92, v57, v67 dst_sel:DWORD dst_unused:UNUSED_PAD src0_sel:BYTE_0 src1_sel:DWORD
	v_or_b32_sdwa v90, v90, v91 dst_sel:DWORD dst_unused:UNUSED_PAD src0_sel:WORD_0 src1_sel:DWORD
	v_lshlrev_b16 v88, 8, v93
	v_cndmask_b32_e64 v71, 0, -1, s5
	v_cmp_ne_u16_sdwa s5, v73, v3 src0_sel:BYTE_1 src1_sel:DWORD
	v_or_b32_sdwa v93, v14, v101 dst_sel:WORD_1 dst_unused:UNUSED_PAD src0_sel:BYTE_0 src1_sel:DWORD
	v_or_b32_sdwa v91, v59, v84 dst_sel:DWORD dst_unused:UNUSED_PAD src0_sel:BYTE_0 src1_sel:DWORD
	v_lshlrev_b16 v57, 8, v58
	v_lshlrev_b16 v33, 8, v71
	v_cndmask_b32_e64 v94, 0, -1, s5
	v_cmp_ne_u16_sdwa s5, v73, v3 src0_sel:BYTE_3 src1_sel:DWORD
	v_lshlrev_b16 v14, 8, v14
	v_lshlrev_b16 v71, 8, v94
	v_cndmask_b32_e64 v73, 0, -1, s5
	v_cmp_ne_u16_sdwa s5, v76, v3 src0_sel:BYTE_1 src1_sel:DWORD
	v_or_b32_sdwa v94, v79, v69 dst_sel:DWORD dst_unused:UNUSED_PAD src0_sel:BYTE_0 src1_sel:DWORD
	v_lshlrev_b16 v30, 8, v73
	v_cndmask_b32_e64 v96, 0, -1, s5
	v_cmp_ne_u16_sdwa s5, v76, v3 src0_sel:BYTE_3 src1_sel:DWORD
	v_bfe_i32 v73, v95, 0, 1
	v_or_b32_sdwa v95, v15, v102 dst_sel:WORD_1 dst_unused:UNUSED_PAD src0_sel:BYTE_0 src1_sel:DWORD
	v_lshlrev_b16 v15, 8, v15
	v_lshlrev_b16 v89, 8, v96
	v_cndmask_b32_e64 v76, 0, -1, s5
	v_or_b32_sdwa v96, v58, v82 dst_sel:DWORD dst_unused:UNUSED_PAD src0_sel:BYTE_0 src1_sel:DWORD
	v_lshlrev_b16 v58, 8, v59
	v_lshlrev_b16 v59, 8, v60
	;; [unrolled: 1-line block ×3, first 2 shown]
	v_or_b32_sdwa v76, v29, v99 dst_sel:WORD_1 dst_unused:UNUSED_PAD src0_sel:BYTE_0 src1_sel:DWORD
	v_lshlrev_b16 v29, 8, v29
	v_or_b32_sdwa v55, v55, v76 dst_sel:DWORD dst_unused:UNUSED_PAD src0_sel:WORD_0 src1_sel:DWORD
	v_or_b32_sdwa v76, v21, v104 dst_sel:WORD_1 dst_unused:UNUSED_PAD src0_sel:BYTE_0 src1_sel:DWORD
	v_lshlrev_b16 v21, 8, v21
	v_or_b32_sdwa v76, v106, v76 dst_sel:DWORD dst_unused:UNUSED_PAD src0_sel:WORD_0 src1_sel:DWORD
	s_waitcnt vmcnt(7)
	v_xor_b32_e32 v107, v40, v55
	v_or_b32_sdwa v55, v92, v93 dst_sel:DWORD dst_unused:UNUSED_PAD src0_sel:WORD_0 src1_sel:DWORD
	v_xor_b32_e32 v90, v41, v90
	v_or_b32_sdwa v40, v22, v39 dst_sel:WORD_1 dst_unused:UNUSED_PAD src0_sel:BYTE_0 src1_sel:DWORD
	v_or_b32_sdwa v41, v81, v85 dst_sel:DWORD dst_unused:UNUSED_PAD src0_sel:BYTE_0 src1_sel:DWORD
	v_or_b32_sdwa v92, v23, v38 dst_sel:WORD_1 dst_unused:UNUSED_PAD src0_sel:BYTE_0 src1_sel:DWORD
	v_or_b32_sdwa v93, v94, v95 dst_sel:DWORD dst_unused:UNUSED_PAD src0_sel:WORD_0 src1_sel:DWORD
	s_waitcnt vmcnt(6)
	v_xor_b32_e32 v95, v42, v55
	v_or_b32_sdwa v55, v96, v105 dst_sel:DWORD dst_unused:UNUSED_PAD src0_sel:WORD_0 src1_sel:DWORD
	v_or_b32_sdwa v94, v60, v86 dst_sel:DWORD dst_unused:UNUSED_PAD src0_sel:BYTE_0 src1_sel:DWORD
	v_or_b32_sdwa v42, v24, v37 dst_sel:WORD_1 dst_unused:UNUSED_PAD src0_sel:BYTE_0 src1_sel:DWORD
	v_xor_b32_e32 v93, v43, v93
	v_or_b32_sdwa v43, v97, v87 dst_sel:DWORD dst_unused:UNUSED_PAD src0_sel:BYTE_0 src1_sel:DWORD
	v_or_b32_sdwa v96, v25, v36 dst_sel:WORD_1 dst_unused:UNUSED_PAD src0_sel:BYTE_0 src1_sel:DWORD
	s_waitcnt vmcnt(5)
	v_xor_b32_e32 v106, v44, v55
	v_xor_b32_e32 v76, v45, v76
	v_or_b32_sdwa v45, v98, v63 dst_sel:DWORD dst_unused:UNUSED_PAD src0_sel:BYTE_0 src1_sel:DWORD
	v_or_b32_sdwa v40, v91, v40 dst_sel:DWORD dst_unused:UNUSED_PAD src0_sel:WORD_0 src1_sel:DWORD
	v_or_b32_sdwa v55, v27, v34 dst_sel:WORD_1 dst_unused:UNUSED_PAD src0_sel:BYTE_0 src1_sel:DWORD
	v_or_b32_sdwa v41, v41, v92 dst_sel:DWORD dst_unused:UNUSED_PAD src0_sel:WORD_0 src1_sel:DWORD
	v_or_b32_sdwa v91, v70, v66 dst_sel:DWORD dst_unused:UNUSED_PAD src0_sel:BYTE_0 src1_sel:DWORD
	v_or_b32_sdwa v92, v28, v32 dst_sel:WORD_1 dst_unused:UNUSED_PAD src0_sel:BYTE_0 src1_sel:DWORD
	v_or_b32_sdwa v42, v94, v42 dst_sel:DWORD dst_unused:UNUSED_PAD src0_sel:WORD_0 src1_sel:DWORD
	v_or_b32_sdwa v43, v43, v96 dst_sel:DWORD dst_unused:UNUSED_PAD src0_sel:WORD_0 src1_sel:DWORD
	v_or_b32_sdwa v94, v68, v88 dst_sel:DWORD dst_unused:UNUSED_PAD src0_sel:BYTE_0 src1_sel:DWORD
	v_or_b32_sdwa v96, v72, v33 dst_sel:WORD_1 dst_unused:UNUSED_PAD src0_sel:BYTE_0 src1_sel:DWORD
	v_or_b32_sdwa v45, v45, v55 dst_sel:DWORD dst_unused:UNUSED_PAD src0_sel:WORD_0 src1_sel:DWORD
	v_or_b32_sdwa v55, v75, v71 dst_sel:DWORD dst_unused:UNUSED_PAD src0_sel:BYTE_0 src1_sel:DWORD
	v_or_b32_sdwa v91, v91, v92 dst_sel:DWORD dst_unused:UNUSED_PAD src0_sel:WORD_0 src1_sel:DWORD
	v_or_b32_sdwa v92, v74, v30 dst_sel:WORD_1 dst_unused:UNUSED_PAD src0_sel:BYTE_0 src1_sel:DWORD
	v_or_b32_sdwa v94, v94, v96 dst_sel:DWORD dst_unused:UNUSED_PAD src0_sel:WORD_0 src1_sel:DWORD
	v_or_b32_sdwa v96, v73, v89 dst_sel:DWORD dst_unused:UNUSED_PAD src0_sel:BYTE_0 src1_sel:DWORD
	v_or_b32_sdwa v105, v65, v61 dst_sel:DWORD dst_unused:UNUSED_PAD src0_sel:BYTE_0 src1_sel:DWORD
	v_or_b32_sdwa v44, v26, v35 dst_sel:WORD_1 dst_unused:UNUSED_PAD src0_sel:BYTE_0 src1_sel:DWORD
	v_or_b32_sdwa v92, v55, v92 dst_sel:DWORD dst_unused:UNUSED_PAD src0_sel:WORD_0 src1_sel:DWORD
	v_or_b32_sdwa v55, v77, v31 dst_sel:WORD_1 dst_unused:UNUSED_PAD src0_sel:BYTE_0 src1_sel:DWORD
	s_waitcnt vmcnt(4)
	v_xor_b32_e32 v108, v47, v41
	s_waitcnt vmcnt(3)
	v_xor_b32_e32 v48, v48, v42
	v_or_b32_sdwa v44, v105, v44 dst_sel:DWORD dst_unused:UNUSED_PAD src0_sel:WORD_0 src1_sel:DWORD
	v_xor_b32_e32 v105, v46, v40
	v_or_b32_sdwa v96, v96, v55 dst_sel:DWORD dst_unused:UNUSED_PAD src0_sel:WORD_0 src1_sel:DWORD
	global_load_dwordx2 v[54:55], v54, s[0:1]
	v_xor_b32_e32 v49, v49, v43
	global_load_dwordx4 v[40:43], v[6:7], off offset:-32
	s_waitcnt vmcnt(4)
	v_xor_b32_e32 v50, v50, v44
	v_xor_b32_e32 v51, v51, v45
	global_load_dwordx4 v[44:47], v[6:7], off offset:-16
	s_waitcnt vmcnt(4)
	v_xor_b32_e32 v52, v52, v91
	global_load_dword v91, v[6:7], off
	v_lshlrev_b16 v60, 8, v65
	v_lshlrev_b16 v65, 8, v70
	;; [unrolled: 1-line block ×8, first 2 shown]
	v_xor_b32_e32 v53, v53, v94
	v_lshlrev_b16 v94, 8, v98
	v_lshlrev_b16 v68, 8, v68
	v_lshrrev_b32_e32 v97, 16, v107
	v_lshlrev_b16 v24, 8, v24
	v_lshlrev_b16 v28, 8, v28
	;; [unrolled: 1-line block ×9, first 2 shown]
	v_mov_b32_e32 v98, 0
	v_lshlrev_b16 v23, 8, v23
	v_lshlrev_b16 v77, 8, v77
	v_add_co_u32 v6, vcc_lo, 0x480, v6
	v_cmp_le_u32_e64 s0, s7, v16
	v_add_co_ci_u32_e64 v7, null, 0, v7, vcc_lo
	s_or_b32 s4, s0, s4
	s_waitcnt vmcnt(4)
	v_cvt_f32_f16_e32 v8, v8
	s_waitcnt vmcnt(3)
	v_xor_b32_e32 v55, v55, v96
	v_and_b32_e32 v96, 0xffffff00, v107
	v_xor_b32_e32 v54, v54, v92
	v_mov_b32_e32 v92, 0
	v_sub_nc_i16 v62, v96, v62 clamp
	v_lshlrev_b16 v96, 8, v107
	v_sub_nc_i16 v9, v96, v9 clamp
	v_and_b32_e32 v96, 0xffffff00, v90
	v_perm_b32 v9, v9, v62, 0xc0c0105
	v_sub_nc_i16 v64, v96, v64 clamp
	v_lshlrev_b16 v96, 8, v90
	v_lshrrev_b32_e32 v90, 16, v90
	v_and_b32_e32 v62, 0xffffff00, v97
	v_lshlrev_b16 v97, 8, v97
	v_sub_nc_i16 v75, v96, v75 clamp
	v_and_b32_e32 v96, 0xffffff00, v95
	v_sub_nc_i16 v62, v62, v99 clamp
	v_sub_nc_i16 v29, v97, v29 clamp
	v_mov_b32_e32 v97, 0
	v_perm_b32 v64, v75, v64, 0xc0c0105
	v_sub_nc_i16 v67, v96, v67 clamp
	v_lshlrev_b16 v96, 8, v95
	v_and_b32_e32 v75, 0xffffff00, v90
	v_lshrrev_b32_e32 v95, 16, v95
	v_lshlrev_b16 v90, 8, v90
	v_perm_b32 v29, v29, v62, 0xc0c0105
	v_sub_nc_i16 v56, v96, v56 clamp
	v_and_b32_e32 v96, 0xffffff00, v93
	v_sub_nc_i16 v75, v75, v100 clamp
	v_lshrrev_b32_e32 v100, 16, v106
	v_sub_nc_i16 v13, v90, v13 clamp
	v_and_b32_e32 v90, 0xffffff00, v95
	v_sub_nc_i16 v69, v96, v69 clamp
	v_lshlrev_b16 v96, 8, v93
	v_lshrrev_b32_e32 v93, 16, v93
	v_lshlrev_b16 v95, 8, v95
	v_perm_b32 v56, v56, v67, 0xc0c0105
	v_sub_nc_i16 v90, v90, v101 clamp
	v_sub_nc_i16 v78, v96, v78 clamp
	v_and_b32_e32 v96, 0xffffff00, v106
	v_and_b32_e32 v67, 0xffffff00, v93
	v_lshlrev_b16 v93, 8, v93
	v_and_b32_e32 v101, 0xffffff00, v100
	v_lshlrev_b16 v100, 8, v100
	v_sub_nc_i16 v82, v96, v82 clamp
	v_lshlrev_b16 v96, 8, v106
	v_sub_nc_i16 v14, v95, v14 clamp
	v_sub_nc_i16 v15, v93, v15 clamp
	;; [unrolled: 1-line block ×5, first 2 shown]
	v_and_b32_e32 v96, 0xffffff00, v76
	v_lshrrev_b32_e32 v106, 16, v108
	v_perm_b32 v69, v78, v69, 0xc0c0105
	v_perm_b32 v20, v20, v101, 0xc0c0105
	;; [unrolled: 1-line block ×3, first 2 shown]
	v_sub_nc_i16 v83, v96, v83 clamp
	v_lshlrev_b16 v96, 8, v76
	v_lshrrev_b32_e32 v76, 16, v76
	v_sub_nc_i16 v67, v67, v102 clamp
	v_and_b32_e32 v102, 0xffffff00, v106
	v_lshlrev_b16 v106, 8, v106
	v_sub_nc_i16 v79, v96, v79 clamp
	v_and_b32_e32 v96, 0xffffff00, v105
	v_and_b32_e32 v95, 0xffffff00, v76
	v_lshlrev_b16 v76, 8, v76
	v_perm_b32 v13, v13, v75, 0xc0c0105
	v_perm_b32 v79, v79, v83, 0xc0c0105
	v_sub_nc_i16 v84, v96, v84 clamp
	v_lshlrev_b16 v96, 8, v105
	v_lshrrev_b32_e32 v105, 16, v105
	v_sub_nc_i16 v95, v95, v104 clamp
	v_sub_nc_i16 v21, v76, v21 clamp
	v_lshl_or_b32 v9, v29, 16, v9
	v_sub_nc_i16 v58, v96, v58 clamp
	v_and_b32_e32 v96, 0xffffff00, v108
	v_and_b32_e32 v78, 0xffffff00, v105
	v_lshlrev_b16 v105, 8, v105
	v_perm_b32 v21, v21, v95, 0xc0c0105
	v_perm_b32 v58, v58, v84, 0xc0c0105
	v_sub_nc_i16 v85, v96, v85 clamp
	v_lshlrev_b16 v96, 8, v108
	v_sub_nc_i16 v39, v78, v39 clamp
	v_sub_nc_i16 v22, v105, v22 clamp
	v_lshl_or_b32 v20, v20, 16, v57
	v_sub_nc_i16 v38, v102, v38 clamp
	v_sub_nc_i16 v80, v96, v80 clamp
	v_and_b32_e32 v96, 0xffffff00, v48
	v_sub_nc_i16 v23, v106, v23 clamp
	v_perm_b32 v14, v14, v90, 0xc0c0105
	v_perm_b32 v22, v22, v39, 0xc0c0105
	v_lshl_or_b32 v13, v13, 16, v64
	v_sub_nc_i16 v86, v96, v86 clamp
	v_lshlrev_b16 v96, 8, v48
	v_lshrrev_b32_e32 v48, 16, v48
	v_lshl_or_b32 v21, v21, 16, v79
	s_waitcnt vmcnt(2)
	v_dot4c_i32_i8 v92, v9, v41
	v_perm_b32 v78, v80, v85, 0xc0c0105
	v_sub_nc_i16 v59, v96, v59 clamp
	v_and_b32_e32 v96, 0xffffff00, v49
	v_and_b32_e32 v93, 0xffffff00, v48
	v_lshlrev_b16 v48, 8, v48
	v_perm_b32 v15, v15, v67, 0xc0c0105
	v_perm_b32 v59, v59, v86, 0xc0c0105
	v_sub_nc_i16 v87, v96, v87 clamp
	v_lshlrev_b16 v96, 8, v49
	v_lshrrev_b32_e32 v49, 16, v49
	v_sub_nc_i16 v37, v93, v37 clamp
	v_sub_nc_i16 v24, v48, v24 clamp
	v_perm_b32 v23, v23, v38, 0xc0c0105
	v_sub_nc_i16 v81, v96, v81 clamp
	v_and_b32_e32 v96, 0xffffff00, v50
	v_and_b32_e32 v82, 0xffffff00, v49
	v_lshlrev_b16 v49, 8, v49
	v_perm_b32 v24, v24, v37, 0xc0c0105
	v_perm_b32 v48, v81, v87, 0xc0c0105
	v_sub_nc_i16 v61, v96, v61 clamp
	v_lshlrev_b16 v96, 8, v50
	v_lshrrev_b32_e32 v50, 16, v50
	v_sub_nc_i16 v36, v82, v36 clamp
	v_sub_nc_i16 v25, v49, v25 clamp
	v_lshl_or_b32 v24, v24, 16, v59
	v_sub_nc_i16 v60, v96, v60 clamp
	v_and_b32_e32 v96, 0xffffff00, v51
	v_and_b32_e32 v103, 0xffffff00, v50
	v_lshlrev_b16 v50, 8, v50
	v_perm_b32 v25, v25, v36, 0xc0c0105
	v_perm_b32 v49, v60, v61, 0xc0c0105
	v_sub_nc_i16 v63, v96, v63 clamp
	v_lshlrev_b16 v96, 8, v51
	v_lshrrev_b32_e32 v51, 16, v51
	v_sub_nc_i16 v35, v103, v35 clamp
	v_sub_nc_i16 v26, v50, v26 clamp
	v_lshl_or_b32 v25, v25, 16, v48
	v_sub_nc_i16 v94, v96, v94 clamp
	v_and_b32_e32 v96, 0xffffff00, v52
	v_and_b32_e32 v100, 0xffffff00, v51
	v_lshlrev_b16 v51, 8, v51
	v_perm_b32 v26, v26, v35, 0xc0c0105
	v_dot4c_i32_i8 v98, v24, v41
	v_sub_nc_i16 v66, v96, v66 clamp
	v_lshlrev_b16 v96, 8, v52
	v_lshrrev_b32_e32 v52, 16, v52
	v_sub_nc_i16 v27, v51, v27 clamp
	v_sub_nc_i16 v34, v100, v34 clamp
	v_perm_b32 v50, v94, v63, 0xc0c0105
	v_sub_nc_i16 v65, v96, v65 clamp
	v_and_b32_e32 v96, 0xffffff00, v53
	v_and_b32_e32 v83, 0xffffff00, v52
	v_lshlrev_b16 v52, 8, v52
	v_perm_b32 v27, v27, v34, 0xc0c0105
	v_perm_b32 v51, v65, v66, 0xc0c0105
	v_sub_nc_i16 v88, v96, v88 clamp
	v_lshlrev_b16 v96, 8, v53
	v_lshrrev_b32_e32 v53, 16, v53
	v_sub_nc_i16 v32, v83, v32 clamp
	v_sub_nc_i16 v28, v52, v28 clamp
	v_lshl_or_b32 v14, v14, 16, v56
	v_sub_nc_i16 v68, v96, v68 clamp
	v_and_b32_e32 v96, 0xffffff00, v54
	v_and_b32_e32 v104, 0xffffff00, v53
	v_lshlrev_b16 v53, 8, v53
	v_perm_b32 v28, v28, v32, 0xc0c0105
	v_perm_b32 v52, v68, v88, 0xc0c0105
	v_sub_nc_i16 v71, v96, v71 clamp
	v_lshlrev_b16 v96, 8, v54
	v_lshrrev_b32_e32 v54, 16, v54
	v_sub_nc_i16 v33, v104, v33 clamp
	v_sub_nc_i16 v53, v53, v72 clamp
	v_lshl_or_b32 v28, v28, 16, v51
	v_sub_nc_i16 v70, v96, v70 clamp
	v_and_b32_e32 v96, 0xffffff00, v55
	v_and_b32_e32 v76, 0xffffff00, v54
	v_lshlrev_b16 v54, 8, v54
	v_perm_b32 v32, v53, v33, 0xc0c0105
	v_perm_b32 v60, v70, v71, 0xc0c0105
	v_sub_nc_i16 v89, v96, v89 clamp
	v_lshlrev_b16 v96, 8, v55
	v_lshrrev_b32_e32 v55, 16, v55
	v_sub_nc_i16 v30, v76, v30 clamp
	v_sub_nc_i16 v54, v54, v74 clamp
	v_lshl_or_b32 v29, v32, 16, v52
	v_sub_nc_i16 v73, v96, v73 clamp
	v_mov_b32_e32 v96, 0
	v_and_b32_e32 v84, 0xffffff00, v55
	v_lshlrev_b16 v55, 8, v55
	v_perm_b32 v30, v54, v30, 0xc0c0105
	s_waitcnt vmcnt(1)
	v_dot4c_i32_i8 v97, v28, v45
	v_dot4c_i32_i8 v96, v20, v45
	v_sub_nc_i16 v31, v84, v31 clamp
	v_sub_nc_i16 v55, v55, v77 clamp
	v_perm_b32 v61, v73, v89, 0xc0c0105
	v_lshl_or_b32 v22, v22, 16, v58
	v_lshl_or_b32 v26, v26, 16, v49
	;; [unrolled: 1-line block ×3, first 2 shown]
	v_perm_b32 v31, v55, v31, 0xc0c0105
	v_dot4c_i32_i8 v92, v13, v42
	v_dot4c_i32_i8 v96, v21, v46
	;; [unrolled: 1-line block ×4, first 2 shown]
	v_lshl_or_b32 v15, v15, 16, v69
	v_lshl_or_b32 v23, v23, 16, v78
	;; [unrolled: 1-line block ×4, first 2 shown]
	v_dot4c_i32_i8 v92, v14, v43
	v_dot4c_i32_i8 v96, v22, v47
	;; [unrolled: 1-line block ×4, first 2 shown]
	v_lshrrev_b32_e32 v99, 4, v12
	v_dot4c_i32_i8 v92, v15, v44
	s_waitcnt vmcnt(0)
	v_dot4c_i32_i8 v96, v23, v91
	v_dot4c_i32_i8 v98, v27, v44
	;; [unrolled: 1-line block ×3, first 2 shown]
	v_and_b32_e32 v9, 15, v12
	v_lshrrev_b32_e32 v12, 4, v11
	v_add_nc_u32_e32 v13, v96, v92
	v_and_b32_e32 v11, 15, v11
	v_add_nc_u32_e32 v14, v97, v98
	v_mul_lo_u32 v9, v92, v9
	v_mul_lo_u32 v21, v96, v99
	v_lshrrev_b32_e32 v15, 31, v13
	v_mul_lo_u32 v11, v98, v11
	v_lshrrev_b32_e32 v20, 31, v14
	v_mul_lo_u32 v12, v97, v12
	v_add_nc_u32_e32 v13, v13, v15
	v_add_nc_u32_e32 v14, v14, v20
	v_ashrrev_i32_e32 v13, 1, v13
	v_ashrrev_i32_e32 v14, 1, v14
	v_add3_u32 v9, v21, v9, v13
	v_add3_u32 v11, v12, v11, v14
	v_cvt_f32_f16_e32 v14, v40
	v_ashrrev_i32_e32 v12, 31, v9
	v_ashrrev_i32_e32 v13, 31, v11
	v_mul_f32_e32 v8, v8, v14
	v_mul_f32_e32 v10, v10, v14
	v_lshrrev_b32_e32 v12, 30, v12
	v_lshrrev_b32_e32 v13, 30, v13
	v_add_nc_u32_e32 v9, v9, v12
	v_add_nc_u32_e32 v11, v11, v13
	v_ashrrev_i32_e32 v9, 2, v9
	v_ashrrev_i32_e32 v11, 2, v11
	v_cvt_f32_i32_e32 v9, v9
	v_cvt_f32_i32_e32 v11, v11
	v_fmac_f32_e32 v17, v10, v9
	v_fmac_f32_e32 v2, v8, v11
	s_andn2_b32 exec_lo, exec_lo, s4
	s_cbranch_execnz .LBB168_3
; %bb.4:
	s_or_b32 exec_lo, exec_lo, s4
.LBB168_5:
	s_or_b32 exec_lo, exec_lo, s6
	v_mbcnt_lo_u32_b32 v3, -1, 0
	v_xor_b32_e32 v4, 16, v3
	v_xor_b32_e32 v6, 8, v3
	;; [unrolled: 1-line block ×3, first 2 shown]
	v_cmp_gt_i32_e32 vcc_lo, 32, v4
	v_cndmask_b32_e32 v4, v3, v4, vcc_lo
	v_cmp_gt_i32_e32 vcc_lo, 32, v6
	v_lshlrev_b32_e32 v4, 2, v4
	v_cndmask_b32_e32 v6, v3, v6, vcc_lo
	v_cmp_gt_i32_e32 vcc_lo, 32, v7
	ds_bpermute_b32 v5, v4, v17
	ds_bpermute_b32 v4, v4, v2
	v_lshlrev_b32_e32 v6, 2, v6
	v_cndmask_b32_e32 v7, v3, v7, vcc_lo
	v_lshlrev_b32_e32 v7, 2, v7
	s_waitcnt lgkmcnt(1)
	v_add_f32_e32 v5, v17, v5
	s_waitcnt lgkmcnt(0)
	v_add_f32_e32 v2, v2, v4
	ds_bpermute_b32 v4, v6, v5
	ds_bpermute_b32 v6, v6, v2
	s_waitcnt lgkmcnt(1)
	v_add_f32_e32 v4, v5, v4
	s_waitcnt lgkmcnt(0)
	v_add_f32_e32 v2, v2, v6
	ds_bpermute_b32 v5, v7, v4
	ds_bpermute_b32 v6, v7, v2
	v_xor_b32_e32 v7, 2, v3
	v_cmp_gt_i32_e32 vcc_lo, 32, v7
	v_cndmask_b32_e32 v7, v3, v7, vcc_lo
	v_lshlrev_b32_e32 v7, 2, v7
	s_waitcnt lgkmcnt(1)
	v_add_f32_e32 v4, v4, v5
	s_waitcnt lgkmcnt(0)
	v_add_f32_e32 v5, v2, v6
	ds_bpermute_b32 v2, v7, v4
	ds_bpermute_b32 v6, v7, v5
	v_xor_b32_e32 v7, 1, v3
	v_cmp_gt_i32_e32 vcc_lo, 32, v7
	v_cndmask_b32_e32 v3, v3, v7, vcc_lo
	v_cmp_gt_u32_e32 vcc_lo, 2, v0
	v_lshlrev_b32_e32 v7, 2, v3
	s_waitcnt lgkmcnt(1)
	v_add_f32_e32 v2, v4, v2
	s_waitcnt lgkmcnt(0)
	v_add_f32_e32 v3, v5, v6
	v_add_nc_u32_e32 v6, s3, v0
	ds_bpermute_b32 v4, v7, v2
	ds_bpermute_b32 v5, v7, v3
	v_cmp_gt_u32_e64 s0, s16, v6
	s_and_b32 s0, vcc_lo, s0
	s_and_b32 exec_lo, exec_lo, s0
	s_cbranch_execz .LBB168_7
; %bb.6:
	v_mul_lo_u32 v1, s19, v1
	v_or_b32_e32 v6, s3, v0
	s_mul_i32 s0, s22, s2
	v_mov_b32_e32 v7, 0
	s_waitcnt lgkmcnt(1)
	v_add_f32_e32 v4, v2, v4
	s_waitcnt lgkmcnt(0)
	v_add_f32_e32 v3, v3, v5
	v_cmp_eq_u32_e32 vcc_lo, 1, v0
	v_add3_u32 v6, v6, v1, s0
	v_cndmask_b32_e32 v3, v4, v3, vcc_lo
	v_lshlrev_b64 v[1:2], 2, v[6:7]
	v_add_co_u32 v0, vcc_lo, s14, v1
	v_add_co_ci_u32_e64 v1, null, s15, v2, vcc_lo
	global_store_dword v[0:1], v3, off
.LBB168_7:
	s_endpgm
	.section	.rodata,"a",@progbits
	.p2align	6, 0x0
	.amdhsa_kernel _ZL17mul_mat_vec_q_moeIL9ggml_type17ELi2EEvPKvS2_PKiPfj15HIP_vector_typeIjLj3EEjjjjjjjjj
		.amdhsa_group_segment_fixed_size 0
		.amdhsa_private_segment_fixed_size 0
		.amdhsa_kernarg_size 84
		.amdhsa_user_sgpr_count 6
		.amdhsa_user_sgpr_private_segment_buffer 1
		.amdhsa_user_sgpr_dispatch_ptr 0
		.amdhsa_user_sgpr_queue_ptr 0
		.amdhsa_user_sgpr_kernarg_segment_ptr 1
		.amdhsa_user_sgpr_dispatch_id 0
		.amdhsa_user_sgpr_flat_scratch_init 0
		.amdhsa_user_sgpr_private_segment_size 0
		.amdhsa_wavefront_size32 1
		.amdhsa_uses_dynamic_stack 0
		.amdhsa_system_sgpr_private_segment_wavefront_offset 0
		.amdhsa_system_sgpr_workgroup_id_x 1
		.amdhsa_system_sgpr_workgroup_id_y 1
		.amdhsa_system_sgpr_workgroup_id_z 0
		.amdhsa_system_sgpr_workgroup_info 0
		.amdhsa_system_vgpr_workitem_id 1
		.amdhsa_next_free_vgpr 109
		.amdhsa_next_free_sgpr 28
		.amdhsa_reserve_vcc 1
		.amdhsa_reserve_flat_scratch 0
		.amdhsa_float_round_mode_32 0
		.amdhsa_float_round_mode_16_64 0
		.amdhsa_float_denorm_mode_32 3
		.amdhsa_float_denorm_mode_16_64 3
		.amdhsa_dx10_clamp 1
		.amdhsa_ieee_mode 1
		.amdhsa_fp16_overflow 0
		.amdhsa_workgroup_processor_mode 1
		.amdhsa_memory_ordered 1
		.amdhsa_forward_progress 1
		.amdhsa_shared_vgpr_count 0
		.amdhsa_exception_fp_ieee_invalid_op 0
		.amdhsa_exception_fp_denorm_src 0
		.amdhsa_exception_fp_ieee_div_zero 0
		.amdhsa_exception_fp_ieee_overflow 0
		.amdhsa_exception_fp_ieee_underflow 0
		.amdhsa_exception_fp_ieee_inexact 0
		.amdhsa_exception_int_div_zero 0
	.end_amdhsa_kernel
	.section	.text._ZL17mul_mat_vec_q_moeIL9ggml_type17ELi2EEvPKvS2_PKiPfj15HIP_vector_typeIjLj3EEjjjjjjjjj,"axG",@progbits,_ZL17mul_mat_vec_q_moeIL9ggml_type17ELi2EEvPKvS2_PKiPfj15HIP_vector_typeIjLj3EEjjjjjjjjj,comdat
.Lfunc_end168:
	.size	_ZL17mul_mat_vec_q_moeIL9ggml_type17ELi2EEvPKvS2_PKiPfj15HIP_vector_typeIjLj3EEjjjjjjjjj, .Lfunc_end168-_ZL17mul_mat_vec_q_moeIL9ggml_type17ELi2EEvPKvS2_PKiPfj15HIP_vector_typeIjLj3EEjjjjjjjjj
                                        ; -- End function
	.set _ZL17mul_mat_vec_q_moeIL9ggml_type17ELi2EEvPKvS2_PKiPfj15HIP_vector_typeIjLj3EEjjjjjjjjj.num_vgpr, 109
	.set _ZL17mul_mat_vec_q_moeIL9ggml_type17ELi2EEvPKvS2_PKiPfj15HIP_vector_typeIjLj3EEjjjjjjjjj.num_agpr, 0
	.set _ZL17mul_mat_vec_q_moeIL9ggml_type17ELi2EEvPKvS2_PKiPfj15HIP_vector_typeIjLj3EEjjjjjjjjj.numbered_sgpr, 28
	.set _ZL17mul_mat_vec_q_moeIL9ggml_type17ELi2EEvPKvS2_PKiPfj15HIP_vector_typeIjLj3EEjjjjjjjjj.num_named_barrier, 0
	.set _ZL17mul_mat_vec_q_moeIL9ggml_type17ELi2EEvPKvS2_PKiPfj15HIP_vector_typeIjLj3EEjjjjjjjjj.private_seg_size, 0
	.set _ZL17mul_mat_vec_q_moeIL9ggml_type17ELi2EEvPKvS2_PKiPfj15HIP_vector_typeIjLj3EEjjjjjjjjj.uses_vcc, 1
	.set _ZL17mul_mat_vec_q_moeIL9ggml_type17ELi2EEvPKvS2_PKiPfj15HIP_vector_typeIjLj3EEjjjjjjjjj.uses_flat_scratch, 0
	.set _ZL17mul_mat_vec_q_moeIL9ggml_type17ELi2EEvPKvS2_PKiPfj15HIP_vector_typeIjLj3EEjjjjjjjjj.has_dyn_sized_stack, 0
	.set _ZL17mul_mat_vec_q_moeIL9ggml_type17ELi2EEvPKvS2_PKiPfj15HIP_vector_typeIjLj3EEjjjjjjjjj.has_recursion, 0
	.set _ZL17mul_mat_vec_q_moeIL9ggml_type17ELi2EEvPKvS2_PKiPfj15HIP_vector_typeIjLj3EEjjjjjjjjj.has_indirect_call, 0
	.section	.AMDGPU.csdata,"",@progbits
; Kernel info:
; codeLenInByte = 5276
; TotalNumSgprs: 30
; NumVgprs: 109
; ScratchSize: 0
; MemoryBound: 0
; FloatMode: 240
; IeeeMode: 1
; LDSByteSize: 0 bytes/workgroup (compile time only)
; SGPRBlocks: 0
; VGPRBlocks: 13
; NumSGPRsForWavesPerEU: 30
; NumVGPRsForWavesPerEU: 109
; Occupancy: 9
; WaveLimiterHint : 1
; COMPUTE_PGM_RSRC2:SCRATCH_EN: 0
; COMPUTE_PGM_RSRC2:USER_SGPR: 6
; COMPUTE_PGM_RSRC2:TRAP_HANDLER: 0
; COMPUTE_PGM_RSRC2:TGID_X_EN: 1
; COMPUTE_PGM_RSRC2:TGID_Y_EN: 1
; COMPUTE_PGM_RSRC2:TGID_Z_EN: 0
; COMPUTE_PGM_RSRC2:TIDIG_COMP_CNT: 1
	.section	.text._ZL13mul_mat_vec_qIL9ggml_type17ELi1ELb1ELb1EEvPKvS2_PKi31ggml_cuda_mm_fusion_args_devicePfj15HIP_vector_typeIjLj3EEjjjS8_jjjS8_jjjj,"axG",@progbits,_ZL13mul_mat_vec_qIL9ggml_type17ELi1ELb1ELb1EEvPKvS2_PKi31ggml_cuda_mm_fusion_args_devicePfj15HIP_vector_typeIjLj3EEjjjS8_jjjS8_jjjj,comdat
	.globl	_ZL13mul_mat_vec_qIL9ggml_type17ELi1ELb1ELb1EEvPKvS2_PKi31ggml_cuda_mm_fusion_args_devicePfj15HIP_vector_typeIjLj3EEjjjS8_jjjS8_jjjj ; -- Begin function _ZL13mul_mat_vec_qIL9ggml_type17ELi1ELb1ELb1EEvPKvS2_PKi31ggml_cuda_mm_fusion_args_devicePfj15HIP_vector_typeIjLj3EEjjjS8_jjjS8_jjjj
	.p2align	8
	.type	_ZL13mul_mat_vec_qIL9ggml_type17ELi1ELb1ELb1EEvPKvS2_PKi31ggml_cuda_mm_fusion_args_devicePfj15HIP_vector_typeIjLj3EEjjjS8_jjjS8_jjjj,@function
_ZL13mul_mat_vec_qIL9ggml_type17ELi1ELb1ELb1EEvPKvS2_PKi31ggml_cuda_mm_fusion_args_devicePfj15HIP_vector_typeIjLj3EEjjjS8_jjjS8_jjjj: ; @_ZL13mul_mat_vec_qIL9ggml_type17ELi1ELb1ELb1EEvPKvS2_PKi31ggml_cuda_mm_fusion_args_devicePfj15HIP_vector_typeIjLj3EEjjjS8_jjjS8_jjjj
; %bb.0:
	s_clause 0x3
	s_load_dwordx8 s[12:19], s[4:5], 0x0
	s_load_dwordx4 s[28:31], s[4:5], 0x20
	s_load_dwordx4 s[36:39], s[4:5], 0x40
	;; [unrolled: 1-line block ×3, first 2 shown]
	s_mov_b32 s10, s7
	s_waitcnt lgkmcnt(0)
	s_cmp_lg_u64 s[16:17], 0
	s_cselect_b32 s0, -1, 0
	s_cmp_eq_u64 s[16:17], 0
	s_cbranch_scc1 .LBB169_5
; %bb.1:
	s_mov_b32 s11, 0
	s_lshl_b64 s[2:3], s[10:11], 2
	s_add_u32 s2, s16, s2
	s_addc_u32 s3, s17, s3
	s_load_dword s33, s[2:3], 0x0
	s_clause 0x1
	s_load_dword s35, s[4:5], 0x50
	s_load_dword s34, s[4:5], 0x78
	s_cbranch_execnz .LBB169_3
.LBB169_2:
	s_load_dwordx2 s[2:3], s[4:5], 0x5c
	s_waitcnt lgkmcnt(0)
	s_mul_hi_u32 s1, s2, s10
	s_add_i32 s1, s10, s1
	s_lshr_b32 s33, s1, s3
.LBB169_3:
	s_andn2_b32 vcc_lo, exec_lo, s0
	s_cbranch_vccnz .LBB169_6
; %bb.4:
	s_mul_hi_u32 s0, s37, s10
	s_waitcnt lgkmcnt(0)
	s_mov_b32 s1, s33
	s_add_i32 s0, s10, s0
	s_lshr_b32 s0, s0, s38
	s_mul_i32 s0, s0, s39
	s_sub_i32 s37, s10, s0
	s_branch .LBB169_7
.LBB169_5:
                                        ; implicit-def: $sgpr33
	s_clause 0x1
	s_load_dword s35, s[4:5], 0x50
	s_load_dword s34, s[4:5], 0x78
	s_branch .LBB169_2
.LBB169_6:
	s_mov_b32 s1, s10
	s_mov_b32 s37, s10
.LBB169_7:
	s_load_dwordx4 s[24:27], s[4:5], 0x80
	v_or_b32_e32 v2, v0, v1
	s_cmp_lg_u64 s[18:19], 0
	v_mov_b32_e32 v24, 0
	v_mov_b32_e32 v25, 0
	s_cselect_b32 s0, -1, 0
	v_cmp_eq_u32_e32 vcc_lo, 0, v2
	s_mov_b32 s17, 0
	s_mul_i32 s2, s1, s22
	s_and_b32 s3, s0, vcc_lo
	s_and_saveexec_b32 s1, s3
	s_cbranch_execz .LBB169_9
; %bb.8:
	s_waitcnt lgkmcnt(0)
	s_mul_i32 s16, s26, s8
	s_mov_b32 s3, s17
	s_lshl_b64 s[38:39], s[16:17], 2
	v_lshlrev_b32_e32 v2, 2, v0
	s_add_u32 s7, s18, s38
	s_addc_u32 s9, s19, s39
	s_lshl_b64 s[16:17], s[2:3], 2
	s_add_u32 s3, s7, s16
	s_addc_u32 s9, s9, s17
	s_ashr_i32 s7, s6, 31
	s_lshl_b64 s[16:17], s[6:7], 2
	s_add_u32 s16, s3, s16
	s_addc_u32 s17, s9, s17
	global_load_dword v25, v2, s[16:17]
.LBB169_9:
	s_or_b32 exec_lo, exec_lo, s1
	s_cmp_lg_u64 s[28:29], 0
	s_cselect_b32 s9, -1, 0
	s_cmp_lg_u64 s[30:31], 0
	s_cselect_b32 s1, -1, 0
	s_and_b32 s3, s1, s9
	s_and_b32 s3, s3, vcc_lo
	s_and_saveexec_b32 s11, s3
	s_cbranch_execz .LBB169_11
; %bb.10:
	s_waitcnt lgkmcnt(0)
	s_mul_i32 s16, s26, s8
	s_mov_b32 s17, 0
	v_lshlrev_b32_e32 v2, 2, v0
	s_lshl_b64 s[18:19], s[16:17], 2
	s_mov_b32 s3, s17
	s_add_u32 s7, s30, s18
	s_addc_u32 s16, s31, s19
	s_lshl_b64 s[2:3], s[2:3], 2
	s_add_u32 s17, s7, s2
	s_addc_u32 s16, s16, s3
	s_ashr_i32 s7, s6, 31
	s_lshl_b64 s[2:3], s[6:7], 2
	s_add_u32 s2, s17, s2
	s_addc_u32 s3, s16, s3
	global_load_dword v24, v2, s[2:3]
.LBB169_11:
	s_or_b32 exec_lo, exec_lo, s11
	v_lshl_or_b32 v2, v1, 5, v0
	v_mov_b32_e32 v29, 0
	v_cndmask_b32_e64 v26, 0, 1, s9
	v_mov_b32_e32 v27, 0
	s_lshr_b32 s7, s36, 8
	v_lshrrev_b32_e32 v28, 3, v2
	s_mov_b32 s11, exec_lo
	v_cmpx_gt_u32_e64 s7, v28
	s_cbranch_execz .LBB169_17
; %bb.12:
	v_lshrrev_b32_e32 v2, 3, v2
	s_mul_i32 s2, s37, s21
	v_and_b32_e32 v30, 7, v0
	s_mul_hi_u32 s3, s2, 36
	s_mul_i32 s2, s2, 36
	v_lshlrev_b32_e32 v4, 1, v0
	v_mad_u64_u32 v[2:3], null, 0x120, v2, s[2:3]
	s_waitcnt lgkmcnt(0)
	s_mul_i32 s3, s25, s8
	s_mul_hi_u32 s2, s23, s8
	v_and_b32_e32 v4, 14, v4
	s_add_i32 s2, s8, s2
	s_mul_i32 s35, s35, s6
	s_lshr_b32 s2, s2, s34
	v_mad_u64_u32 v[2:3], null, s3, 36, v[2:3]
	v_lshlrev_b32_e32 v4, 1, v4
	s_mul_i32 s2, s2, s24
	v_mov_b32_e32 v31, 0
	v_mov_b32_e32 v29, 0
	;; [unrolled: 1-line block ×3, first 2 shown]
	v_lshlrev_b32_e32 v32, 1, v4
	v_mad_u64_u32 v[2:3], null, v30, 36, v[2:3]
	s_mul_i32 s3, s33, s20
	s_add_i32 s2, s2, s35
	v_add_co_u32 v2, vcc_lo, s14, v2
	v_add_co_ci_u32_e64 v3, null, s15, v3, vcc_lo
	s_add_i32 s15, s3, s2
	v_add_co_u32 v10, vcc_lo, v2, 32
	v_add_co_ci_u32_e64 v11, null, 0, v3, vcc_lo
	s_mov_b32 s14, 0
	s_branch .LBB169_14
.LBB169_13:                             ;   in Loop: Header=BB169_14 Depth=1
	v_bfe_u32 v22, v14, 9, 7
	v_lshrrev_b32_e32 v23, 25, v14
	v_add_nc_u32_e32 v28, 4, v28
	v_bcnt_u32_b32 v36, v22, 0
	v_bcnt_u32_b32 v23, v23, 0
	v_cmp_le_u32_e32 vcc_lo, s7, v28
	v_and_b32_e32 v36, 1, v36
	v_and_b32_e32 v23, 1, v23
	s_or_b32 s14, vcc_lo, s14
	v_lshl_or_b32 v22, v36, 7, v22
	v_alignbit_b32 v14, v23, v14, 25
	v_mul_lo_u32 v22, 0x1010101, v22
	v_mul_lo_u32 v14, 0x1010101, v14
	v_and_b32_e32 v23, 0x8040201, v22
	v_and_b32_e32 v38, 0x80402010, v22
	v_lshrrev_b32_e32 v36, 18, v22
	v_bfe_i32 v37, v22, 0, 1
	v_lshrrev_b32_e32 v22, 22, v22
	v_cmp_ne_u16_sdwa s2, v23, v31 src0_sel:BYTE_1 src1_sel:DWORD
	v_lshrrev_b16 v44, 4, v38
	v_bfe_i32 v36, v36, 0, 1
	v_lshlrev_b16 v43, 8, v37
	v_bfe_i32 v22, v22, 0, 1
	v_cndmask_b32_e64 v42, 0, -1, s2
	v_cmp_ne_u16_sdwa s2, v23, v31 src0_sel:BYTE_3 src1_sel:DWORD
	v_bfe_i32 v44, v44, 0, 1
	v_and_b32_e32 v39, 0x8040201, v14
	v_lshrrev_b32_e32 v40, 18, v14
	v_lshlrev_b16 v42, 8, v42
	v_cndmask_b32_e64 v23, 0, -1, s2
	v_cmp_ne_u16_sdwa s2, v38, v31 src0_sel:BYTE_1 src1_sel:DWORD
	v_bfe_i32 v41, v14, 0, 1
	v_bfe_i32 v40, v40, 0, 1
	v_or_b32_sdwa v37, v37, v42 dst_sel:DWORD dst_unused:UNUSED_PAD src0_sel:BYTE_0 src1_sel:DWORD
	v_lshlrev_b16 v23, 8, v23
	v_cndmask_b32_e64 v45, 0, -1, s2
	v_cmp_ne_u16_sdwa s2, v38, v31 src0_sel:BYTE_3 src1_sel:DWORD
	v_or_b32_sdwa v47, v36, v23 dst_sel:WORD_1 dst_unused:UNUSED_PAD src0_sel:BYTE_0 src1_sel:DWORD
	v_lshlrev_b16 v45, 8, v45
	v_cndmask_b32_e64 v38, 0, -1, s2
	v_cmp_ne_u16_sdwa s2, v39, v31 src0_sel:BYTE_1 src1_sel:DWORD
	v_lshlrev_b16 v36, 8, v36
	v_or_b32_sdwa v37, v37, v47 dst_sel:DWORD dst_unused:UNUSED_PAD src0_sel:WORD_0 src1_sel:DWORD
	v_or_b32_sdwa v48, v44, v45 dst_sel:DWORD dst_unused:UNUSED_PAD src0_sel:BYTE_0 src1_sel:DWORD
	v_lshlrev_b16 v38, 8, v38
	v_cndmask_b32_e64 v46, 0, -1, s2
	v_cmp_ne_u16_sdwa s2, v39, v31 src0_sel:BYTE_3 src1_sel:DWORD
	s_waitcnt vmcnt(3)
	v_xor_b32_e32 v20, v20, v37
	v_lshlrev_b16 v37, 8, v44
	v_or_b32_sdwa v49, v22, v38 dst_sel:WORD_1 dst_unused:UNUSED_PAD src0_sel:BYTE_0 src1_sel:DWORD
	v_lshlrev_b16 v22, 8, v22
	v_cndmask_b32_e64 v39, 0, -1, s2
	v_lshlrev_b16 v46, 8, v46
	v_or_b32_sdwa v47, v48, v49 dst_sel:DWORD dst_unused:UNUSED_PAD src0_sel:WORD_0 src1_sel:DWORD
	v_lshrrev_b32_e32 v48, 16, v20
	v_and_b32_e32 v49, 0xffffff00, v20
	v_lshlrev_b16 v20, 8, v20
	v_lshlrev_b16 v39, 8, v39
	v_xor_b32_e32 v21, v21, v47
	v_or_b32_sdwa v44, v41, v46 dst_sel:DWORD dst_unused:UNUSED_PAD src0_sel:BYTE_0 src1_sel:DWORD
	v_sub_nc_i16 v42, v49, v42 clamp
	v_and_b32_e32 v49, 0xffffff00, v48
	v_lshlrev_b16 v48, 8, v48
	v_lshrrev_b32_e32 v50, 16, v21
	v_and_b32_e32 v51, 0xffffff00, v21
	v_lshlrev_b16 v21, 8, v21
	v_sub_nc_i16 v20, v20, v43 clamp
	v_sub_nc_i16 v23, v49, v23 clamp
	;; [unrolled: 1-line block ×4, first 2 shown]
	v_and_b32_e32 v45, 0xffffff00, v50
	v_lshlrev_b16 v48, 8, v50
	v_sub_nc_i16 v21, v21, v37 clamp
	v_perm_b32 v23, v36, v23, 0xc0c0105
	v_bfe_u32 v36, v15, 9, 7
	v_sub_nc_i16 v37, v45, v38 clamp
	v_sub_nc_i16 v22, v48, v22 clamp
	v_perm_b32 v21, v21, v43, 0xc0c0105
	v_or_b32_sdwa v47, v40, v39 dst_sel:WORD_1 dst_unused:UNUSED_PAD src0_sel:BYTE_0 src1_sel:DWORD
	v_perm_b32 v20, v20, v42, 0xc0c0105
	v_lshlrev_b16 v40, 8, v40
	v_perm_b32 v22, v22, v37, 0xc0c0105
	v_bcnt_u32_b32 v37, v36, 0
	v_or_b32_sdwa v38, v44, v47 dst_sel:DWORD dst_unused:UNUSED_PAD src0_sel:WORD_0 src1_sel:DWORD
	v_lshl_or_b32 v20, v23, 16, v20
	v_mov_b32_e32 v23, 0
	v_lshl_or_b32 v21, v22, 16, v21
	v_and_b32_e32 v22, 1, v37
	s_waitcnt vmcnt(2)
	v_xor_b32_e32 v18, v18, v38
	v_and_b32_e32 v38, 0x80402010, v14
	v_dot4c_i32_i8 v23, v20, v7
	v_lshlrev_b16 v37, 8, v41
	v_lshl_or_b32 v22, v22, 7, v36
	v_lshlrev_b16 v20, 8, v18
	v_cmp_ne_u16_sdwa s2, v38, v31 src0_sel:BYTE_1 src1_sel:DWORD
	v_lshrrev_b16 v36, 4, v38
	v_lshrrev_b32_e32 v14, 22, v14
	v_mul_lo_u32 v22, 0x1010101, v22
	v_sub_nc_i16 v20, v20, v37 clamp
	v_cndmask_b32_e64 v37, 0, -1, s2
	v_cmp_ne_u16_sdwa s2, v38, v31 src0_sel:BYTE_3 src1_sel:DWORD
	v_and_b32_e32 v7, 0xffffff00, v18
	v_bfe_i32 v36, v36, 0, 1
	v_bfe_i32 v14, v14, 0, 1
	v_lshlrev_b16 v37, 8, v37
	v_and_b32_e32 v42, 0x8040201, v22
	v_cndmask_b32_e64 v38, 0, -1, s2
	v_lshrrev_b32_e32 v18, 16, v18
	v_sub_nc_i16 v7, v7, v46 clamp
	v_or_b32_sdwa v43, v36, v37 dst_sel:DWORD dst_unused:UNUSED_PAD src0_sel:BYTE_0 src1_sel:DWORD
	v_cmp_ne_u16_sdwa s2, v42, v31 src0_sel:BYTE_1 src1_sel:DWORD
	v_lshlrev_b16 v38, 8, v38
	v_lshrrev_b32_e32 v44, 18, v22
	v_and_b32_e32 v41, 0xffffff00, v18
	v_bfe_i32 v47, v22, 0, 1
	v_cndmask_b32_e64 v45, 0, -1, s2
	v_cmp_ne_u16_sdwa s2, v42, v31 src0_sel:BYTE_3 src1_sel:DWORD
	v_or_b32_sdwa v46, v14, v38 dst_sel:WORD_1 dst_unused:UNUSED_PAD src0_sel:BYTE_0 src1_sel:DWORD
	v_bfe_i32 v44, v44, 0, 1
	v_sub_nc_i16 v39, v41, v39 clamp
	v_lshlrev_b16 v45, 8, v45
	v_cndmask_b32_e64 v42, 0, -1, s2
	v_or_b32_sdwa v43, v43, v46 dst_sel:DWORD dst_unused:UNUSED_PAD src0_sel:WORD_0 src1_sel:DWORD
	v_dot4c_i32_i8 v23, v21, v8
	v_lshlrev_b16 v36, 8, v36
	v_or_b32_sdwa v41, v47, v45 dst_sel:DWORD dst_unused:UNUSED_PAD src0_sel:BYTE_0 src1_sel:DWORD
	v_lshlrev_b16 v42, 8, v42
	v_xor_b32_e32 v19, v19, v43
	v_perm_b32 v7, v20, v7, 0xc0c0105
	v_lshlrev_b16 v18, 8, v18
	v_lshlrev_b16 v14, 8, v14
	v_or_b32_sdwa v46, v44, v42 dst_sel:WORD_1 dst_unused:UNUSED_PAD src0_sel:BYTE_0 src1_sel:DWORD
	v_lshlrev_b16 v21, 8, v19
	v_and_b32_e32 v20, 0xffffff00, v19
	v_sub_nc_i16 v18, v18, v40 clamp
	v_lshlrev_b16 v43, 8, v47
	v_or_b32_sdwa v8, v41, v46 dst_sel:DWORD dst_unused:UNUSED_PAD src0_sel:WORD_0 src1_sel:DWORD
	v_lshrrev_b32_e32 v41, 25, v15
	v_lshlrev_b16 v44, 8, v44
	v_perm_b32 v18, v18, v39, 0xc0c0105
	s_waitcnt vmcnt(1)
	v_xor_b32_e32 v8, v16, v8
	v_lshrrev_b32_e32 v16, 16, v19
	v_sub_nc_i16 v19, v21, v36 clamp
	v_and_b32_e32 v36, 0x80402010, v22
	v_bcnt_u32_b32 v41, v41, 0
	v_lshrrev_b32_e32 v22, 22, v22
	v_lshl_or_b32 v7, v18, 16, v7
	v_sub_nc_i16 v18, v20, v37 clamp
	v_cmp_ne_u16_sdwa s2, v36, v31 src0_sel:BYTE_1 src1_sel:DWORD
	v_and_b32_e32 v41, 1, v41
	v_lshrrev_b16 v39, 4, v36
	v_and_b32_e32 v20, 0xffffff00, v8
	v_and_b32_e32 v21, 0xffffff00, v16
	v_cndmask_b32_e64 v40, 0, -1, s2
	v_cmp_ne_u16_sdwa s2, v36, v31 src0_sel:BYTE_3 src1_sel:DWORD
	v_alignbit_b32 v15, v41, v15, 25
	v_lshlrev_b16 v16, 8, v16
	v_lshrrev_b32_e32 v37, 16, v8
	v_bfe_i32 v39, v39, 0, 1
	v_cndmask_b32_e64 v36, 0, -1, s2
	v_mul_lo_u32 v15, 0x1010101, v15
	v_lshlrev_b16 v40, 8, v40
	v_bfe_i32 v22, v22, 0, 1
	v_sub_nc_i16 v20, v20, v45 clamp
	v_lshlrev_b16 v36, 8, v36
	v_lshlrev_b16 v8, 8, v8
	v_and_b32_e32 v45, 0xffffff00, v37
	v_or_b32_sdwa v46, v39, v40 dst_sel:DWORD dst_unused:UNUSED_PAD src0_sel:BYTE_0 src1_sel:DWORD
	v_lshlrev_b16 v37, 8, v37
	v_or_b32_sdwa v47, v22, v36 dst_sel:WORD_1 dst_unused:UNUSED_PAD src0_sel:BYTE_0 src1_sel:DWORD
	v_sub_nc_i16 v14, v16, v14 clamp
	v_and_b32_e32 v16, 0x8040201, v15
	v_sub_nc_i16 v8, v8, v43 clamp
	v_sub_nc_i16 v41, v45, v42 clamp
	v_or_b32_sdwa v43, v46, v47 dst_sel:DWORD dst_unused:UNUSED_PAD src0_sel:WORD_0 src1_sel:DWORD
	v_sub_nc_i16 v37, v37, v44 clamp
	v_cmp_ne_u16_sdwa s2, v16, v31 src0_sel:BYTE_1 src1_sel:DWORD
	v_perm_b32 v8, v8, v20, 0xc0c0105
	v_perm_b32 v18, v19, v18, 0xc0c0105
	v_xor_b32_e32 v17, v17, v43
	v_perm_b32 v20, v37, v41, 0xc0c0105
	v_sub_nc_i16 v19, v21, v38 clamp
	v_cndmask_b32_e64 v38, 0, -1, s2
	v_cmp_ne_u16_sdwa s2, v16, v31 src0_sel:BYTE_3 src1_sel:DWORD
	v_and_b32_e32 v21, 0xffffff00, v17
	v_lshl_or_b32 v8, v20, 16, v8
	v_lshrrev_b32_e32 v20, 16, v17
	v_lshlrev_b16 v17, 8, v17
	v_lshrrev_b32_e32 v37, 18, v15
	v_cndmask_b32_e64 v16, 0, -1, s2
	v_lshlrev_b16 v39, 8, v39
	v_sub_nc_i16 v21, v21, v40 clamp
	v_bfe_i32 v40, v15, 0, 1
	v_lshlrev_b16 v38, 8, v38
	v_bfe_i32 v37, v37, 0, 1
	v_lshlrev_b16 v16, 8, v16
	v_sub_nc_i16 v17, v17, v39 clamp
	v_and_b32_e32 v39, 0x80402010, v15
	v_and_b32_e32 v41, 0xffffff00, v20
	v_lshlrev_b16 v20, 8, v20
	v_lshlrev_b16 v22, 8, v22
	v_or_b32_sdwa v42, v40, v38 dst_sel:DWORD dst_unused:UNUSED_PAD src0_sel:BYTE_0 src1_sel:DWORD
	v_or_b32_sdwa v43, v37, v16 dst_sel:WORD_1 dst_unused:UNUSED_PAD src0_sel:BYTE_0 src1_sel:DWORD
	v_cmp_ne_u16_sdwa s2, v39, v31 src0_sel:BYTE_1 src1_sel:DWORD
	v_sub_nc_i16 v36, v41, v36 clamp
	v_sub_nc_i16 v20, v20, v22 clamp
	v_lshrrev_b32_e32 v15, 22, v15
	v_or_b32_sdwa v22, v42, v43 dst_sel:DWORD dst_unused:UNUSED_PAD src0_sel:WORD_0 src1_sel:DWORD
	v_cndmask_b32_e64 v42, 0, -1, s2
	v_cmp_ne_u16_sdwa s2, v39, v31 src0_sel:BYTE_3 src1_sel:DWORD
	v_lshrrev_b16 v41, 4, v39
	v_bfe_i32 v15, v15, 0, 1
	s_waitcnt vmcnt(0)
	v_xor_b32_e32 v12, v12, v22
	v_perm_b32 v20, v20, v36, 0xc0c0105
	v_cndmask_b32_e64 v39, 0, -1, s2
	v_bfe_i32 v22, v41, 0, 1
	v_lshlrev_b16 v41, 8, v42
	v_perm_b32 v17, v17, v21, 0xc0c0105
	v_and_b32_e32 v21, 0xffffff00, v12
	v_lshlrev_b16 v39, 8, v39
	v_lshlrev_b16 v43, 8, v12
	v_or_b32_sdwa v36, v22, v41 dst_sel:DWORD dst_unused:UNUSED_PAD src0_sel:BYTE_0 src1_sel:DWORD
	v_lshlrev_b16 v40, 8, v40
	v_lshrrev_b32_e32 v12, 16, v12
	v_or_b32_sdwa v42, v15, v39 dst_sel:WORD_1 dst_unused:UNUSED_PAD src0_sel:BYTE_0 src1_sel:DWORD
	v_mov_b32_e32 v44, 0
	v_sub_nc_i16 v21, v21, v38 clamp
	v_sub_nc_i16 v38, v43, v40 clamp
	v_and_b32_e32 v40, 0xffffff00, v12
	v_or_b32_sdwa v36, v36, v42 dst_sel:DWORD dst_unused:UNUSED_PAD src0_sel:WORD_0 src1_sel:DWORD
	v_lshl_or_b32 v17, v20, 16, v17
	v_dot4c_i32_i8 v44, v8, v3
	v_lshlrev_b16 v12, 8, v12
	v_sub_nc_i16 v8, v40, v16 clamp
	v_xor_b32_e32 v13, v13, v36
	v_lshlrev_b16 v20, 8, v37
	v_perm_b32 v3, v38, v21, 0xc0c0105
	v_lshlrev_b16 v22, 8, v22
	v_lshlrev_b16 v15, 8, v15
	v_lshrrev_b32_e32 v16, 16, v13
	v_and_b32_e32 v21, 0xffffff00, v13
	v_lshlrev_b16 v13, 8, v13
	v_sub_nc_i16 v12, v12, v20 clamp
	v_dot4c_i32_i8 v44, v17, v4
	v_and_b32_e32 v36, 0xffffff00, v16
	v_lshlrev_b16 v16, 8, v16
	v_sub_nc_i16 v20, v21, v41 clamp
	v_sub_nc_i16 v13, v13, v22 clamp
	v_perm_b32 v8, v12, v8, 0xc0c0105
	v_sub_nc_i16 v21, v36, v39 clamp
	v_sub_nc_i16 v15, v16, v15 clamp
	v_perm_b32 v12, v14, v19, 0xc0c0105
	v_perm_b32 v4, v13, v20, 0xc0c0105
	v_lshl_or_b32 v3, v8, 16, v3
	v_dot4c_i32_i8 v23, v7, v9
	v_perm_b32 v13, v15, v21, 0xc0c0105
	v_lshl_or_b32 v8, v12, 16, v18
	v_add_co_u32 v10, s2, 0x480, v10
	v_dot4c_i32_i8 v44, v3, v5
	v_lshl_or_b32 v4, v13, 16, v4
	v_dot4c_i32_i8 v23, v8, v2
	v_bfe_u32 v5, v33, 4, 4
	v_add_co_ci_u32_e64 v11, null, 0, v11, s2
	v_dot4c_i32_i8 v44, v4, v35
	v_and_b32_e32 v4, 15, v33
	v_add_nc_u32_e32 v2, v44, v23
	v_lshrrev_b32_e32 v3, 31, v2
	v_add_nc_u32_e32 v2, v2, v3
	v_mul_lo_u32 v3, v23, v4
	v_mul_lo_u32 v4, v44, v5
	v_ashrrev_i32_e32 v2, 1, v2
	v_add3_u32 v2, v4, v3, v2
	v_ashrrev_i32_e32 v3, 31, v2
	v_lshrrev_b32_e32 v3, 30, v3
	v_add_nc_u32_e32 v2, v2, v3
	v_cvt_f32_f16_e32 v3, v34
	v_ashrrev_i32_e32 v2, 2, v2
	v_mul_f32_e32 v3, v3, v6
	v_cvt_f32_i32_e32 v2, v2
	v_fmac_f32_e32 v29, v3, v2
	s_andn2_b32 exec_lo, exec_lo, s14
	s_cbranch_execz .LBB169_16
.LBB169_14:                             ; =>This Inner Loop Header: Depth=1
	v_add_nc_u32_e32 v22, s15, v28
	s_getpc_b64 s[2:3]
	s_add_u32 s2, s2, _ZL10iq2xs_grid@rel32@lo+4
	s_addc_u32 s3, s3, _ZL10iq2xs_grid@rel32@hi+12
	v_mad_i64_i32 v[2:3], null, 0x4a, v22, s[12:13]
	v_add_co_u32 v4, vcc_lo, v2, v32
	v_add_co_ci_u32_e64 v5, null, 0, v3, vcc_lo
	global_load_dwordx2 v[14:15], v[4:5], off offset:2
	v_add_co_u32 v4, vcc_lo, v2, v30
	v_add_co_ci_u32_e64 v5, null, 0, v3, vcc_lo
	s_andn2_b32 vcc_lo, exec_lo, s9
	s_clause 0x1
	global_load_ubyte v33, v[4:5], off offset:66
	global_load_ushort v34, v[2:3], off
	s_clause 0x1
	global_load_dwordx4 v[6:9], v[10:11], off offset:-32
	global_load_dwordx4 v[2:5], v[10:11], off offset:-16
	s_waitcnt vmcnt(4)
	v_and_b32_e32 v12, 0x1ff, v14
	v_lshrrev_b32_e32 v13, 13, v14
	v_and_b32_e32 v16, 0x1ff, v15
	v_lshrrev_b32_e32 v17, 13, v15
	v_lshlrev_b32_e32 v12, 3, v12
	v_and_b32_e32 v13, 0xff8, v13
	v_lshlrev_b32_e32 v16, 3, v16
	v_and_b32_e32 v23, 0xff8, v17
	global_load_dword v35, v[10:11], off
	s_clause 0x3
	global_load_dwordx2 v[20:21], v12, s[2:3]
	global_load_dwordx2 v[18:19], v13, s[2:3]
	;; [unrolled: 1-line block ×4, first 2 shown]
	s_waitcnt vmcnt(6)
	v_cvt_f32_f16_e32 v6, v6
	s_cbranch_vccnz .LBB169_13
; %bb.15:                               ;   in Loop: Header=BB169_14 Depth=1
	v_mad_i64_i32 v[22:23], null, 0x4a, v22, s[28:29]
	v_add_co_u32 v36, vcc_lo, v22, v30
	v_add_co_ci_u32_e64 v37, null, 0, v23, vcc_lo
	v_add_co_u32 v38, vcc_lo, v22, v32
	v_add_co_ci_u32_e64 v39, null, 0, v23, vcc_lo
	s_clause 0x2
	global_load_dwordx2 v[38:39], v[38:39], off offset:2
	global_load_ubyte v40, v[36:37], off offset:66
	global_load_ushort v22, v[22:23], off
	s_waitcnt vmcnt(2)
	v_and_b32_e32 v36, 0x1ff, v38
	v_bfe_u32 v41, v38, 9, 7
	s_waitcnt vmcnt(0)
	v_cvt_f32_f16_e32 v22, v22
	v_lshlrev_b32_e32 v36, 3, v36
	v_bcnt_u32_b32 v42, v41, 0
	v_mul_f32_e32 v22, v6, v22
	global_load_dwordx2 v[36:37], v36, s[2:3]
	v_and_b32_e32 v42, 1, v42
	v_lshl_or_b32 v41, v42, 7, v41
	v_mul_lo_u32 v41, 0x1010101, v41
	v_and_b32_e32 v42, 0x8040201, v41
	v_lshrrev_b32_e32 v43, 18, v41
	v_cmp_ne_u16_sdwa s16, v42, v31 src0_sel:BYTE_3 src1_sel:DWORD
	v_cmp_ne_u16_sdwa s17, v42, v31 src0_sel:BYTE_1 src1_sel:DWORD
	v_bfe_i32 v42, v41, 0, 1
	v_bfe_i32 v43, v43, 0, 1
	v_cndmask_b32_e64 v46, 0, -1, s16
	v_cndmask_b32_e64 v44, 0, -1, s17
	v_lshlrev_b16 v46, 8, v46
	v_lshlrev_b16 v44, 8, v44
	v_or_b32_sdwa v47, v43, v46 dst_sel:WORD_1 dst_unused:UNUSED_PAD src0_sel:BYTE_0 src1_sel:DWORD
	v_or_b32_sdwa v45, v42, v44 dst_sel:DWORD dst_unused:UNUSED_PAD src0_sel:BYTE_0 src1_sel:DWORD
	v_lshlrev_b16 v42, 8, v42
	v_lshlrev_b16 v43, 8, v43
	v_or_b32_sdwa v45, v45, v47 dst_sel:DWORD dst_unused:UNUSED_PAD src0_sel:WORD_0 src1_sel:DWORD
	s_waitcnt vmcnt(0)
	v_xor_b32_e32 v36, v36, v45
	v_lshrrev_b32_e32 v45, 16, v36
	v_and_b32_e32 v47, 0xffffff00, v36
	v_lshlrev_b16 v36, 8, v36
	v_sub_nc_i16 v44, v47, v44 clamp
	v_sub_nc_i16 v36, v36, v42 clamp
	v_and_b32_e32 v42, 0xffffff00, v45
	v_perm_b32 v36, v36, v44, 0xc0c0105
	v_lshlrev_b16 v44, 8, v45
	v_sub_nc_i16 v42, v42, v46 clamp
	v_sub_nc_i16 v43, v44, v43 clamp
	v_perm_b32 v42, v43, v42, 0xc0c0105
	v_lshl_or_b32 v36, v42, 16, v36
	v_and_b32_e32 v42, 0x80402010, v41
	v_lshrrev_b32_e32 v41, 22, v41
	v_cmp_ne_u16_sdwa s16, v42, v31 src0_sel:BYTE_3 src1_sel:DWORD
	v_cmp_ne_u16_sdwa s17, v42, v31 src0_sel:BYTE_1 src1_sel:DWORD
	v_lshrrev_b16 v42, 4, v42
	v_bfe_i32 v41, v41, 0, 1
	v_cndmask_b32_e64 v45, 0, -1, s16
	v_cndmask_b32_e64 v43, 0, -1, s17
	v_bfe_i32 v42, v42, 0, 1
	v_lshlrev_b16 v45, 8, v45
	v_lshlrev_b16 v43, 8, v43
	v_or_b32_sdwa v46, v41, v45 dst_sel:WORD_1 dst_unused:UNUSED_PAD src0_sel:BYTE_0 src1_sel:DWORD
	v_or_b32_sdwa v44, v42, v43 dst_sel:DWORD dst_unused:UNUSED_PAD src0_sel:BYTE_0 src1_sel:DWORD
	v_lshlrev_b16 v42, 8, v42
	v_lshlrev_b16 v41, 8, v41
	v_or_b32_sdwa v44, v44, v46 dst_sel:DWORD dst_unused:UNUSED_PAD src0_sel:WORD_0 src1_sel:DWORD
	v_xor_b32_e32 v37, v37, v44
	v_lshrrev_b32_e32 v44, 16, v37
	v_and_b32_e32 v46, 0xffffff00, v37
	v_lshlrev_b16 v37, 8, v37
	v_sub_nc_i16 v43, v46, v43 clamp
	v_sub_nc_i16 v37, v37, v42 clamp
	v_and_b32_e32 v42, 0xffffff00, v44
	v_perm_b32 v37, v37, v43, 0xc0c0105
	v_lshlrev_b16 v43, 8, v44
	v_sub_nc_i16 v42, v42, v45 clamp
	v_sub_nc_i16 v41, v43, v41 clamp
	v_perm_b32 v41, v41, v42, 0xc0c0105
	v_lshrrev_b32_e32 v42, 25, v38
	v_lshl_or_b32 v37, v41, 16, v37
	v_mov_b32_e32 v41, 0
	v_bcnt_u32_b32 v42, v42, 0
	v_dot4c_i32_i8 v41, v36, v7
	v_lshrrev_b32_e32 v36, 13, v38
	v_and_b32_e32 v42, 1, v42
	v_dot4c_i32_i8 v41, v37, v8
	v_and_b32_e32 v36, 0xff8, v36
	v_alignbit_b32 v38, v42, v38, 25
	global_load_dwordx2 v[36:37], v36, s[2:3]
	v_mul_lo_u32 v38, 0x1010101, v38
	v_and_b32_e32 v42, 0x8040201, v38
	v_lshrrev_b32_e32 v43, 18, v38
	v_cmp_ne_u16_sdwa s16, v42, v31 src0_sel:BYTE_3 src1_sel:DWORD
	v_cmp_ne_u16_sdwa s17, v42, v31 src0_sel:BYTE_1 src1_sel:DWORD
	v_bfe_i32 v42, v38, 0, 1
	v_bfe_i32 v43, v43, 0, 1
	v_cndmask_b32_e64 v46, 0, -1, s16
	v_cndmask_b32_e64 v44, 0, -1, s17
	v_lshlrev_b16 v46, 8, v46
	v_lshlrev_b16 v44, 8, v44
	v_or_b32_sdwa v47, v43, v46 dst_sel:WORD_1 dst_unused:UNUSED_PAD src0_sel:BYTE_0 src1_sel:DWORD
	v_or_b32_sdwa v45, v42, v44 dst_sel:DWORD dst_unused:UNUSED_PAD src0_sel:BYTE_0 src1_sel:DWORD
	v_lshlrev_b16 v42, 8, v42
	v_lshlrev_b16 v43, 8, v43
	v_or_b32_sdwa v45, v45, v47 dst_sel:DWORD dst_unused:UNUSED_PAD src0_sel:WORD_0 src1_sel:DWORD
	s_waitcnt vmcnt(0)
	v_xor_b32_e32 v36, v36, v45
	v_lshrrev_b32_e32 v45, 16, v36
	v_and_b32_e32 v47, 0xffffff00, v36
	v_lshlrev_b16 v36, 8, v36
	v_sub_nc_i16 v44, v47, v44 clamp
	v_sub_nc_i16 v36, v36, v42 clamp
	v_and_b32_e32 v42, 0xffffff00, v45
	v_perm_b32 v36, v36, v44, 0xc0c0105
	v_lshlrev_b16 v44, 8, v45
	v_sub_nc_i16 v42, v42, v46 clamp
	v_sub_nc_i16 v43, v44, v43 clamp
	v_perm_b32 v42, v43, v42, 0xc0c0105
	v_lshl_or_b32 v36, v42, 16, v36
	v_and_b32_e32 v42, 0x80402010, v38
	v_lshrrev_b32_e32 v38, 22, v38
	v_dot4c_i32_i8 v41, v36, v9
	v_cmp_ne_u16_sdwa s16, v42, v31 src0_sel:BYTE_3 src1_sel:DWORD
	v_cmp_ne_u16_sdwa s17, v42, v31 src0_sel:BYTE_1 src1_sel:DWORD
	v_lshrrev_b16 v42, 4, v42
	v_bfe_i32 v38, v38, 0, 1
	v_and_b32_e32 v36, 0x1ff, v39
	v_cndmask_b32_e64 v45, 0, -1, s16
	v_cndmask_b32_e64 v43, 0, -1, s17
	v_bfe_i32 v42, v42, 0, 1
	v_lshlrev_b32_e32 v36, 3, v36
	v_lshlrev_b16 v45, 8, v45
	v_lshlrev_b16 v43, 8, v43
	v_or_b32_sdwa v46, v38, v45 dst_sel:WORD_1 dst_unused:UNUSED_PAD src0_sel:BYTE_0 src1_sel:DWORD
	v_or_b32_sdwa v44, v42, v43 dst_sel:DWORD dst_unused:UNUSED_PAD src0_sel:BYTE_0 src1_sel:DWORD
	v_lshlrev_b16 v42, 8, v42
	v_lshlrev_b16 v38, 8, v38
	v_or_b32_sdwa v44, v44, v46 dst_sel:DWORD dst_unused:UNUSED_PAD src0_sel:WORD_0 src1_sel:DWORD
	v_xor_b32_e32 v37, v37, v44
	v_lshrrev_b32_e32 v44, 16, v37
	v_and_b32_e32 v46, 0xffffff00, v37
	v_lshlrev_b16 v37, 8, v37
	v_sub_nc_i16 v43, v46, v43 clamp
	v_sub_nc_i16 v37, v37, v42 clamp
	v_and_b32_e32 v42, 0xffffff00, v44
	v_perm_b32 v37, v37, v43, 0xc0c0105
	v_lshlrev_b16 v43, 8, v44
	v_sub_nc_i16 v42, v42, v45 clamp
	v_sub_nc_i16 v38, v43, v38 clamp
	v_perm_b32 v38, v38, v42, 0xc0c0105
	v_lshl_or_b32 v37, v38, 16, v37
	v_bfe_u32 v38, v39, 9, 7
	v_dot4c_i32_i8 v41, v37, v2
	global_load_dwordx2 v[36:37], v36, s[2:3]
	v_bcnt_u32_b32 v42, v38, 0
	v_and_b32_e32 v42, 1, v42
	v_lshl_or_b32 v38, v42, 7, v38
	v_mul_lo_u32 v38, 0x1010101, v38
	v_and_b32_e32 v42, 0x8040201, v38
	v_lshrrev_b32_e32 v43, 18, v38
	v_cmp_ne_u16_sdwa s16, v42, v31 src0_sel:BYTE_3 src1_sel:DWORD
	v_cmp_ne_u16_sdwa s17, v42, v31 src0_sel:BYTE_1 src1_sel:DWORD
	v_bfe_i32 v42, v38, 0, 1
	v_bfe_i32 v43, v43, 0, 1
	v_cndmask_b32_e64 v46, 0, -1, s16
	v_cndmask_b32_e64 v44, 0, -1, s17
	v_lshlrev_b16 v46, 8, v46
	v_lshlrev_b16 v44, 8, v44
	v_or_b32_sdwa v47, v43, v46 dst_sel:WORD_1 dst_unused:UNUSED_PAD src0_sel:BYTE_0 src1_sel:DWORD
	v_or_b32_sdwa v45, v42, v44 dst_sel:DWORD dst_unused:UNUSED_PAD src0_sel:BYTE_0 src1_sel:DWORD
	v_lshlrev_b16 v42, 8, v42
	v_lshlrev_b16 v43, 8, v43
	v_or_b32_sdwa v45, v45, v47 dst_sel:DWORD dst_unused:UNUSED_PAD src0_sel:WORD_0 src1_sel:DWORD
	s_waitcnt vmcnt(0)
	v_xor_b32_e32 v36, v36, v45
	v_lshrrev_b32_e32 v45, 16, v36
	v_and_b32_e32 v47, 0xffffff00, v36
	v_lshlrev_b16 v36, 8, v36
	v_sub_nc_i16 v44, v47, v44 clamp
	v_sub_nc_i16 v36, v36, v42 clamp
	v_and_b32_e32 v42, 0xffffff00, v45
	v_perm_b32 v36, v36, v44, 0xc0c0105
	v_lshlrev_b16 v44, 8, v45
	v_sub_nc_i16 v42, v42, v46 clamp
	v_sub_nc_i16 v43, v44, v43 clamp
	v_perm_b32 v42, v43, v42, 0xc0c0105
	v_lshl_or_b32 v36, v42, 16, v36
	v_and_b32_e32 v42, 0x80402010, v38
	v_lshrrev_b32_e32 v38, 22, v38
	v_cmp_ne_u16_sdwa s16, v42, v31 src0_sel:BYTE_3 src1_sel:DWORD
	v_cmp_ne_u16_sdwa s17, v42, v31 src0_sel:BYTE_1 src1_sel:DWORD
	v_lshrrev_b16 v42, 4, v42
	v_bfe_i32 v38, v38, 0, 1
	v_cndmask_b32_e64 v45, 0, -1, s16
	v_cndmask_b32_e64 v43, 0, -1, s17
	v_bfe_i32 v42, v42, 0, 1
	v_lshlrev_b16 v45, 8, v45
	v_lshlrev_b16 v43, 8, v43
	v_or_b32_sdwa v46, v38, v45 dst_sel:WORD_1 dst_unused:UNUSED_PAD src0_sel:BYTE_0 src1_sel:DWORD
	v_or_b32_sdwa v44, v42, v43 dst_sel:DWORD dst_unused:UNUSED_PAD src0_sel:BYTE_0 src1_sel:DWORD
	v_lshlrev_b16 v42, 8, v42
	v_lshlrev_b16 v38, 8, v38
	v_or_b32_sdwa v44, v44, v46 dst_sel:DWORD dst_unused:UNUSED_PAD src0_sel:WORD_0 src1_sel:DWORD
	v_xor_b32_e32 v37, v37, v44
	v_lshrrev_b32_e32 v44, 16, v37
	v_and_b32_e32 v46, 0xffffff00, v37
	v_lshlrev_b16 v37, 8, v37
	v_sub_nc_i16 v43, v46, v43 clamp
	v_sub_nc_i16 v37, v37, v42 clamp
	v_and_b32_e32 v42, 0xffffff00, v44
	v_perm_b32 v37, v37, v43, 0xc0c0105
	v_lshlrev_b16 v43, 8, v44
	v_sub_nc_i16 v42, v42, v45 clamp
	v_sub_nc_i16 v38, v43, v38 clamp
	v_perm_b32 v38, v38, v42, 0xc0c0105
	v_lshrrev_b32_e32 v42, 25, v39
	v_lshl_or_b32 v37, v38, 16, v37
	v_mov_b32_e32 v38, 0
	v_bcnt_u32_b32 v42, v42, 0
	v_dot4c_i32_i8 v38, v36, v3
	v_lshrrev_b32_e32 v36, 13, v39
	v_and_b32_e32 v42, 1, v42
	v_dot4c_i32_i8 v38, v37, v4
	v_and_b32_e32 v36, 0xff8, v36
	v_alignbit_b32 v39, v42, v39, 25
	global_load_dwordx2 v[36:37], v36, s[2:3]
	v_mul_lo_u32 v39, 0x1010101, v39
	v_and_b32_e32 v42, 0x8040201, v39
	v_lshrrev_b32_e32 v43, 18, v39
	v_cmp_ne_u16_sdwa s2, v42, v31 src0_sel:BYTE_3 src1_sel:DWORD
	v_cmp_ne_u16_sdwa s3, v42, v31 src0_sel:BYTE_1 src1_sel:DWORD
	v_bfe_i32 v42, v39, 0, 1
	v_bfe_i32 v43, v43, 0, 1
	v_cndmask_b32_e64 v46, 0, -1, s2
	v_cndmask_b32_e64 v44, 0, -1, s3
	v_lshlrev_b16 v46, 8, v46
	v_lshlrev_b16 v44, 8, v44
	v_or_b32_sdwa v47, v43, v46 dst_sel:WORD_1 dst_unused:UNUSED_PAD src0_sel:BYTE_0 src1_sel:DWORD
	v_or_b32_sdwa v45, v42, v44 dst_sel:DWORD dst_unused:UNUSED_PAD src0_sel:BYTE_0 src1_sel:DWORD
	v_lshlrev_b16 v42, 8, v42
	v_lshlrev_b16 v43, 8, v43
	v_or_b32_sdwa v45, v45, v47 dst_sel:DWORD dst_unused:UNUSED_PAD src0_sel:WORD_0 src1_sel:DWORD
	s_waitcnt vmcnt(0)
	v_xor_b32_e32 v36, v36, v45
	v_lshrrev_b32_e32 v45, 16, v36
	v_and_b32_e32 v47, 0xffffff00, v36
	v_lshlrev_b16 v36, 8, v36
	v_sub_nc_i16 v44, v47, v44 clamp
	v_sub_nc_i16 v36, v36, v42 clamp
	v_and_b32_e32 v42, 0xffffff00, v45
	v_perm_b32 v36, v36, v44, 0xc0c0105
	v_lshlrev_b16 v44, 8, v45
	v_sub_nc_i16 v42, v42, v46 clamp
	v_sub_nc_i16 v43, v44, v43 clamp
	v_perm_b32 v42, v43, v42, 0xc0c0105
	v_lshl_or_b32 v36, v42, 16, v36
	v_and_b32_e32 v42, 0x80402010, v39
	v_lshrrev_b32_e32 v39, 22, v39
	v_dot4c_i32_i8 v38, v36, v5
	v_cmp_ne_u16_sdwa s2, v42, v31 src0_sel:BYTE_3 src1_sel:DWORD
	v_cmp_ne_u16_sdwa s3, v42, v31 src0_sel:BYTE_1 src1_sel:DWORD
	v_lshrrev_b16 v42, 4, v42
	v_bfe_i32 v39, v39, 0, 1
	v_lshrrev_b32_e32 v36, 4, v40
	v_cndmask_b32_e64 v45, 0, -1, s2
	v_cndmask_b32_e64 v43, 0, -1, s3
	v_bfe_i32 v42, v42, 0, 1
	v_lshlrev_b16 v45, 8, v45
	v_lshlrev_b16 v43, 8, v43
	v_or_b32_sdwa v46, v39, v45 dst_sel:WORD_1 dst_unused:UNUSED_PAD src0_sel:BYTE_0 src1_sel:DWORD
	v_or_b32_sdwa v44, v42, v43 dst_sel:DWORD dst_unused:UNUSED_PAD src0_sel:BYTE_0 src1_sel:DWORD
	v_lshlrev_b16 v42, 8, v42
	v_lshlrev_b16 v39, 8, v39
	v_or_b32_sdwa v44, v44, v46 dst_sel:DWORD dst_unused:UNUSED_PAD src0_sel:WORD_0 src1_sel:DWORD
	v_xor_b32_e32 v37, v37, v44
	v_lshrrev_b32_e32 v44, 16, v37
	v_and_b32_e32 v46, 0xffffff00, v37
	v_lshlrev_b16 v37, 8, v37
	v_sub_nc_i16 v43, v46, v43 clamp
	v_sub_nc_i16 v37, v37, v42 clamp
	v_and_b32_e32 v42, 0xffffff00, v44
	v_perm_b32 v37, v37, v43, 0xc0c0105
	v_lshlrev_b16 v43, 8, v44
	v_sub_nc_i16 v42, v42, v45 clamp
	v_sub_nc_i16 v39, v43, v39 clamp
	v_perm_b32 v39, v39, v42, 0xc0c0105
	v_lshl_or_b32 v37, v39, 16, v37
	v_dot4c_i32_i8 v38, v37, v35
	v_and_b32_e32 v37, 15, v40
	v_mul_lo_u32 v36, v38, v36
	v_add_nc_u32_e32 v38, v38, v41
	v_mul_lo_u32 v37, v41, v37
	v_lshrrev_b32_e32 v39, 31, v38
	v_add_nc_u32_e32 v38, v38, v39
	v_ashrrev_i32_e32 v38, 1, v38
	v_add3_u32 v36, v36, v37, v38
	v_ashrrev_i32_e32 v37, 31, v36
	v_lshrrev_b32_e32 v37, 30, v37
	v_add_nc_u32_e32 v36, v36, v37
	v_ashrrev_i32_e32 v36, 2, v36
	v_cvt_f32_i32_e32 v23, v36
	v_fmac_f32_e32 v27, v22, v23
	s_branch .LBB169_13
.LBB169_16:
	s_or_b32 exec_lo, exec_lo, s14
.LBB169_17:
	s_or_b32 exec_lo, exec_lo, s11
	s_load_dword s2, s[4:5], 0x30
	s_waitcnt vmcnt(0) lgkmcnt(0)
	; wave barrier
	buffer_gl0_inv
	s_mov_b32 s3, exec_lo
	v_cmpx_eq_u32_e32 0, v1
	s_cbranch_execz .LBB169_44
; %bb.18:
	v_mbcnt_lo_u32_b32 v2, -1, 0
	v_xor_b32_e32 v1, 16, v2
	v_xor_b32_e32 v4, 8, v2
	;; [unrolled: 1-line block ×3, first 2 shown]
	v_cmp_gt_i32_e32 vcc_lo, 32, v1
	v_cndmask_b32_e32 v1, v2, v1, vcc_lo
	v_cmp_gt_i32_e32 vcc_lo, 32, v4
	v_lshlrev_b32_e32 v1, 2, v1
	v_cndmask_b32_e32 v4, v2, v4, vcc_lo
	v_cmp_gt_i32_e32 vcc_lo, 32, v5
	ds_bpermute_b32 v3, v1, v29
	v_lshlrev_b32_e32 v4, 2, v4
	v_cndmask_b32_e32 v5, v2, v5, vcc_lo
	v_lshlrev_b32_e32 v5, 2, v5
	s_waitcnt lgkmcnt(0)
	v_add_f32_e32 v3, v29, v3
	ds_bpermute_b32 v6, v4, v3
	s_waitcnt lgkmcnt(0)
	v_add_f32_e32 v3, v3, v6
	v_xor_b32_e32 v6, 2, v2
	ds_bpermute_b32 v7, v5, v3
	v_cmp_gt_i32_e32 vcc_lo, 32, v6
	v_cndmask_b32_e32 v6, v2, v6, vcc_lo
	v_lshlrev_b32_e32 v6, 2, v6
	s_waitcnt lgkmcnt(0)
	v_add_f32_e32 v3, v3, v7
	v_xor_b32_e32 v7, 1, v2
	ds_bpermute_b32 v8, v6, v3
	v_cmp_gt_i32_e32 vcc_lo, 32, v7
	v_cndmask_b32_e32 v2, v2, v7, vcc_lo
	v_cmp_ne_u32_e32 vcc_lo, 1, v26
	v_lshlrev_b32_e32 v7, 2, v2
	s_waitcnt lgkmcnt(0)
	v_add_f32_e32 v2, v3, v8
	ds_bpermute_b32 v3, v7, v2
	s_cbranch_vccnz .LBB169_20
; %bb.19:
	ds_bpermute_b32 v1, v1, v27
	s_waitcnt lgkmcnt(0)
	v_add_f32_e32 v1, v27, v1
	ds_bpermute_b32 v4, v4, v1
	s_waitcnt lgkmcnt(0)
	v_add_f32_e32 v1, v1, v4
	;; [unrolled: 3-line block ×5, first 2 shown]
.LBB169_20:
	v_cmp_eq_u32_e32 vcc_lo, 0, v0
	s_and_b32 exec_lo, exec_lo, vcc_lo
	s_cbranch_execz .LBB169_44
; %bb.21:
	s_waitcnt lgkmcnt(0)
	v_add_f32_e32 v1, v2, v3
	v_cmp_ne_u32_e32 vcc_lo, 1, v26
	v_add_f32_e32 v2, v25, v1
	v_cndmask_b32_e64 v1, v1, v2, s0
	s_cbranch_vccnz .LBB169_43
; %bb.22:
	v_add_f32_e32 v2, v24, v27
	s_cmp_lt_i32 s2, 2
	s_mov_b32 s0, 0
	v_cndmask_b32_e64 v2, v27, v2, s1
	s_cbranch_scc1 .LBB169_26
; %bb.23:
	s_cmp_gt_i32 s2, 2
	s_cbranch_scc0 .LBB169_27
; %bb.24:
	s_cmp_eq_u32 s2, 3
	s_cbranch_scc0 .LBB169_28
; %bb.25:
	v_max_f32_e32 v3, v2, v2
	s_mov_b32 s1, 0
	v_min_f32_e32 v3, 0x40e00000, v3
	v_mul_f32_e32 v4, 0xbfd9db23, v3
	v_mul_f32_e32 v5, 0x3fb8aa3b, v4
	v_cmp_ngt_f32_e32 vcc_lo, 0xc2ce8ed0, v4
	v_fma_f32 v6, 0x3fb8aa3b, v4, -v5
	v_rndne_f32_e32 v7, v5
	v_fmamk_f32 v6, v4, 0x32a5705f, v6
	v_sub_f32_e32 v5, v5, v7
	v_add_f32_e32 v5, v5, v6
	v_cvt_i32_f32_e32 v6, v7
	v_exp_f32_e32 v5, v5
	v_ldexp_f32 v5, v5, v6
	v_cndmask_b32_e32 v5, 0, v5, vcc_lo
	v_cmp_nlt_f32_e32 vcc_lo, 0x42b17218, v4
	v_cndmask_b32_e32 v4, 0x7f800000, v5, vcc_lo
	v_add_f32_e32 v4, 1.0, v4
	v_div_scale_f32 v5, null, v4, v4, v3
	v_div_scale_f32 v8, vcc_lo, v3, v4, v3
	v_rcp_f32_e32 v6, v5
	v_fma_f32 v7, -v5, v6, 1.0
	v_fmac_f32_e32 v6, v7, v6
	v_mul_f32_e32 v7, v8, v6
	v_fma_f32 v9, -v5, v7, v8
	v_fmac_f32_e32 v7, v9, v6
	v_max_f32_e32 v9, v1, v1
	v_fma_f32 v5, -v5, v7, v8
	v_min_f32_e32 v8, 0x40e00000, v9
	v_div_fmas_f32 v5, v5, v6, v7
	v_max_f32_e32 v6, 0xc0e00000, v8
	v_div_fixup_f32 v3, v5, v4, v3
	v_add_f32_e32 v4, 1.0, v6
	v_mul_f32_e32 v3, v4, v3
	s_branch .LBB169_29
.LBB169_26:
	s_mov_b32 s1, 0
                                        ; implicit-def: $vgpr3
	s_cbranch_execnz .LBB169_33
	s_branch .LBB169_34
.LBB169_27:
	s_mov_b32 s3, -1
	s_mov_b32 s1, 0
                                        ; implicit-def: $vgpr3
	s_branch .LBB169_30
.LBB169_28:
	s_mov_b32 s1, -1
                                        ; implicit-def: $vgpr3
.LBB169_29:
	s_mov_b32 s3, 0
.LBB169_30:
	s_and_b32 vcc_lo, exec_lo, s3
	s_cbranch_vccz .LBB169_32
; %bb.31:
	v_mul_f32_e32 v3, 0xbfb8aa3b, v2
	v_cmp_nlt_f32_e32 vcc_lo, 0x42ce8ed0, v2
	v_rndne_f32_e32 v4, v3
	v_fma_f32 v5, 0xbfb8aa3b, v2, -v3
	v_sub_f32_e32 v3, v3, v4
	v_fmamk_f32 v5, v2, 0xb2a5705f, v5
	v_cvt_i32_f32_e32 v4, v4
	v_add_f32_e32 v3, v3, v5
	v_exp_f32_e32 v3, v3
	v_ldexp_f32 v3, v3, v4
	v_cndmask_b32_e32 v3, 0, v3, vcc_lo
	v_cmp_ngt_f32_e32 vcc_lo, 0xc2b17218, v2
	v_cndmask_b32_e32 v3, 0x7f800000, v3, vcc_lo
	v_add_f32_e32 v3, 1.0, v3
	v_div_scale_f32 v4, null, v3, v3, v2
	v_rcp_f32_e32 v5, v4
	v_fma_f32 v6, -v4, v5, 1.0
	v_fmac_f32_e32 v5, v6, v5
	v_div_scale_f32 v6, vcc_lo, v2, v3, v2
	v_mul_f32_e32 v7, v6, v5
	v_fma_f32 v8, -v4, v7, v6
	v_fmac_f32_e32 v7, v8, v5
	v_fma_f32 v4, -v4, v7, v6
	v_div_fmas_f32 v4, v4, v5, v7
	v_div_fixup_f32 v3, v4, v3, v2
	v_mul_f32_e32 v3, v1, v3
.LBB169_32:
	s_branch .LBB169_34
.LBB169_33:
	s_cmp_lg_u32 s2, 1
	s_mov_b32 s0, -1
	s_cselect_b32 s1, -1, 0
.LBB169_34:
	s_andn2_b32 vcc_lo, exec_lo, s1
	s_cbranch_vccz .LBB169_36
; %bb.35:
	s_andn2_b32 vcc_lo, exec_lo, s0
	s_cbranch_vccz .LBB169_37
	s_branch .LBB169_42
.LBB169_36:
	v_mul_f32_e32 v3, v2, v1
	s_cbranch_execnz .LBB169_42
.LBB169_37:
	v_mul_f32_e32 v3, 0x3d372713, v2
	v_mul_f32_e32 v4, 0x3f4c422a, v2
	v_fma_f32 v3, v2, v3, 1.0
	v_mul_f32_e32 v3, v4, v3
                                        ; implicit-def: $vgpr4
	v_cmp_ngt_f32_e64 s0, 0x3f200000, |v3|
	s_and_saveexec_b32 s1, s0
	s_xor_b32 s0, exec_lo, s1
	s_cbranch_execz .LBB169_39
; %bb.38:
	v_add_f32_e64 v4, |v3|, |v3|
	v_mul_f32_e32 v5, 0x3fb8aa3b, v4
	v_cmp_ngt_f32_e32 vcc_lo, 0xc2ce8ed0, v4
	v_rndne_f32_e32 v6, v5
	v_fma_f32 v7, 0x3fb8aa3b, v4, -v5
	v_sub_f32_e32 v5, v5, v6
	v_fmamk_f32 v7, v4, 0x32a5705f, v7
	v_cvt_i32_f32_e32 v6, v6
	v_add_f32_e32 v5, v5, v7
	v_exp_f32_e32 v5, v5
	v_ldexp_f32 v5, v5, v6
	v_cndmask_b32_e32 v5, 0, v5, vcc_lo
	v_cmp_nlt_f32_e32 vcc_lo, 0x42b17218, v4
	v_cndmask_b32_e32 v4, 0x7f800000, v5, vcc_lo
	v_add_f32_e32 v4, 1.0, v4
	v_rcp_f32_e32 v4, v4
	v_fma_f32 v4, v4, -2.0, 1.0
.LBB169_39:
	s_andn2_saveexec_b32 s0, s0
	s_cbranch_execz .LBB169_41
; %bb.40:
	v_mul_f32_e32 v4, v3, v3
	s_mov_b32 s1, 0xbbbac73d
	v_fmaak_f32 v5, s1, v4, 0x3ca908c9
	v_fmaak_f32 v5, v4, v5, 0xbd5c1c4e
	;; [unrolled: 1-line block ×4, first 2 shown]
	v_mul_f32_e64 v5, |v3|, v5
	v_fma_f32 v4, v4, v5, |v3|
.LBB169_41:
	s_or_b32 exec_lo, exec_lo, s0
	v_bfi_b32 v3, 0x7fffffff, v4, v3
	v_mul_f32_e32 v2, 0.5, v2
	v_add_f32_e32 v3, 1.0, v3
	v_mul_f32_e32 v2, v2, v3
	v_mul_f32_e32 v3, v1, v2
.LBB169_42:
	v_mov_b32_e32 v1, v3
.LBB169_43:
	s_load_dwordx2 s[0:1], s[4:5], 0x38
	s_mul_i32 s2, s22, s10
	s_mul_i32 s3, s26, s8
	s_add_i32 s2, s2, s6
	v_lshlrev_b32_e32 v0, 2, v0
	s_add_i32 s2, s2, s3
	s_mov_b32 s3, 0
	s_lshl_b64 s[2:3], s[2:3], 2
	s_waitcnt lgkmcnt(0)
	s_add_u32 s0, s0, s2
	s_addc_u32 s1, s1, s3
	global_store_dword v0, v1, s[0:1]
.LBB169_44:
	s_endpgm
	.section	.rodata,"a",@progbits
	.p2align	6, 0x0
	.amdhsa_kernel _ZL13mul_mat_vec_qIL9ggml_type17ELi1ELb1ELb1EEvPKvS2_PKi31ggml_cuda_mm_fusion_args_devicePfj15HIP_vector_typeIjLj3EEjjjS8_jjjS8_jjjj
		.amdhsa_group_segment_fixed_size 0
		.amdhsa_private_segment_fixed_size 0
		.amdhsa_kernarg_size 144
		.amdhsa_user_sgpr_count 6
		.amdhsa_user_sgpr_private_segment_buffer 1
		.amdhsa_user_sgpr_dispatch_ptr 0
		.amdhsa_user_sgpr_queue_ptr 0
		.amdhsa_user_sgpr_kernarg_segment_ptr 1
		.amdhsa_user_sgpr_dispatch_id 0
		.amdhsa_user_sgpr_flat_scratch_init 0
		.amdhsa_user_sgpr_private_segment_size 0
		.amdhsa_wavefront_size32 1
		.amdhsa_uses_dynamic_stack 0
		.amdhsa_system_sgpr_private_segment_wavefront_offset 0
		.amdhsa_system_sgpr_workgroup_id_x 1
		.amdhsa_system_sgpr_workgroup_id_y 1
		.amdhsa_system_sgpr_workgroup_id_z 1
		.amdhsa_system_sgpr_workgroup_info 0
		.amdhsa_system_vgpr_workitem_id 1
		.amdhsa_next_free_vgpr 52
		.amdhsa_next_free_sgpr 40
		.amdhsa_reserve_vcc 1
		.amdhsa_reserve_flat_scratch 0
		.amdhsa_float_round_mode_32 0
		.amdhsa_float_round_mode_16_64 0
		.amdhsa_float_denorm_mode_32 3
		.amdhsa_float_denorm_mode_16_64 3
		.amdhsa_dx10_clamp 1
		.amdhsa_ieee_mode 1
		.amdhsa_fp16_overflow 0
		.amdhsa_workgroup_processor_mode 1
		.amdhsa_memory_ordered 1
		.amdhsa_forward_progress 1
		.amdhsa_shared_vgpr_count 0
		.amdhsa_exception_fp_ieee_invalid_op 0
		.amdhsa_exception_fp_denorm_src 0
		.amdhsa_exception_fp_ieee_div_zero 0
		.amdhsa_exception_fp_ieee_overflow 0
		.amdhsa_exception_fp_ieee_underflow 0
		.amdhsa_exception_fp_ieee_inexact 0
		.amdhsa_exception_int_div_zero 0
	.end_amdhsa_kernel
	.section	.text._ZL13mul_mat_vec_qIL9ggml_type17ELi1ELb1ELb1EEvPKvS2_PKi31ggml_cuda_mm_fusion_args_devicePfj15HIP_vector_typeIjLj3EEjjjS8_jjjS8_jjjj,"axG",@progbits,_ZL13mul_mat_vec_qIL9ggml_type17ELi1ELb1ELb1EEvPKvS2_PKi31ggml_cuda_mm_fusion_args_devicePfj15HIP_vector_typeIjLj3EEjjjS8_jjjS8_jjjj,comdat
.Lfunc_end169:
	.size	_ZL13mul_mat_vec_qIL9ggml_type17ELi1ELb1ELb1EEvPKvS2_PKi31ggml_cuda_mm_fusion_args_devicePfj15HIP_vector_typeIjLj3EEjjjS8_jjjS8_jjjj, .Lfunc_end169-_ZL13mul_mat_vec_qIL9ggml_type17ELi1ELb1ELb1EEvPKvS2_PKi31ggml_cuda_mm_fusion_args_devicePfj15HIP_vector_typeIjLj3EEjjjS8_jjjS8_jjjj
                                        ; -- End function
	.set _ZL13mul_mat_vec_qIL9ggml_type17ELi1ELb1ELb1EEvPKvS2_PKi31ggml_cuda_mm_fusion_args_devicePfj15HIP_vector_typeIjLj3EEjjjS8_jjjS8_jjjj.num_vgpr, 52
	.set _ZL13mul_mat_vec_qIL9ggml_type17ELi1ELb1ELb1EEvPKvS2_PKi31ggml_cuda_mm_fusion_args_devicePfj15HIP_vector_typeIjLj3EEjjjS8_jjjS8_jjjj.num_agpr, 0
	.set _ZL13mul_mat_vec_qIL9ggml_type17ELi1ELb1ELb1EEvPKvS2_PKi31ggml_cuda_mm_fusion_args_devicePfj15HIP_vector_typeIjLj3EEjjjS8_jjjS8_jjjj.numbered_sgpr, 40
	.set _ZL13mul_mat_vec_qIL9ggml_type17ELi1ELb1ELb1EEvPKvS2_PKi31ggml_cuda_mm_fusion_args_devicePfj15HIP_vector_typeIjLj3EEjjjS8_jjjS8_jjjj.num_named_barrier, 0
	.set _ZL13mul_mat_vec_qIL9ggml_type17ELi1ELb1ELb1EEvPKvS2_PKi31ggml_cuda_mm_fusion_args_devicePfj15HIP_vector_typeIjLj3EEjjjS8_jjjS8_jjjj.private_seg_size, 0
	.set _ZL13mul_mat_vec_qIL9ggml_type17ELi1ELb1ELb1EEvPKvS2_PKi31ggml_cuda_mm_fusion_args_devicePfj15HIP_vector_typeIjLj3EEjjjS8_jjjS8_jjjj.uses_vcc, 1
	.set _ZL13mul_mat_vec_qIL9ggml_type17ELi1ELb1ELb1EEvPKvS2_PKi31ggml_cuda_mm_fusion_args_devicePfj15HIP_vector_typeIjLj3EEjjjS8_jjjS8_jjjj.uses_flat_scratch, 0
	.set _ZL13mul_mat_vec_qIL9ggml_type17ELi1ELb1ELb1EEvPKvS2_PKi31ggml_cuda_mm_fusion_args_devicePfj15HIP_vector_typeIjLj3EEjjjS8_jjjS8_jjjj.has_dyn_sized_stack, 0
	.set _ZL13mul_mat_vec_qIL9ggml_type17ELi1ELb1ELb1EEvPKvS2_PKi31ggml_cuda_mm_fusion_args_devicePfj15HIP_vector_typeIjLj3EEjjjS8_jjjS8_jjjj.has_recursion, 0
	.set _ZL13mul_mat_vec_qIL9ggml_type17ELi1ELb1ELb1EEvPKvS2_PKi31ggml_cuda_mm_fusion_args_devicePfj15HIP_vector_typeIjLj3EEjjjS8_jjjS8_jjjj.has_indirect_call, 0
	.section	.AMDGPU.csdata,"",@progbits
; Kernel info:
; codeLenInByte = 6384
; TotalNumSgprs: 42
; NumVgprs: 52
; ScratchSize: 0
; MemoryBound: 0
; FloatMode: 240
; IeeeMode: 1
; LDSByteSize: 0 bytes/workgroup (compile time only)
; SGPRBlocks: 0
; VGPRBlocks: 6
; NumSGPRsForWavesPerEU: 42
; NumVGPRsForWavesPerEU: 52
; Occupancy: 16
; WaveLimiterHint : 0
; COMPUTE_PGM_RSRC2:SCRATCH_EN: 0
; COMPUTE_PGM_RSRC2:USER_SGPR: 6
; COMPUTE_PGM_RSRC2:TRAP_HANDLER: 0
; COMPUTE_PGM_RSRC2:TGID_X_EN: 1
; COMPUTE_PGM_RSRC2:TGID_Y_EN: 1
; COMPUTE_PGM_RSRC2:TGID_Z_EN: 1
; COMPUTE_PGM_RSRC2:TIDIG_COMP_CNT: 1
	.section	.text._ZL13mul_mat_vec_qIL9ggml_type17ELi1ELb0ELb1EEvPKvS2_PKi31ggml_cuda_mm_fusion_args_devicePfj15HIP_vector_typeIjLj3EEjjjS8_jjjS8_jjjj,"axG",@progbits,_ZL13mul_mat_vec_qIL9ggml_type17ELi1ELb0ELb1EEvPKvS2_PKi31ggml_cuda_mm_fusion_args_devicePfj15HIP_vector_typeIjLj3EEjjjS8_jjjS8_jjjj,comdat
	.globl	_ZL13mul_mat_vec_qIL9ggml_type17ELi1ELb0ELb1EEvPKvS2_PKi31ggml_cuda_mm_fusion_args_devicePfj15HIP_vector_typeIjLj3EEjjjS8_jjjS8_jjjj ; -- Begin function _ZL13mul_mat_vec_qIL9ggml_type17ELi1ELb0ELb1EEvPKvS2_PKi31ggml_cuda_mm_fusion_args_devicePfj15HIP_vector_typeIjLj3EEjjjS8_jjjS8_jjjj
	.p2align	8
	.type	_ZL13mul_mat_vec_qIL9ggml_type17ELi1ELb0ELb1EEvPKvS2_PKi31ggml_cuda_mm_fusion_args_devicePfj15HIP_vector_typeIjLj3EEjjjS8_jjjS8_jjjj,@function
_ZL13mul_mat_vec_qIL9ggml_type17ELi1ELb0ELb1EEvPKvS2_PKi31ggml_cuda_mm_fusion_args_devicePfj15HIP_vector_typeIjLj3EEjjjS8_jjjS8_jjjj: ; @_ZL13mul_mat_vec_qIL9ggml_type17ELi1ELb0ELb1EEvPKvS2_PKi31ggml_cuda_mm_fusion_args_devicePfj15HIP_vector_typeIjLj3EEjjjS8_jjjS8_jjjj
; %bb.0:
	s_clause 0x1
	s_load_dwordx2 s[0:1], s[4:5], 0x10
	s_load_dwordx4 s[16:19], s[4:5], 0x40
	s_mov_b32 s10, s7
	s_waitcnt lgkmcnt(0)
	s_cmp_lg_u64 s[0:1], 0
	s_cselect_b32 s7, -1, 0
	s_cmp_eq_u64 s[0:1], 0
	s_cbranch_scc1 .LBB170_5
; %bb.1:
	s_mov_b32 s11, 0
	s_lshl_b64 s[2:3], s[10:11], 2
	s_add_u32 s0, s0, s2
	s_addc_u32 s1, s1, s3
	s_load_dword s20, s[0:1], 0x0
	s_clause 0x1
	s_load_dwordx4 s[0:3], s[4:5], 0x68
	s_load_dword s21, s[4:5], 0x50
	s_cbranch_execnz .LBB170_3
.LBB170_2:
	s_load_dwordx2 s[12:13], s[4:5], 0x5c
	s_waitcnt lgkmcnt(0)
	s_mul_hi_u32 s9, s12, s10
	s_add_i32 s9, s10, s9
	s_lshr_b32 s20, s9, s13
.LBB170_3:
	s_load_dword s11, s[4:5], 0x78
	s_andn2_b32 vcc_lo, exec_lo, s7
	s_cbranch_vccnz .LBB170_6
; %bb.4:
	s_mul_hi_u32 s7, s17, s10
	s_add_i32 s7, s10, s7
	s_lshr_b32 s7, s7, s18
	s_mul_i32 s7, s7, s19
	s_sub_i32 s17, s10, s7
	s_branch .LBB170_7
.LBB170_5:
                                        ; implicit-def: $sgpr20
	s_clause 0x1
	s_load_dwordx4 s[0:3], s[4:5], 0x68
	s_load_dword s21, s[4:5], 0x50
	s_branch .LBB170_2
.LBB170_6:
	s_mov_b32 s17, s10
.LBB170_7:
	s_load_dwordx4 s[12:15], s[4:5], 0x80
	v_lshl_or_b32 v2, v1, 5, v0
	v_mov_b32_e32 v13, 0
	s_lshr_b32 s9, s16, 8
	s_mov_b32 s7, exec_lo
	v_lshrrev_b32_e32 v12, 3, v2
	v_cmpx_gt_u32_e64 s9, v12
	s_cbranch_execz .LBB170_11
; %bb.8:
	v_lshrrev_b32_e32 v2, 3, v2
	s_waitcnt lgkmcnt(0)
	s_mul_i32 s1, s17, s1
	v_and_b32_e32 v14, 7, v0
	s_mul_hi_u32 s17, s1, 36
	s_mul_i32 s16, s1, 36
	s_mul_i32 s1, s13, s8
	v_mad_u64_u32 v[2:3], null, 0x120, v2, s[16:17]
	s_load_dwordx4 s[16:19], s[4:5], 0x0
	v_lshlrev_b32_e32 v4, 1, v0
	s_mul_i32 s21, s21, s6
	v_mov_b32_e32 v15, 0
	v_mov_b32_e32 v13, 0
	v_mad_u64_u32 v[2:3], null, s1, 36, v[2:3]
	v_and_b32_e32 v4, 14, v4
	s_mul_hi_u32 s1, s3, s8
	s_mov_b32 s3, 0
	s_add_i32 s1, s8, s1
	v_lshlrev_b32_e32 v4, 1, v4
	v_mad_u64_u32 v[2:3], null, v14, 36, v[2:3]
	s_lshr_b32 s1, s1, s11
	s_mul_i32 s11, s20, s0
	s_mul_i32 s0, s1, s12
	v_lshlrev_b32_e32 v16, 1, v4
	s_add_i32 s0, s0, s21
	s_waitcnt lgkmcnt(0)
	v_add_co_u32 v2, vcc_lo, s18, v2
	v_add_co_ci_u32_e64 v3, null, s19, v3, vcc_lo
	s_add_i32 s11, s11, s0
	v_add_co_u32 v10, vcc_lo, v2, 32
	v_add_co_ci_u32_e64 v11, null, 0, v3, vcc_lo
.LBB170_9:                              ; =>This Inner Loop Header: Depth=1
	v_add_nc_u32_e32 v17, s11, v12
	s_clause 0x1
	global_load_dwordx4 v[2:5], v[10:11], off offset:-32
	global_load_dwordx4 v[6:9], v[10:11], off offset:-16
	s_getpc_b64 s[0:1]
	s_add_u32 s0, s0, _ZL10iq2xs_grid@rel32@lo+4
	s_addc_u32 s1, s1, _ZL10iq2xs_grid@rel32@hi+12
	v_add_nc_u32_e32 v12, 4, v12
	v_mad_i64_i32 v[18:19], null, 0x4a, v17, s[16:17]
	v_add_co_u32 v20, vcc_lo, v18, v16
	v_add_co_ci_u32_e64 v21, null, 0, v19, vcc_lo
	v_add_co_u32 v22, vcc_lo, v18, v14
	v_add_co_ci_u32_e64 v23, null, 0, v19, vcc_lo
	s_clause 0x2
	global_load_dwordx2 v[20:21], v[20:21], off offset:2
	global_load_ubyte v17, v[22:23], off offset:66
	global_load_ushort v28, v[18:19], off
	s_waitcnt vmcnt(4)
	v_cvt_f32_f16_e32 v2, v2
	s_waitcnt vmcnt(2)
	v_and_b32_e32 v18, 0x1ff, v20
	v_lshrrev_b32_e32 v19, 13, v20
	v_and_b32_e32 v23, 0x1ff, v21
	v_lshrrev_b32_e32 v24, 13, v21
	v_lshrrev_b32_e32 v22, 25, v20
	;; [unrolled: 1-line block ×3, first 2 shown]
	v_lshlrev_b32_e32 v18, 3, v18
	v_and_b32_e32 v26, 0xff8, v19
	v_lshlrev_b32_e32 v27, 3, v23
	v_and_b32_e32 v34, 0xff8, v24
	v_bcnt_u32_b32 v32, v22, 0
	v_bcnt_u32_b32 v35, v25, 0
	s_clause 0x3
	global_load_dwordx2 v[18:19], v18, s[0:1]
	global_load_dwordx2 v[22:23], v26, s[0:1]
	;; [unrolled: 1-line block ×4, first 2 shown]
	v_bfe_u32 v29, v20, 9, 7
	v_bfe_u32 v30, v21, 9, 7
	v_and_b32_e32 v32, 1, v32
	v_and_b32_e32 v34, 1, v35
	v_bcnt_u32_b32 v31, v29, 0
	v_bcnt_u32_b32 v33, v30, 0
	v_alignbit_b32 v20, v32, v20, 25
	v_alignbit_b32 v21, v34, v21, 25
	v_and_b32_e32 v31, 1, v31
	v_and_b32_e32 v33, 1, v33
	v_mul_lo_u32 v20, 0x1010101, v20
	v_mul_lo_u32 v21, 0x1010101, v21
	v_lshl_or_b32 v29, v31, 7, v29
	v_lshl_or_b32 v30, v33, 7, v30
	v_mul_lo_u32 v29, 0x1010101, v29
	v_and_b32_e32 v35, 0x8040201, v20
	v_and_b32_e32 v38, 0x80402010, v20
	v_mul_lo_u32 v30, 0x1010101, v30
	v_lshrrev_b32_e32 v36, 18, v20
	v_and_b32_e32 v43, 0x8040201, v21
	v_bfe_i32 v37, v20, 0, 1
	v_lshrrev_b16 v51, 4, v38
	v_and_b32_e32 v31, 0x8040201, v29
	v_and_b32_e32 v34, 0x80402010, v29
	v_lshrrev_b32_e32 v32, 18, v29
	v_and_b32_e32 v39, 0x8040201, v30
	v_and_b32_e32 v42, 0x80402010, v30
	v_cmp_ne_u16_sdwa s0, v31, v15 src0_sel:BYTE_1 src1_sel:DWORD
	v_lshrrev_b16 v48, 4, v34
	v_bfe_i32 v33, v29, 0, 1
	v_lshrrev_b32_e32 v29, 22, v29
	v_bfe_i32 v32, v32, 0, 1
	v_cndmask_b32_e64 v47, 0, -1, s0
	v_cmp_ne_u16_sdwa s0, v31, v15 src0_sel:BYTE_3 src1_sel:DWORD
	v_bfe_i32 v48, v48, 0, 1
	v_bfe_i32 v29, v29, 0, 1
	v_lshrrev_b32_e32 v20, 22, v20
	v_lshlrev_b16 v47, 8, v47
	v_cndmask_b32_e64 v31, 0, -1, s0
	v_cmp_ne_u16_sdwa s0, v34, v15 src0_sel:BYTE_1 src1_sel:DWORD
	v_bfe_i32 v36, v36, 0, 1
	v_lshrrev_b16 v54, 4, v42
	v_or_b32_sdwa v59, v33, v47 dst_sel:DWORD dst_unused:UNUSED_PAD src0_sel:BYTE_0 src1_sel:DWORD
	v_lshlrev_b16 v31, 8, v31
	v_cndmask_b32_e64 v49, 0, -1, s0
	v_cmp_ne_u16_sdwa s0, v34, v15 src0_sel:BYTE_3 src1_sel:DWORD
	v_lshrrev_b32_e32 v40, 18, v30
	v_and_b32_e32 v46, 0x80402010, v21
	v_or_b32_sdwa v60, v32, v31 dst_sel:WORD_1 dst_unused:UNUSED_PAD src0_sel:BYTE_0 src1_sel:DWORD
	v_lshlrev_b16 v49, 8, v49
	v_cndmask_b32_e64 v34, 0, -1, s0
	v_cmp_ne_u16_sdwa s0, v35, v15 src0_sel:BYTE_1 src1_sel:DWORD
	v_bfe_i32 v20, v20, 0, 1
	v_or_b32_sdwa v59, v59, v60 dst_sel:DWORD dst_unused:UNUSED_PAD src0_sel:WORD_0 src1_sel:DWORD
	v_or_b32_sdwa v61, v48, v49 dst_sel:DWORD dst_unused:UNUSED_PAD src0_sel:BYTE_0 src1_sel:DWORD
	v_lshlrev_b16 v34, 8, v34
	v_cndmask_b32_e64 v50, 0, -1, s0
	v_cmp_ne_u16_sdwa s0, v35, v15 src0_sel:BYTE_3 src1_sel:DWORD
	v_bfe_i32 v51, v51, 0, 1
	v_bfe_i32 v41, v30, 0, 1
	v_or_b32_sdwa v60, v29, v34 dst_sel:WORD_1 dst_unused:UNUSED_PAD src0_sel:BYTE_0 src1_sel:DWORD
	v_lshlrev_b16 v50, 8, v50
	v_cndmask_b32_e64 v35, 0, -1, s0
	v_cmp_ne_u16_sdwa s0, v38, v15 src0_sel:BYTE_1 src1_sel:DWORD
	v_lshrrev_b32_e32 v30, 22, v30
	v_or_b32_sdwa v60, v61, v60 dst_sel:DWORD dst_unused:UNUSED_PAD src0_sel:WORD_0 src1_sel:DWORD
	v_or_b32_sdwa v61, v37, v50 dst_sel:DWORD dst_unused:UNUSED_PAD src0_sel:BYTE_0 src1_sel:DWORD
	v_lshlrev_b16 v35, 8, v35
	v_cndmask_b32_e64 v52, 0, -1, s0
	v_cmp_ne_u16_sdwa s0, v38, v15 src0_sel:BYTE_3 src1_sel:DWORD
	v_bfe_i32 v40, v40, 0, 1
	v_lshrrev_b32_e32 v44, 18, v21
	v_bfe_i32 v30, v30, 0, 1
	v_lshlrev_b16 v52, 8, v52
	v_cndmask_b32_e64 v38, 0, -1, s0
	v_cmp_ne_u16_sdwa s0, v39, v15 src0_sel:BYTE_1 src1_sel:DWORD
	v_bfe_i32 v54, v54, 0, 1
	v_bfe_i32 v45, v21, 0, 1
	v_lshrrev_b32_e32 v21, 22, v21
	v_lshlrev_b16 v38, 8, v38
	v_cndmask_b32_e64 v53, 0, -1, s0
	v_cmp_ne_u16_sdwa s0, v39, v15 src0_sel:BYTE_3 src1_sel:DWORD
	v_bfe_i32 v44, v44, 0, 1
	v_lshrrev_b16 v57, 4, v46
	v_bfe_i32 v21, v21, 0, 1
	v_lshlrev_b16 v53, 8, v53
	v_cndmask_b32_e64 v39, 0, -1, s0
	v_cmp_ne_u16_sdwa s0, v42, v15 src0_sel:BYTE_1 src1_sel:DWORD
	v_bfe_i32 v57, v57, 0, 1
	v_lshlrev_b16 v33, 8, v33
	v_lshlrev_b16 v48, 8, v48
	;; [unrolled: 1-line block ×3, first 2 shown]
	v_cndmask_b32_e64 v55, 0, -1, s0
	v_cmp_ne_u16_sdwa s0, v42, v15 src0_sel:BYTE_3 src1_sel:DWORD
	v_lshlrev_b16 v37, 8, v37
	v_lshlrev_b16 v32, 8, v32
	;; [unrolled: 1-line block ×4, first 2 shown]
	v_cndmask_b32_e64 v42, 0, -1, s0
	v_cmp_ne_u16_sdwa s0, v43, v15 src0_sel:BYTE_1 src1_sel:DWORD
	v_lshlrev_b16 v42, 8, v42
	v_cndmask_b32_e64 v56, 0, -1, s0
	v_cmp_ne_u16_sdwa s0, v43, v15 src0_sel:BYTE_3 src1_sel:DWORD
	v_lshlrev_b16 v56, 8, v56
	v_cndmask_b32_e64 v43, 0, -1, s0
	v_cmp_ne_u16_sdwa s0, v46, v15 src0_sel:BYTE_1 src1_sel:DWORD
	v_lshlrev_b16 v43, 8, v43
	v_cndmask_b32_e64 v58, 0, -1, s0
	v_cmp_ne_u16_sdwa s0, v46, v15 src0_sel:BYTE_3 src1_sel:DWORD
	v_lshlrev_b16 v58, 8, v58
	v_cndmask_b32_e64 v46, 0, -1, s0
	v_cmp_le_u32_e64 s0, s9, v12
	v_lshlrev_b16 v46, 8, v46
	s_or_b32 s3, s0, s3
	s_waitcnt vmcnt(3)
	v_xor_b32_e32 v18, v18, v59
	v_or_b32_sdwa v59, v36, v35 dst_sel:WORD_1 dst_unused:UNUSED_PAD src0_sel:BYTE_0 src1_sel:DWORD
	v_xor_b32_e32 v19, v19, v60
	v_or_b32_sdwa v60, v51, v52 dst_sel:DWORD dst_unused:UNUSED_PAD src0_sel:BYTE_0 src1_sel:DWORD
	v_lshlrev_b16 v51, 8, v51
	v_lshlrev_b16 v36, 8, v36
	v_or_b32_sdwa v59, v61, v59 dst_sel:DWORD dst_unused:UNUSED_PAD src0_sel:WORD_0 src1_sel:DWORD
	v_or_b32_sdwa v61, v20, v38 dst_sel:WORD_1 dst_unused:UNUSED_PAD src0_sel:BYTE_0 src1_sel:DWORD
	v_lshlrev_b16 v20, 8, v20
	s_waitcnt vmcnt(2)
	v_xor_b32_e32 v22, v22, v59
	v_or_b32_sdwa v60, v60, v61 dst_sel:DWORD dst_unused:UNUSED_PAD src0_sel:WORD_0 src1_sel:DWORD
	v_or_b32_sdwa v61, v41, v53 dst_sel:DWORD dst_unused:UNUSED_PAD src0_sel:BYTE_0 src1_sel:DWORD
	v_or_b32_sdwa v59, v40, v39 dst_sel:WORD_1 dst_unused:UNUSED_PAD src0_sel:BYTE_0 src1_sel:DWORD
	v_lshlrev_b16 v41, 8, v41
	v_lshlrev_b16 v40, 8, v40
	v_xor_b32_e32 v23, v23, v60
	v_or_b32_sdwa v60, v54, v55 dst_sel:DWORD dst_unused:UNUSED_PAD src0_sel:BYTE_0 src1_sel:DWORD
	v_or_b32_sdwa v59, v61, v59 dst_sel:DWORD dst_unused:UNUSED_PAD src0_sel:WORD_0 src1_sel:DWORD
	v_or_b32_sdwa v61, v30, v42 dst_sel:WORD_1 dst_unused:UNUSED_PAD src0_sel:BYTE_0 src1_sel:DWORD
	v_lshlrev_b16 v54, 8, v54
	v_lshlrev_b16 v30, 8, v30
	s_waitcnt vmcnt(1)
	v_xor_b32_e32 v24, v24, v59
	v_or_b32_sdwa v60, v60, v61 dst_sel:DWORD dst_unused:UNUSED_PAD src0_sel:WORD_0 src1_sel:DWORD
	v_or_b32_sdwa v61, v45, v56 dst_sel:DWORD dst_unused:UNUSED_PAD src0_sel:BYTE_0 src1_sel:DWORD
	v_or_b32_sdwa v59, v44, v43 dst_sel:WORD_1 dst_unused:UNUSED_PAD src0_sel:BYTE_0 src1_sel:DWORD
	v_lshlrev_b16 v45, 8, v45
	v_lshlrev_b16 v44, 8, v44
	v_xor_b32_e32 v25, v25, v60
	v_or_b32_sdwa v60, v57, v58 dst_sel:DWORD dst_unused:UNUSED_PAD src0_sel:BYTE_0 src1_sel:DWORD
	v_or_b32_sdwa v59, v61, v59 dst_sel:DWORD dst_unused:UNUSED_PAD src0_sel:WORD_0 src1_sel:DWORD
	v_or_b32_sdwa v61, v21, v46 dst_sel:WORD_1 dst_unused:UNUSED_PAD src0_sel:BYTE_0 src1_sel:DWORD
	v_lshlrev_b16 v57, 8, v57
	v_lshlrev_b16 v21, 8, v21
	s_waitcnt vmcnt(0)
	v_xor_b32_e32 v26, v26, v59
	v_or_b32_sdwa v60, v60, v61 dst_sel:DWORD dst_unused:UNUSED_PAD src0_sel:WORD_0 src1_sel:DWORD
	global_load_dword v61, v[10:11], off
	v_mov_b32_e32 v59, 0
	v_add_co_u32 v10, vcc_lo, 0x480, v10
	v_xor_b32_e32 v27, v27, v60
	v_and_b32_e32 v60, 0xffffff00, v18
	v_add_co_ci_u32_e64 v11, null, 0, v11, vcc_lo
	v_sub_nc_i16 v47, v60, v47 clamp
	v_lshlrev_b16 v60, 8, v18
	v_lshrrev_b32_e32 v18, 16, v18
	v_sub_nc_i16 v33, v60, v33 clamp
	v_and_b32_e32 v60, 0xffffff00, v19
	v_perm_b32 v33, v33, v47, 0xc0c0105
	v_sub_nc_i16 v49, v60, v49 clamp
	v_lshlrev_b16 v60, 8, v19
	v_lshrrev_b32_e32 v19, 16, v19
	v_and_b32_e32 v47, 0xffffff00, v18
	v_lshlrev_b16 v18, 8, v18
	v_sub_nc_i16 v48, v60, v48 clamp
	v_and_b32_e32 v60, 0xffffff00, v22
	v_sub_nc_i16 v31, v47, v31 clamp
	v_and_b32_e32 v47, 0xffffff00, v19
	v_lshlrev_b16 v19, 8, v19
	v_sub_nc_i16 v18, v18, v32 clamp
	v_sub_nc_i16 v50, v60, v50 clamp
	v_lshlrev_b16 v60, 8, v22
	v_sub_nc_i16 v34, v47, v34 clamp
	v_lshrrev_b32_e32 v22, 16, v22
	v_perm_b32 v48, v48, v49, 0xc0c0105
	v_sub_nc_i16 v19, v19, v29 clamp
	v_sub_nc_i16 v37, v60, v37 clamp
	v_and_b32_e32 v60, 0xffffff00, v23
	v_and_b32_e32 v32, 0xffffff00, v22
	v_lshlrev_b16 v22, 8, v22
	v_perm_b32 v18, v18, v31, 0xc0c0105
	v_perm_b32 v37, v37, v50, 0xc0c0105
	v_sub_nc_i16 v52, v60, v52 clamp
	v_lshlrev_b16 v60, 8, v23
	v_lshrrev_b32_e32 v23, 16, v23
	v_sub_nc_i16 v32, v32, v35 clamp
	v_sub_nc_i16 v22, v22, v36 clamp
	v_perm_b32 v19, v19, v34, 0xc0c0105
	v_sub_nc_i16 v51, v60, v51 clamp
	v_and_b32_e32 v60, 0xffffff00, v24
	v_and_b32_e32 v49, 0xffffff00, v23
	v_lshlrev_b16 v23, 8, v23
	v_lshl_or_b32 v18, v18, 16, v33
	v_perm_b32 v22, v22, v32, 0xc0c0105
	v_sub_nc_i16 v53, v60, v53 clamp
	v_lshlrev_b16 v60, 8, v24
	v_lshrrev_b32_e32 v24, 16, v24
	v_sub_nc_i16 v20, v23, v20 clamp
	v_sub_nc_i16 v38, v49, v38 clamp
	v_lshl_or_b32 v19, v19, 16, v48
	v_sub_nc_i16 v41, v60, v41 clamp
	v_and_b32_e32 v60, 0xffffff00, v25
	v_and_b32_e32 v47, 0xffffff00, v24
	v_lshlrev_b16 v24, 8, v24
	v_dot4c_i32_i8 v59, v18, v3
	v_perm_b32 v23, v41, v53, 0xc0c0105
	v_sub_nc_i16 v55, v60, v55 clamp
	v_lshlrev_b16 v60, 8, v25
	v_lshrrev_b32_e32 v25, 16, v25
	v_sub_nc_i16 v39, v47, v39 clamp
	v_sub_nc_i16 v24, v24, v40 clamp
	v_perm_b32 v36, v51, v52, 0xc0c0105
	v_sub_nc_i16 v54, v60, v54 clamp
	v_and_b32_e32 v60, 0xffffff00, v26
	v_and_b32_e32 v29, 0xffffff00, v25
	v_lshlrev_b16 v25, 8, v25
	v_perm_b32 v24, v24, v39, 0xc0c0105
	v_perm_b32 v40, v54, v55, 0xc0c0105
	v_sub_nc_i16 v56, v60, v56 clamp
	v_lshlrev_b16 v60, 8, v26
	v_lshrrev_b32_e32 v26, 16, v26
	v_sub_nc_i16 v29, v29, v42 clamp
	v_sub_nc_i16 v25, v25, v30 clamp
	v_lshl_or_b32 v23, v24, 16, v23
	v_sub_nc_i16 v45, v60, v45 clamp
	v_and_b32_e32 v60, 0xffffff00, v27
	v_and_b32_e32 v50, 0xffffff00, v26
	v_lshlrev_b16 v26, 8, v26
	v_perm_b32 v25, v25, v29, 0xc0c0105
	v_perm_b32 v30, v45, v56, 0xc0c0105
	v_sub_nc_i16 v58, v60, v58 clamp
	v_lshlrev_b16 v60, 8, v27
	v_lshrrev_b32_e32 v27, 16, v27
	v_sub_nc_i16 v41, v50, v43 clamp
	v_sub_nc_i16 v26, v26, v44 clamp
	v_lshl_or_b32 v24, v25, 16, v40
	v_sub_nc_i16 v57, v60, v57 clamp
	v_mov_b32_e32 v60, 0
	v_and_b32_e32 v35, 0xffffff00, v27
	v_lshlrev_b16 v27, 8, v27
	v_perm_b32 v26, v26, v41, 0xc0c0105
	v_perm_b32 v42, v57, v58, 0xc0c0105
	v_dot4c_i32_i8 v60, v23, v7
	v_sub_nc_i16 v35, v35, v46 clamp
	v_sub_nc_i16 v21, v27, v21 clamp
	v_perm_b32 v20, v20, v38, 0xc0c0105
	v_lshl_or_b32 v3, v22, 16, v37
	v_lshl_or_b32 v7, v26, 16, v30
	v_dot4c_i32_i8 v59, v19, v4
	v_perm_b32 v21, v21, v35, 0xc0c0105
	v_dot4c_i32_i8 v60, v24, v8
	v_lshl_or_b32 v4, v20, 16, v36
	v_dot4c_i32_i8 v59, v3, v5
	v_lshl_or_b32 v8, v21, 16, v42
	v_dot4c_i32_i8 v60, v7, v9
	v_dot4c_i32_i8 v59, v4, v6
	v_and_b32_e32 v4, 15, v17
	v_lshrrev_b32_e32 v6, 4, v17
	v_mul_lo_u32 v4, v59, v4
	s_waitcnt vmcnt(0)
	v_dot4c_i32_i8 v60, v8, v61
	v_add_nc_u32_e32 v3, v60, v59
	v_lshrrev_b32_e32 v5, 31, v3
	v_add_nc_u32_e32 v3, v3, v5
	v_mul_lo_u32 v5, v60, v6
	v_ashrrev_i32_e32 v3, 1, v3
	v_add3_u32 v3, v5, v4, v3
	v_ashrrev_i32_e32 v4, 31, v3
	v_lshrrev_b32_e32 v4, 30, v4
	v_add_nc_u32_e32 v3, v3, v4
	v_cvt_f32_f16_e32 v4, v28
	v_ashrrev_i32_e32 v3, 2, v3
	v_mul_f32_e32 v2, v4, v2
	v_cvt_f32_i32_e32 v3, v3
	v_fmac_f32_e32 v13, v2, v3
	s_andn2_b32 exec_lo, exec_lo, s3
	s_cbranch_execnz .LBB170_9
; %bb.10:
	s_or_b32 exec_lo, exec_lo, s3
.LBB170_11:
	s_or_b32 exec_lo, exec_lo, s7
	s_waitcnt lgkmcnt(0)
	; wave barrier
	buffer_gl0_inv
	s_mov_b32 s0, exec_lo
	v_cmpx_eq_u32_e32 0, v1
	s_cbranch_execz .LBB170_14
; %bb.12:
	v_mbcnt_lo_u32_b32 v1, -1, 0
	v_xor_b32_e32 v2, 16, v1
	v_xor_b32_e32 v3, 8, v1
	;; [unrolled: 1-line block ×3, first 2 shown]
	v_cmp_gt_i32_e32 vcc_lo, 32, v2
	v_cndmask_b32_e32 v2, v1, v2, vcc_lo
	v_cmp_gt_i32_e32 vcc_lo, 32, v3
	v_lshlrev_b32_e32 v2, 2, v2
	v_cndmask_b32_e32 v3, v1, v3, vcc_lo
	v_cmp_gt_i32_e32 vcc_lo, 32, v4
	ds_bpermute_b32 v2, v2, v13
	v_lshlrev_b32_e32 v3, 2, v3
	v_cndmask_b32_e32 v4, v1, v4, vcc_lo
	v_lshlrev_b32_e32 v4, 2, v4
	s_waitcnt lgkmcnt(0)
	v_add_f32_e32 v2, v13, v2
	ds_bpermute_b32 v3, v3, v2
	s_waitcnt lgkmcnt(0)
	v_add_f32_e32 v2, v2, v3
	ds_bpermute_b32 v3, v4, v2
	v_xor_b32_e32 v4, 2, v1
	v_cmp_gt_i32_e32 vcc_lo, 32, v4
	v_cndmask_b32_e32 v4, v1, v4, vcc_lo
	v_lshlrev_b32_e32 v4, 2, v4
	s_waitcnt lgkmcnt(0)
	v_add_f32_e32 v2, v2, v3
	ds_bpermute_b32 v3, v4, v2
	v_xor_b32_e32 v4, 1, v1
	v_cmp_gt_i32_e32 vcc_lo, 32, v4
	v_cndmask_b32_e32 v1, v1, v4, vcc_lo
	v_cmp_eq_u32_e32 vcc_lo, 0, v0
	v_lshlrev_b32_e32 v4, 2, v1
	s_waitcnt lgkmcnt(0)
	v_add_f32_e32 v1, v2, v3
	ds_bpermute_b32 v2, v4, v1
	s_and_b32 exec_lo, exec_lo, vcc_lo
	s_cbranch_execz .LBB170_14
; %bb.13:
	s_load_dwordx2 s[0:1], s[4:5], 0x38
	s_mul_i32 s2, s2, s10
	s_mul_i32 s3, s14, s8
	s_add_i32 s2, s2, s6
	s_waitcnt lgkmcnt(0)
	v_add_f32_e32 v0, v1, v2
	s_add_i32 s2, s2, s3
	s_mov_b32 s3, 0
	v_mov_b32_e32 v1, 0
	s_lshl_b64 s[2:3], s[2:3], 2
	s_add_u32 s0, s0, s2
	s_addc_u32 s1, s1, s3
	global_store_dword v1, v0, s[0:1]
.LBB170_14:
	s_endpgm
	.section	.rodata,"a",@progbits
	.p2align	6, 0x0
	.amdhsa_kernel _ZL13mul_mat_vec_qIL9ggml_type17ELi1ELb0ELb1EEvPKvS2_PKi31ggml_cuda_mm_fusion_args_devicePfj15HIP_vector_typeIjLj3EEjjjS8_jjjS8_jjjj
		.amdhsa_group_segment_fixed_size 0
		.amdhsa_private_segment_fixed_size 0
		.amdhsa_kernarg_size 144
		.amdhsa_user_sgpr_count 6
		.amdhsa_user_sgpr_private_segment_buffer 1
		.amdhsa_user_sgpr_dispatch_ptr 0
		.amdhsa_user_sgpr_queue_ptr 0
		.amdhsa_user_sgpr_kernarg_segment_ptr 1
		.amdhsa_user_sgpr_dispatch_id 0
		.amdhsa_user_sgpr_flat_scratch_init 0
		.amdhsa_user_sgpr_private_segment_size 0
		.amdhsa_wavefront_size32 1
		.amdhsa_uses_dynamic_stack 0
		.amdhsa_system_sgpr_private_segment_wavefront_offset 0
		.amdhsa_system_sgpr_workgroup_id_x 1
		.amdhsa_system_sgpr_workgroup_id_y 1
		.amdhsa_system_sgpr_workgroup_id_z 1
		.amdhsa_system_sgpr_workgroup_info 0
		.amdhsa_system_vgpr_workitem_id 1
		.amdhsa_next_free_vgpr 62
		.amdhsa_next_free_sgpr 22
		.amdhsa_reserve_vcc 1
		.amdhsa_reserve_flat_scratch 0
		.amdhsa_float_round_mode_32 0
		.amdhsa_float_round_mode_16_64 0
		.amdhsa_float_denorm_mode_32 3
		.amdhsa_float_denorm_mode_16_64 3
		.amdhsa_dx10_clamp 1
		.amdhsa_ieee_mode 1
		.amdhsa_fp16_overflow 0
		.amdhsa_workgroup_processor_mode 1
		.amdhsa_memory_ordered 1
		.amdhsa_forward_progress 1
		.amdhsa_shared_vgpr_count 0
		.amdhsa_exception_fp_ieee_invalid_op 0
		.amdhsa_exception_fp_denorm_src 0
		.amdhsa_exception_fp_ieee_div_zero 0
		.amdhsa_exception_fp_ieee_overflow 0
		.amdhsa_exception_fp_ieee_underflow 0
		.amdhsa_exception_fp_ieee_inexact 0
		.amdhsa_exception_int_div_zero 0
	.end_amdhsa_kernel
	.section	.text._ZL13mul_mat_vec_qIL9ggml_type17ELi1ELb0ELb1EEvPKvS2_PKi31ggml_cuda_mm_fusion_args_devicePfj15HIP_vector_typeIjLj3EEjjjS8_jjjS8_jjjj,"axG",@progbits,_ZL13mul_mat_vec_qIL9ggml_type17ELi1ELb0ELb1EEvPKvS2_PKi31ggml_cuda_mm_fusion_args_devicePfj15HIP_vector_typeIjLj3EEjjjS8_jjjS8_jjjj,comdat
.Lfunc_end170:
	.size	_ZL13mul_mat_vec_qIL9ggml_type17ELi1ELb0ELb1EEvPKvS2_PKi31ggml_cuda_mm_fusion_args_devicePfj15HIP_vector_typeIjLj3EEjjjS8_jjjS8_jjjj, .Lfunc_end170-_ZL13mul_mat_vec_qIL9ggml_type17ELi1ELb0ELb1EEvPKvS2_PKi31ggml_cuda_mm_fusion_args_devicePfj15HIP_vector_typeIjLj3EEjjjS8_jjjS8_jjjj
                                        ; -- End function
	.set _ZL13mul_mat_vec_qIL9ggml_type17ELi1ELb0ELb1EEvPKvS2_PKi31ggml_cuda_mm_fusion_args_devicePfj15HIP_vector_typeIjLj3EEjjjS8_jjjS8_jjjj.num_vgpr, 62
	.set _ZL13mul_mat_vec_qIL9ggml_type17ELi1ELb0ELb1EEvPKvS2_PKi31ggml_cuda_mm_fusion_args_devicePfj15HIP_vector_typeIjLj3EEjjjS8_jjjS8_jjjj.num_agpr, 0
	.set _ZL13mul_mat_vec_qIL9ggml_type17ELi1ELb0ELb1EEvPKvS2_PKi31ggml_cuda_mm_fusion_args_devicePfj15HIP_vector_typeIjLj3EEjjjS8_jjjS8_jjjj.numbered_sgpr, 22
	.set _ZL13mul_mat_vec_qIL9ggml_type17ELi1ELb0ELb1EEvPKvS2_PKi31ggml_cuda_mm_fusion_args_devicePfj15HIP_vector_typeIjLj3EEjjjS8_jjjS8_jjjj.num_named_barrier, 0
	.set _ZL13mul_mat_vec_qIL9ggml_type17ELi1ELb0ELb1EEvPKvS2_PKi31ggml_cuda_mm_fusion_args_devicePfj15HIP_vector_typeIjLj3EEjjjS8_jjjS8_jjjj.private_seg_size, 0
	.set _ZL13mul_mat_vec_qIL9ggml_type17ELi1ELb0ELb1EEvPKvS2_PKi31ggml_cuda_mm_fusion_args_devicePfj15HIP_vector_typeIjLj3EEjjjS8_jjjS8_jjjj.uses_vcc, 1
	.set _ZL13mul_mat_vec_qIL9ggml_type17ELi1ELb0ELb1EEvPKvS2_PKi31ggml_cuda_mm_fusion_args_devicePfj15HIP_vector_typeIjLj3EEjjjS8_jjjS8_jjjj.uses_flat_scratch, 0
	.set _ZL13mul_mat_vec_qIL9ggml_type17ELi1ELb0ELb1EEvPKvS2_PKi31ggml_cuda_mm_fusion_args_devicePfj15HIP_vector_typeIjLj3EEjjjS8_jjjS8_jjjj.has_dyn_sized_stack, 0
	.set _ZL13mul_mat_vec_qIL9ggml_type17ELi1ELb0ELb1EEvPKvS2_PKi31ggml_cuda_mm_fusion_args_devicePfj15HIP_vector_typeIjLj3EEjjjS8_jjjS8_jjjj.has_recursion, 0
	.set _ZL13mul_mat_vec_qIL9ggml_type17ELi1ELb0ELb1EEvPKvS2_PKi31ggml_cuda_mm_fusion_args_devicePfj15HIP_vector_typeIjLj3EEjjjS8_jjjS8_jjjj.has_indirect_call, 0
	.section	.AMDGPU.csdata,"",@progbits
; Kernel info:
; codeLenInByte = 3004
; TotalNumSgprs: 24
; NumVgprs: 62
; ScratchSize: 0
; MemoryBound: 0
; FloatMode: 240
; IeeeMode: 1
; LDSByteSize: 0 bytes/workgroup (compile time only)
; SGPRBlocks: 0
; VGPRBlocks: 7
; NumSGPRsForWavesPerEU: 24
; NumVGPRsForWavesPerEU: 62
; Occupancy: 16
; WaveLimiterHint : 0
; COMPUTE_PGM_RSRC2:SCRATCH_EN: 0
; COMPUTE_PGM_RSRC2:USER_SGPR: 6
; COMPUTE_PGM_RSRC2:TRAP_HANDLER: 0
; COMPUTE_PGM_RSRC2:TGID_X_EN: 1
; COMPUTE_PGM_RSRC2:TGID_Y_EN: 1
; COMPUTE_PGM_RSRC2:TGID_Z_EN: 1
; COMPUTE_PGM_RSRC2:TIDIG_COMP_CNT: 1
	.section	.text._ZL13mul_mat_vec_qIL9ggml_type17ELi1ELb1ELb0EEvPKvS2_PKi31ggml_cuda_mm_fusion_args_devicePfj15HIP_vector_typeIjLj3EEjjjS8_jjjS8_jjjj,"axG",@progbits,_ZL13mul_mat_vec_qIL9ggml_type17ELi1ELb1ELb0EEvPKvS2_PKi31ggml_cuda_mm_fusion_args_devicePfj15HIP_vector_typeIjLj3EEjjjS8_jjjS8_jjjj,comdat
	.globl	_ZL13mul_mat_vec_qIL9ggml_type17ELi1ELb1ELb0EEvPKvS2_PKi31ggml_cuda_mm_fusion_args_devicePfj15HIP_vector_typeIjLj3EEjjjS8_jjjS8_jjjj ; -- Begin function _ZL13mul_mat_vec_qIL9ggml_type17ELi1ELb1ELb0EEvPKvS2_PKi31ggml_cuda_mm_fusion_args_devicePfj15HIP_vector_typeIjLj3EEjjjS8_jjjS8_jjjj
	.p2align	8
	.type	_ZL13mul_mat_vec_qIL9ggml_type17ELi1ELb1ELb0EEvPKvS2_PKi31ggml_cuda_mm_fusion_args_devicePfj15HIP_vector_typeIjLj3EEjjjS8_jjjS8_jjjj,@function
_ZL13mul_mat_vec_qIL9ggml_type17ELi1ELb1ELb0EEvPKvS2_PKi31ggml_cuda_mm_fusion_args_devicePfj15HIP_vector_typeIjLj3EEjjjS8_jjjS8_jjjj: ; @_ZL13mul_mat_vec_qIL9ggml_type17ELi1ELb1ELb0EEvPKvS2_PKi31ggml_cuda_mm_fusion_args_devicePfj15HIP_vector_typeIjLj3EEjjjS8_jjjS8_jjjj
; %bb.0:
	s_clause 0x3
	s_load_dwordx8 s[12:19], s[4:5], 0x0
	s_load_dwordx4 s[28:31], s[4:5], 0x20
	s_load_dwordx4 s[36:39], s[4:5], 0x40
	;; [unrolled: 1-line block ×3, first 2 shown]
	s_mov_b32 s10, s7
	s_waitcnt lgkmcnt(0)
	s_cmp_lg_u64 s[16:17], 0
	s_cselect_b32 s0, -1, 0
	s_cmp_eq_u64 s[16:17], 0
	s_cbranch_scc1 .LBB171_5
; %bb.1:
	s_mov_b32 s11, 0
	s_lshl_b64 s[2:3], s[10:11], 2
	s_add_u32 s2, s16, s2
	s_addc_u32 s3, s17, s3
	s_load_dword s33, s[2:3], 0x0
	s_clause 0x1
	s_load_dword s35, s[4:5], 0x50
	s_load_dword s34, s[4:5], 0x78
	s_cbranch_execnz .LBB171_3
.LBB171_2:
	s_load_dwordx2 s[2:3], s[4:5], 0x5c
	s_waitcnt lgkmcnt(0)
	s_mul_hi_u32 s1, s2, s10
	s_add_i32 s1, s10, s1
	s_lshr_b32 s33, s1, s3
.LBB171_3:
	s_andn2_b32 vcc_lo, exec_lo, s0
	s_cbranch_vccnz .LBB171_6
; %bb.4:
	s_mul_hi_u32 s0, s37, s10
	s_waitcnt lgkmcnt(0)
	s_mov_b32 s1, s33
	s_add_i32 s0, s10, s0
	s_lshr_b32 s0, s0, s38
	s_mul_i32 s0, s0, s39
	s_sub_i32 s37, s10, s0
	s_branch .LBB171_7
.LBB171_5:
                                        ; implicit-def: $sgpr33
	s_clause 0x1
	s_load_dword s35, s[4:5], 0x50
	s_load_dword s34, s[4:5], 0x78
	s_branch .LBB171_2
.LBB171_6:
	s_mov_b32 s1, s10
	s_mov_b32 s37, s10
.LBB171_7:
	s_load_dwordx4 s[24:27], s[4:5], 0x80
	v_or_b32_e32 v2, v0, v1
	s_cmp_lg_u64 s[18:19], 0
	v_mov_b32_e32 v24, 0
	v_mov_b32_e32 v25, 0
	s_cselect_b32 s0, -1, 0
	v_cmp_eq_u32_e32 vcc_lo, 0, v2
	s_mov_b32 s17, 0
	s_mul_i32 s2, s1, s22
	s_and_b32 s3, s0, vcc_lo
	s_and_saveexec_b32 s1, s3
	s_cbranch_execz .LBB171_9
; %bb.8:
	s_waitcnt lgkmcnt(0)
	s_mul_i32 s16, s26, s8
	s_mov_b32 s3, s17
	s_lshl_b64 s[38:39], s[16:17], 2
	v_lshlrev_b32_e32 v2, 2, v0
	s_add_u32 s7, s18, s38
	s_addc_u32 s9, s19, s39
	s_lshl_b64 s[16:17], s[2:3], 2
	s_add_u32 s3, s7, s16
	s_addc_u32 s9, s9, s17
	s_ashr_i32 s7, s6, 31
	s_lshl_b64 s[16:17], s[6:7], 2
	s_add_u32 s16, s3, s16
	s_addc_u32 s17, s9, s17
	global_load_dword v25, v2, s[16:17]
.LBB171_9:
	s_or_b32 exec_lo, exec_lo, s1
	s_cmp_lg_u64 s[28:29], 0
	s_cselect_b32 s9, -1, 0
	s_cmp_lg_u64 s[30:31], 0
	s_cselect_b32 s1, -1, 0
	s_and_b32 s3, s1, s9
	s_and_b32 s3, s3, vcc_lo
	s_and_saveexec_b32 s11, s3
	s_cbranch_execz .LBB171_11
; %bb.10:
	s_waitcnt lgkmcnt(0)
	s_mul_i32 s16, s26, s8
	s_mov_b32 s17, 0
	v_lshlrev_b32_e32 v2, 2, v0
	s_lshl_b64 s[18:19], s[16:17], 2
	s_mov_b32 s3, s17
	s_add_u32 s7, s30, s18
	s_addc_u32 s16, s31, s19
	s_lshl_b64 s[2:3], s[2:3], 2
	s_add_u32 s17, s7, s2
	s_addc_u32 s16, s16, s3
	s_ashr_i32 s7, s6, 31
	s_lshl_b64 s[2:3], s[6:7], 2
	s_add_u32 s2, s17, s2
	s_addc_u32 s3, s16, s3
	global_load_dword v24, v2, s[2:3]
.LBB171_11:
	s_or_b32 exec_lo, exec_lo, s11
	v_lshl_or_b32 v2, v1, 5, v0
	v_mov_b32_e32 v29, 0
	v_cndmask_b32_e64 v26, 0, 1, s9
	v_mov_b32_e32 v27, 0
	s_lshr_b32 s7, s36, 8
	v_lshrrev_b32_e32 v28, 3, v2
	s_mov_b32 s11, exec_lo
	v_cmpx_gt_u32_e64 s7, v28
	s_cbranch_execz .LBB171_17
; %bb.12:
	v_lshrrev_b32_e32 v2, 3, v2
	s_mul_i32 s2, s37, s21
	v_and_b32_e32 v30, 7, v0
	s_mul_hi_u32 s3, s2, 36
	s_mul_i32 s2, s2, 36
	v_lshlrev_b32_e32 v4, 1, v0
	v_mad_u64_u32 v[2:3], null, 0x120, v2, s[2:3]
	s_waitcnt lgkmcnt(0)
	s_mul_i32 s3, s25, s8
	s_mul_hi_u32 s2, s23, s8
	v_and_b32_e32 v4, 14, v4
	s_add_i32 s2, s8, s2
	s_mul_i32 s35, s35, s6
	s_lshr_b32 s2, s2, s34
	v_mad_u64_u32 v[2:3], null, s3, 36, v[2:3]
	v_lshlrev_b32_e32 v4, 1, v4
	s_mul_i32 s2, s2, s24
	v_mov_b32_e32 v31, 0
	v_mov_b32_e32 v29, 0
	;; [unrolled: 1-line block ×3, first 2 shown]
	v_lshlrev_b32_e32 v32, 1, v4
	v_mad_u64_u32 v[2:3], null, v30, 36, v[2:3]
	s_mul_i32 s3, s33, s20
	s_add_i32 s2, s2, s35
	v_add_co_u32 v2, vcc_lo, s14, v2
	v_add_co_ci_u32_e64 v3, null, s15, v3, vcc_lo
	s_add_i32 s15, s3, s2
	v_add_co_u32 v10, vcc_lo, v2, 32
	v_add_co_ci_u32_e64 v11, null, 0, v3, vcc_lo
	s_mov_b32 s14, 0
	s_branch .LBB171_14
.LBB171_13:                             ;   in Loop: Header=BB171_14 Depth=1
	v_bfe_u32 v22, v14, 9, 7
	v_lshrrev_b32_e32 v23, 25, v14
	v_add_nc_u32_e32 v28, 4, v28
	v_bcnt_u32_b32 v36, v22, 0
	v_bcnt_u32_b32 v23, v23, 0
	v_cmp_le_u32_e32 vcc_lo, s7, v28
	v_and_b32_e32 v36, 1, v36
	v_and_b32_e32 v23, 1, v23
	s_or_b32 s14, vcc_lo, s14
	v_lshl_or_b32 v22, v36, 7, v22
	v_alignbit_b32 v14, v23, v14, 25
	v_mul_lo_u32 v22, 0x1010101, v22
	v_mul_lo_u32 v14, 0x1010101, v14
	v_and_b32_e32 v23, 0x8040201, v22
	v_and_b32_e32 v38, 0x80402010, v22
	v_lshrrev_b32_e32 v36, 18, v22
	v_bfe_i32 v37, v22, 0, 1
	v_lshrrev_b32_e32 v22, 22, v22
	v_cmp_ne_u16_sdwa s2, v23, v31 src0_sel:BYTE_1 src1_sel:DWORD
	v_lshrrev_b16 v44, 4, v38
	v_bfe_i32 v36, v36, 0, 1
	v_lshlrev_b16 v43, 8, v37
	v_bfe_i32 v22, v22, 0, 1
	v_cndmask_b32_e64 v42, 0, -1, s2
	v_cmp_ne_u16_sdwa s2, v23, v31 src0_sel:BYTE_3 src1_sel:DWORD
	v_bfe_i32 v44, v44, 0, 1
	v_and_b32_e32 v39, 0x8040201, v14
	v_lshrrev_b32_e32 v40, 18, v14
	v_lshlrev_b16 v42, 8, v42
	v_cndmask_b32_e64 v23, 0, -1, s2
	v_cmp_ne_u16_sdwa s2, v38, v31 src0_sel:BYTE_1 src1_sel:DWORD
	v_bfe_i32 v41, v14, 0, 1
	v_bfe_i32 v40, v40, 0, 1
	v_or_b32_sdwa v37, v37, v42 dst_sel:DWORD dst_unused:UNUSED_PAD src0_sel:BYTE_0 src1_sel:DWORD
	v_lshlrev_b16 v23, 8, v23
	v_cndmask_b32_e64 v45, 0, -1, s2
	v_cmp_ne_u16_sdwa s2, v38, v31 src0_sel:BYTE_3 src1_sel:DWORD
	v_or_b32_sdwa v47, v36, v23 dst_sel:WORD_1 dst_unused:UNUSED_PAD src0_sel:BYTE_0 src1_sel:DWORD
	v_lshlrev_b16 v45, 8, v45
	v_cndmask_b32_e64 v38, 0, -1, s2
	v_cmp_ne_u16_sdwa s2, v39, v31 src0_sel:BYTE_1 src1_sel:DWORD
	v_lshlrev_b16 v36, 8, v36
	v_or_b32_sdwa v37, v37, v47 dst_sel:DWORD dst_unused:UNUSED_PAD src0_sel:WORD_0 src1_sel:DWORD
	v_or_b32_sdwa v48, v44, v45 dst_sel:DWORD dst_unused:UNUSED_PAD src0_sel:BYTE_0 src1_sel:DWORD
	v_lshlrev_b16 v38, 8, v38
	v_cndmask_b32_e64 v46, 0, -1, s2
	v_cmp_ne_u16_sdwa s2, v39, v31 src0_sel:BYTE_3 src1_sel:DWORD
	s_waitcnt vmcnt(3)
	v_xor_b32_e32 v20, v20, v37
	v_lshlrev_b16 v37, 8, v44
	v_or_b32_sdwa v49, v22, v38 dst_sel:WORD_1 dst_unused:UNUSED_PAD src0_sel:BYTE_0 src1_sel:DWORD
	v_lshlrev_b16 v22, 8, v22
	v_cndmask_b32_e64 v39, 0, -1, s2
	v_lshlrev_b16 v46, 8, v46
	v_or_b32_sdwa v47, v48, v49 dst_sel:DWORD dst_unused:UNUSED_PAD src0_sel:WORD_0 src1_sel:DWORD
	v_lshrrev_b32_e32 v48, 16, v20
	v_and_b32_e32 v49, 0xffffff00, v20
	v_lshlrev_b16 v20, 8, v20
	v_lshlrev_b16 v39, 8, v39
	v_xor_b32_e32 v21, v21, v47
	v_or_b32_sdwa v44, v41, v46 dst_sel:DWORD dst_unused:UNUSED_PAD src0_sel:BYTE_0 src1_sel:DWORD
	v_sub_nc_i16 v42, v49, v42 clamp
	v_and_b32_e32 v49, 0xffffff00, v48
	v_lshlrev_b16 v48, 8, v48
	v_lshrrev_b32_e32 v50, 16, v21
	v_and_b32_e32 v51, 0xffffff00, v21
	v_lshlrev_b16 v21, 8, v21
	v_sub_nc_i16 v20, v20, v43 clamp
	v_sub_nc_i16 v23, v49, v23 clamp
	;; [unrolled: 1-line block ×4, first 2 shown]
	v_and_b32_e32 v45, 0xffffff00, v50
	v_lshlrev_b16 v48, 8, v50
	v_sub_nc_i16 v21, v21, v37 clamp
	v_perm_b32 v23, v36, v23, 0xc0c0105
	v_bfe_u32 v36, v15, 9, 7
	v_sub_nc_i16 v37, v45, v38 clamp
	v_sub_nc_i16 v22, v48, v22 clamp
	v_perm_b32 v21, v21, v43, 0xc0c0105
	v_or_b32_sdwa v47, v40, v39 dst_sel:WORD_1 dst_unused:UNUSED_PAD src0_sel:BYTE_0 src1_sel:DWORD
	v_perm_b32 v20, v20, v42, 0xc0c0105
	v_lshlrev_b16 v40, 8, v40
	v_perm_b32 v22, v22, v37, 0xc0c0105
	v_bcnt_u32_b32 v37, v36, 0
	v_or_b32_sdwa v38, v44, v47 dst_sel:DWORD dst_unused:UNUSED_PAD src0_sel:WORD_0 src1_sel:DWORD
	v_lshl_or_b32 v20, v23, 16, v20
	v_mov_b32_e32 v23, 0
	v_lshl_or_b32 v21, v22, 16, v21
	v_and_b32_e32 v22, 1, v37
	s_waitcnt vmcnt(2)
	v_xor_b32_e32 v18, v18, v38
	v_and_b32_e32 v38, 0x80402010, v14
	v_dot4c_i32_i8 v23, v20, v7
	v_lshlrev_b16 v37, 8, v41
	v_lshl_or_b32 v22, v22, 7, v36
	v_lshlrev_b16 v20, 8, v18
	v_cmp_ne_u16_sdwa s2, v38, v31 src0_sel:BYTE_1 src1_sel:DWORD
	v_lshrrev_b16 v36, 4, v38
	v_lshrrev_b32_e32 v14, 22, v14
	v_mul_lo_u32 v22, 0x1010101, v22
	v_sub_nc_i16 v20, v20, v37 clamp
	v_cndmask_b32_e64 v37, 0, -1, s2
	v_cmp_ne_u16_sdwa s2, v38, v31 src0_sel:BYTE_3 src1_sel:DWORD
	v_and_b32_e32 v7, 0xffffff00, v18
	v_bfe_i32 v36, v36, 0, 1
	v_bfe_i32 v14, v14, 0, 1
	v_lshlrev_b16 v37, 8, v37
	v_and_b32_e32 v42, 0x8040201, v22
	v_cndmask_b32_e64 v38, 0, -1, s2
	v_lshrrev_b32_e32 v18, 16, v18
	v_sub_nc_i16 v7, v7, v46 clamp
	v_or_b32_sdwa v43, v36, v37 dst_sel:DWORD dst_unused:UNUSED_PAD src0_sel:BYTE_0 src1_sel:DWORD
	v_cmp_ne_u16_sdwa s2, v42, v31 src0_sel:BYTE_1 src1_sel:DWORD
	v_lshlrev_b16 v38, 8, v38
	v_lshrrev_b32_e32 v44, 18, v22
	v_and_b32_e32 v41, 0xffffff00, v18
	v_bfe_i32 v47, v22, 0, 1
	v_cndmask_b32_e64 v45, 0, -1, s2
	v_cmp_ne_u16_sdwa s2, v42, v31 src0_sel:BYTE_3 src1_sel:DWORD
	v_or_b32_sdwa v46, v14, v38 dst_sel:WORD_1 dst_unused:UNUSED_PAD src0_sel:BYTE_0 src1_sel:DWORD
	v_bfe_i32 v44, v44, 0, 1
	v_sub_nc_i16 v39, v41, v39 clamp
	v_lshlrev_b16 v45, 8, v45
	v_cndmask_b32_e64 v42, 0, -1, s2
	v_or_b32_sdwa v43, v43, v46 dst_sel:DWORD dst_unused:UNUSED_PAD src0_sel:WORD_0 src1_sel:DWORD
	v_dot4c_i32_i8 v23, v21, v8
	v_lshlrev_b16 v36, 8, v36
	v_or_b32_sdwa v41, v47, v45 dst_sel:DWORD dst_unused:UNUSED_PAD src0_sel:BYTE_0 src1_sel:DWORD
	v_lshlrev_b16 v42, 8, v42
	v_xor_b32_e32 v19, v19, v43
	v_perm_b32 v7, v20, v7, 0xc0c0105
	v_lshlrev_b16 v18, 8, v18
	v_lshlrev_b16 v14, 8, v14
	v_or_b32_sdwa v46, v44, v42 dst_sel:WORD_1 dst_unused:UNUSED_PAD src0_sel:BYTE_0 src1_sel:DWORD
	v_lshlrev_b16 v21, 8, v19
	v_and_b32_e32 v20, 0xffffff00, v19
	v_sub_nc_i16 v18, v18, v40 clamp
	v_lshlrev_b16 v43, 8, v47
	v_or_b32_sdwa v8, v41, v46 dst_sel:DWORD dst_unused:UNUSED_PAD src0_sel:WORD_0 src1_sel:DWORD
	v_lshrrev_b32_e32 v41, 25, v15
	v_lshlrev_b16 v44, 8, v44
	v_perm_b32 v18, v18, v39, 0xc0c0105
	s_waitcnt vmcnt(1)
	v_xor_b32_e32 v8, v16, v8
	v_lshrrev_b32_e32 v16, 16, v19
	v_sub_nc_i16 v19, v21, v36 clamp
	v_and_b32_e32 v36, 0x80402010, v22
	v_bcnt_u32_b32 v41, v41, 0
	v_lshrrev_b32_e32 v22, 22, v22
	v_lshl_or_b32 v7, v18, 16, v7
	v_sub_nc_i16 v18, v20, v37 clamp
	v_cmp_ne_u16_sdwa s2, v36, v31 src0_sel:BYTE_1 src1_sel:DWORD
	v_and_b32_e32 v41, 1, v41
	v_lshrrev_b16 v39, 4, v36
	v_and_b32_e32 v20, 0xffffff00, v8
	v_and_b32_e32 v21, 0xffffff00, v16
	v_cndmask_b32_e64 v40, 0, -1, s2
	v_cmp_ne_u16_sdwa s2, v36, v31 src0_sel:BYTE_3 src1_sel:DWORD
	v_alignbit_b32 v15, v41, v15, 25
	v_lshlrev_b16 v16, 8, v16
	v_lshrrev_b32_e32 v37, 16, v8
	v_bfe_i32 v39, v39, 0, 1
	v_cndmask_b32_e64 v36, 0, -1, s2
	v_mul_lo_u32 v15, 0x1010101, v15
	v_lshlrev_b16 v40, 8, v40
	v_bfe_i32 v22, v22, 0, 1
	v_sub_nc_i16 v20, v20, v45 clamp
	v_lshlrev_b16 v36, 8, v36
	v_lshlrev_b16 v8, 8, v8
	v_and_b32_e32 v45, 0xffffff00, v37
	v_or_b32_sdwa v46, v39, v40 dst_sel:DWORD dst_unused:UNUSED_PAD src0_sel:BYTE_0 src1_sel:DWORD
	v_lshlrev_b16 v37, 8, v37
	v_or_b32_sdwa v47, v22, v36 dst_sel:WORD_1 dst_unused:UNUSED_PAD src0_sel:BYTE_0 src1_sel:DWORD
	v_sub_nc_i16 v14, v16, v14 clamp
	v_and_b32_e32 v16, 0x8040201, v15
	v_sub_nc_i16 v8, v8, v43 clamp
	v_sub_nc_i16 v41, v45, v42 clamp
	v_or_b32_sdwa v43, v46, v47 dst_sel:DWORD dst_unused:UNUSED_PAD src0_sel:WORD_0 src1_sel:DWORD
	v_sub_nc_i16 v37, v37, v44 clamp
	v_cmp_ne_u16_sdwa s2, v16, v31 src0_sel:BYTE_1 src1_sel:DWORD
	v_perm_b32 v8, v8, v20, 0xc0c0105
	v_perm_b32 v18, v19, v18, 0xc0c0105
	v_xor_b32_e32 v17, v17, v43
	v_perm_b32 v20, v37, v41, 0xc0c0105
	v_sub_nc_i16 v19, v21, v38 clamp
	v_cndmask_b32_e64 v38, 0, -1, s2
	v_cmp_ne_u16_sdwa s2, v16, v31 src0_sel:BYTE_3 src1_sel:DWORD
	v_and_b32_e32 v21, 0xffffff00, v17
	v_lshl_or_b32 v8, v20, 16, v8
	v_lshrrev_b32_e32 v20, 16, v17
	v_lshlrev_b16 v17, 8, v17
	v_lshrrev_b32_e32 v37, 18, v15
	v_cndmask_b32_e64 v16, 0, -1, s2
	v_lshlrev_b16 v39, 8, v39
	v_sub_nc_i16 v21, v21, v40 clamp
	v_bfe_i32 v40, v15, 0, 1
	v_lshlrev_b16 v38, 8, v38
	v_bfe_i32 v37, v37, 0, 1
	v_lshlrev_b16 v16, 8, v16
	v_sub_nc_i16 v17, v17, v39 clamp
	v_and_b32_e32 v39, 0x80402010, v15
	v_and_b32_e32 v41, 0xffffff00, v20
	v_lshlrev_b16 v20, 8, v20
	v_lshlrev_b16 v22, 8, v22
	v_or_b32_sdwa v42, v40, v38 dst_sel:DWORD dst_unused:UNUSED_PAD src0_sel:BYTE_0 src1_sel:DWORD
	v_or_b32_sdwa v43, v37, v16 dst_sel:WORD_1 dst_unused:UNUSED_PAD src0_sel:BYTE_0 src1_sel:DWORD
	v_cmp_ne_u16_sdwa s2, v39, v31 src0_sel:BYTE_1 src1_sel:DWORD
	v_sub_nc_i16 v36, v41, v36 clamp
	v_sub_nc_i16 v20, v20, v22 clamp
	v_lshrrev_b32_e32 v15, 22, v15
	v_or_b32_sdwa v22, v42, v43 dst_sel:DWORD dst_unused:UNUSED_PAD src0_sel:WORD_0 src1_sel:DWORD
	v_cndmask_b32_e64 v42, 0, -1, s2
	v_cmp_ne_u16_sdwa s2, v39, v31 src0_sel:BYTE_3 src1_sel:DWORD
	v_lshrrev_b16 v41, 4, v39
	v_bfe_i32 v15, v15, 0, 1
	s_waitcnt vmcnt(0)
	v_xor_b32_e32 v12, v12, v22
	v_perm_b32 v20, v20, v36, 0xc0c0105
	v_cndmask_b32_e64 v39, 0, -1, s2
	v_bfe_i32 v22, v41, 0, 1
	v_lshlrev_b16 v41, 8, v42
	v_perm_b32 v17, v17, v21, 0xc0c0105
	v_and_b32_e32 v21, 0xffffff00, v12
	v_lshlrev_b16 v39, 8, v39
	v_lshlrev_b16 v43, 8, v12
	v_or_b32_sdwa v36, v22, v41 dst_sel:DWORD dst_unused:UNUSED_PAD src0_sel:BYTE_0 src1_sel:DWORD
	v_lshlrev_b16 v40, 8, v40
	v_lshrrev_b32_e32 v12, 16, v12
	v_or_b32_sdwa v42, v15, v39 dst_sel:WORD_1 dst_unused:UNUSED_PAD src0_sel:BYTE_0 src1_sel:DWORD
	v_mov_b32_e32 v44, 0
	v_sub_nc_i16 v21, v21, v38 clamp
	v_sub_nc_i16 v38, v43, v40 clamp
	v_and_b32_e32 v40, 0xffffff00, v12
	v_or_b32_sdwa v36, v36, v42 dst_sel:DWORD dst_unused:UNUSED_PAD src0_sel:WORD_0 src1_sel:DWORD
	v_lshl_or_b32 v17, v20, 16, v17
	v_dot4c_i32_i8 v44, v8, v3
	v_lshlrev_b16 v12, 8, v12
	v_sub_nc_i16 v8, v40, v16 clamp
	v_xor_b32_e32 v13, v13, v36
	v_lshlrev_b16 v20, 8, v37
	v_perm_b32 v3, v38, v21, 0xc0c0105
	v_lshlrev_b16 v22, 8, v22
	v_lshlrev_b16 v15, 8, v15
	v_lshrrev_b32_e32 v16, 16, v13
	v_and_b32_e32 v21, 0xffffff00, v13
	v_lshlrev_b16 v13, 8, v13
	v_sub_nc_i16 v12, v12, v20 clamp
	v_dot4c_i32_i8 v44, v17, v4
	v_and_b32_e32 v36, 0xffffff00, v16
	v_lshlrev_b16 v16, 8, v16
	v_sub_nc_i16 v20, v21, v41 clamp
	v_sub_nc_i16 v13, v13, v22 clamp
	v_perm_b32 v8, v12, v8, 0xc0c0105
	v_sub_nc_i16 v21, v36, v39 clamp
	v_sub_nc_i16 v15, v16, v15 clamp
	v_perm_b32 v12, v14, v19, 0xc0c0105
	v_perm_b32 v4, v13, v20, 0xc0c0105
	v_lshl_or_b32 v3, v8, 16, v3
	v_dot4c_i32_i8 v23, v7, v9
	v_perm_b32 v13, v15, v21, 0xc0c0105
	v_lshl_or_b32 v8, v12, 16, v18
	v_add_co_u32 v10, s2, 0x480, v10
	v_dot4c_i32_i8 v44, v3, v5
	v_lshl_or_b32 v4, v13, 16, v4
	v_dot4c_i32_i8 v23, v8, v2
	v_bfe_u32 v5, v33, 4, 4
	v_add_co_ci_u32_e64 v11, null, 0, v11, s2
	v_dot4c_i32_i8 v44, v4, v35
	v_and_b32_e32 v4, 15, v33
	v_add_nc_u32_e32 v2, v44, v23
	v_lshrrev_b32_e32 v3, 31, v2
	v_add_nc_u32_e32 v2, v2, v3
	v_mul_lo_u32 v3, v23, v4
	v_mul_lo_u32 v4, v44, v5
	v_ashrrev_i32_e32 v2, 1, v2
	v_add3_u32 v2, v4, v3, v2
	v_ashrrev_i32_e32 v3, 31, v2
	v_lshrrev_b32_e32 v3, 30, v3
	v_add_nc_u32_e32 v2, v2, v3
	v_cvt_f32_f16_e32 v3, v34
	v_ashrrev_i32_e32 v2, 2, v2
	v_mul_f32_e32 v3, v3, v6
	v_cvt_f32_i32_e32 v2, v2
	v_fmac_f32_e32 v29, v3, v2
	s_andn2_b32 exec_lo, exec_lo, s14
	s_cbranch_execz .LBB171_16
.LBB171_14:                             ; =>This Inner Loop Header: Depth=1
	v_add_nc_u32_e32 v22, s15, v28
	s_getpc_b64 s[2:3]
	s_add_u32 s2, s2, _ZL10iq2xs_grid@rel32@lo+4
	s_addc_u32 s3, s3, _ZL10iq2xs_grid@rel32@hi+12
	v_mad_i64_i32 v[2:3], null, 0x4a, v22, s[12:13]
	v_add_co_u32 v4, vcc_lo, v2, v32
	v_add_co_ci_u32_e64 v5, null, 0, v3, vcc_lo
	global_load_dwordx2 v[14:15], v[4:5], off offset:2
	v_add_co_u32 v4, vcc_lo, v2, v30
	v_add_co_ci_u32_e64 v5, null, 0, v3, vcc_lo
	s_andn2_b32 vcc_lo, exec_lo, s9
	s_clause 0x1
	global_load_ubyte v33, v[4:5], off offset:66
	global_load_ushort v34, v[2:3], off
	s_clause 0x1
	global_load_dwordx4 v[6:9], v[10:11], off offset:-32
	global_load_dwordx4 v[2:5], v[10:11], off offset:-16
	s_waitcnt vmcnt(4)
	v_and_b32_e32 v12, 0x1ff, v14
	v_lshrrev_b32_e32 v13, 13, v14
	v_and_b32_e32 v16, 0x1ff, v15
	v_lshrrev_b32_e32 v17, 13, v15
	v_lshlrev_b32_e32 v12, 3, v12
	v_and_b32_e32 v13, 0xff8, v13
	v_lshlrev_b32_e32 v16, 3, v16
	v_and_b32_e32 v23, 0xff8, v17
	global_load_dword v35, v[10:11], off
	s_clause 0x3
	global_load_dwordx2 v[20:21], v12, s[2:3]
	global_load_dwordx2 v[18:19], v13, s[2:3]
	;; [unrolled: 1-line block ×4, first 2 shown]
	s_waitcnt vmcnt(6)
	v_cvt_f32_f16_e32 v6, v6
	s_cbranch_vccnz .LBB171_13
; %bb.15:                               ;   in Loop: Header=BB171_14 Depth=1
	v_mad_i64_i32 v[22:23], null, 0x4a, v22, s[28:29]
	v_add_co_u32 v36, vcc_lo, v22, v30
	v_add_co_ci_u32_e64 v37, null, 0, v23, vcc_lo
	v_add_co_u32 v38, vcc_lo, v22, v32
	v_add_co_ci_u32_e64 v39, null, 0, v23, vcc_lo
	s_clause 0x2
	global_load_dwordx2 v[38:39], v[38:39], off offset:2
	global_load_ubyte v40, v[36:37], off offset:66
	global_load_ushort v22, v[22:23], off
	s_waitcnt vmcnt(2)
	v_and_b32_e32 v36, 0x1ff, v38
	v_bfe_u32 v41, v38, 9, 7
	s_waitcnt vmcnt(0)
	v_cvt_f32_f16_e32 v22, v22
	v_lshlrev_b32_e32 v36, 3, v36
	v_bcnt_u32_b32 v42, v41, 0
	v_mul_f32_e32 v22, v6, v22
	global_load_dwordx2 v[36:37], v36, s[2:3]
	v_and_b32_e32 v42, 1, v42
	v_lshl_or_b32 v41, v42, 7, v41
	v_mul_lo_u32 v41, 0x1010101, v41
	v_and_b32_e32 v42, 0x8040201, v41
	v_lshrrev_b32_e32 v43, 18, v41
	v_cmp_ne_u16_sdwa s16, v42, v31 src0_sel:BYTE_3 src1_sel:DWORD
	v_cmp_ne_u16_sdwa s17, v42, v31 src0_sel:BYTE_1 src1_sel:DWORD
	v_bfe_i32 v42, v41, 0, 1
	v_bfe_i32 v43, v43, 0, 1
	v_cndmask_b32_e64 v46, 0, -1, s16
	v_cndmask_b32_e64 v44, 0, -1, s17
	v_lshlrev_b16 v46, 8, v46
	v_lshlrev_b16 v44, 8, v44
	v_or_b32_sdwa v47, v43, v46 dst_sel:WORD_1 dst_unused:UNUSED_PAD src0_sel:BYTE_0 src1_sel:DWORD
	v_or_b32_sdwa v45, v42, v44 dst_sel:DWORD dst_unused:UNUSED_PAD src0_sel:BYTE_0 src1_sel:DWORD
	v_lshlrev_b16 v42, 8, v42
	v_lshlrev_b16 v43, 8, v43
	v_or_b32_sdwa v45, v45, v47 dst_sel:DWORD dst_unused:UNUSED_PAD src0_sel:WORD_0 src1_sel:DWORD
	s_waitcnt vmcnt(0)
	v_xor_b32_e32 v36, v36, v45
	v_lshrrev_b32_e32 v45, 16, v36
	v_and_b32_e32 v47, 0xffffff00, v36
	v_lshlrev_b16 v36, 8, v36
	v_sub_nc_i16 v44, v47, v44 clamp
	v_sub_nc_i16 v36, v36, v42 clamp
	v_and_b32_e32 v42, 0xffffff00, v45
	v_perm_b32 v36, v36, v44, 0xc0c0105
	v_lshlrev_b16 v44, 8, v45
	v_sub_nc_i16 v42, v42, v46 clamp
	v_sub_nc_i16 v43, v44, v43 clamp
	v_perm_b32 v42, v43, v42, 0xc0c0105
	v_lshl_or_b32 v36, v42, 16, v36
	v_and_b32_e32 v42, 0x80402010, v41
	v_lshrrev_b32_e32 v41, 22, v41
	v_cmp_ne_u16_sdwa s16, v42, v31 src0_sel:BYTE_3 src1_sel:DWORD
	v_cmp_ne_u16_sdwa s17, v42, v31 src0_sel:BYTE_1 src1_sel:DWORD
	v_lshrrev_b16 v42, 4, v42
	v_bfe_i32 v41, v41, 0, 1
	v_cndmask_b32_e64 v45, 0, -1, s16
	v_cndmask_b32_e64 v43, 0, -1, s17
	v_bfe_i32 v42, v42, 0, 1
	v_lshlrev_b16 v45, 8, v45
	v_lshlrev_b16 v43, 8, v43
	v_or_b32_sdwa v46, v41, v45 dst_sel:WORD_1 dst_unused:UNUSED_PAD src0_sel:BYTE_0 src1_sel:DWORD
	v_or_b32_sdwa v44, v42, v43 dst_sel:DWORD dst_unused:UNUSED_PAD src0_sel:BYTE_0 src1_sel:DWORD
	v_lshlrev_b16 v42, 8, v42
	v_lshlrev_b16 v41, 8, v41
	v_or_b32_sdwa v44, v44, v46 dst_sel:DWORD dst_unused:UNUSED_PAD src0_sel:WORD_0 src1_sel:DWORD
	v_xor_b32_e32 v37, v37, v44
	v_lshrrev_b32_e32 v44, 16, v37
	v_and_b32_e32 v46, 0xffffff00, v37
	v_lshlrev_b16 v37, 8, v37
	v_sub_nc_i16 v43, v46, v43 clamp
	v_sub_nc_i16 v37, v37, v42 clamp
	v_and_b32_e32 v42, 0xffffff00, v44
	v_perm_b32 v37, v37, v43, 0xc0c0105
	v_lshlrev_b16 v43, 8, v44
	v_sub_nc_i16 v42, v42, v45 clamp
	v_sub_nc_i16 v41, v43, v41 clamp
	v_perm_b32 v41, v41, v42, 0xc0c0105
	v_lshrrev_b32_e32 v42, 25, v38
	v_lshl_or_b32 v37, v41, 16, v37
	v_mov_b32_e32 v41, 0
	v_bcnt_u32_b32 v42, v42, 0
	v_dot4c_i32_i8 v41, v36, v7
	v_lshrrev_b32_e32 v36, 13, v38
	v_and_b32_e32 v42, 1, v42
	v_dot4c_i32_i8 v41, v37, v8
	v_and_b32_e32 v36, 0xff8, v36
	v_alignbit_b32 v38, v42, v38, 25
	global_load_dwordx2 v[36:37], v36, s[2:3]
	v_mul_lo_u32 v38, 0x1010101, v38
	v_and_b32_e32 v42, 0x8040201, v38
	v_lshrrev_b32_e32 v43, 18, v38
	v_cmp_ne_u16_sdwa s16, v42, v31 src0_sel:BYTE_3 src1_sel:DWORD
	v_cmp_ne_u16_sdwa s17, v42, v31 src0_sel:BYTE_1 src1_sel:DWORD
	v_bfe_i32 v42, v38, 0, 1
	v_bfe_i32 v43, v43, 0, 1
	v_cndmask_b32_e64 v46, 0, -1, s16
	v_cndmask_b32_e64 v44, 0, -1, s17
	v_lshlrev_b16 v46, 8, v46
	v_lshlrev_b16 v44, 8, v44
	v_or_b32_sdwa v47, v43, v46 dst_sel:WORD_1 dst_unused:UNUSED_PAD src0_sel:BYTE_0 src1_sel:DWORD
	v_or_b32_sdwa v45, v42, v44 dst_sel:DWORD dst_unused:UNUSED_PAD src0_sel:BYTE_0 src1_sel:DWORD
	v_lshlrev_b16 v42, 8, v42
	v_lshlrev_b16 v43, 8, v43
	v_or_b32_sdwa v45, v45, v47 dst_sel:DWORD dst_unused:UNUSED_PAD src0_sel:WORD_0 src1_sel:DWORD
	s_waitcnt vmcnt(0)
	v_xor_b32_e32 v36, v36, v45
	v_lshrrev_b32_e32 v45, 16, v36
	v_and_b32_e32 v47, 0xffffff00, v36
	v_lshlrev_b16 v36, 8, v36
	v_sub_nc_i16 v44, v47, v44 clamp
	v_sub_nc_i16 v36, v36, v42 clamp
	v_and_b32_e32 v42, 0xffffff00, v45
	v_perm_b32 v36, v36, v44, 0xc0c0105
	v_lshlrev_b16 v44, 8, v45
	v_sub_nc_i16 v42, v42, v46 clamp
	v_sub_nc_i16 v43, v44, v43 clamp
	v_perm_b32 v42, v43, v42, 0xc0c0105
	v_lshl_or_b32 v36, v42, 16, v36
	v_and_b32_e32 v42, 0x80402010, v38
	v_lshrrev_b32_e32 v38, 22, v38
	v_dot4c_i32_i8 v41, v36, v9
	v_cmp_ne_u16_sdwa s16, v42, v31 src0_sel:BYTE_3 src1_sel:DWORD
	v_cmp_ne_u16_sdwa s17, v42, v31 src0_sel:BYTE_1 src1_sel:DWORD
	v_lshrrev_b16 v42, 4, v42
	v_bfe_i32 v38, v38, 0, 1
	v_and_b32_e32 v36, 0x1ff, v39
	v_cndmask_b32_e64 v45, 0, -1, s16
	v_cndmask_b32_e64 v43, 0, -1, s17
	v_bfe_i32 v42, v42, 0, 1
	v_lshlrev_b32_e32 v36, 3, v36
	v_lshlrev_b16 v45, 8, v45
	v_lshlrev_b16 v43, 8, v43
	v_or_b32_sdwa v46, v38, v45 dst_sel:WORD_1 dst_unused:UNUSED_PAD src0_sel:BYTE_0 src1_sel:DWORD
	v_or_b32_sdwa v44, v42, v43 dst_sel:DWORD dst_unused:UNUSED_PAD src0_sel:BYTE_0 src1_sel:DWORD
	v_lshlrev_b16 v42, 8, v42
	v_lshlrev_b16 v38, 8, v38
	v_or_b32_sdwa v44, v44, v46 dst_sel:DWORD dst_unused:UNUSED_PAD src0_sel:WORD_0 src1_sel:DWORD
	v_xor_b32_e32 v37, v37, v44
	v_lshrrev_b32_e32 v44, 16, v37
	v_and_b32_e32 v46, 0xffffff00, v37
	v_lshlrev_b16 v37, 8, v37
	v_sub_nc_i16 v43, v46, v43 clamp
	v_sub_nc_i16 v37, v37, v42 clamp
	v_and_b32_e32 v42, 0xffffff00, v44
	v_perm_b32 v37, v37, v43, 0xc0c0105
	v_lshlrev_b16 v43, 8, v44
	v_sub_nc_i16 v42, v42, v45 clamp
	v_sub_nc_i16 v38, v43, v38 clamp
	v_perm_b32 v38, v38, v42, 0xc0c0105
	v_lshl_or_b32 v37, v38, 16, v37
	v_bfe_u32 v38, v39, 9, 7
	v_dot4c_i32_i8 v41, v37, v2
	global_load_dwordx2 v[36:37], v36, s[2:3]
	v_bcnt_u32_b32 v42, v38, 0
	v_and_b32_e32 v42, 1, v42
	v_lshl_or_b32 v38, v42, 7, v38
	v_mul_lo_u32 v38, 0x1010101, v38
	v_and_b32_e32 v42, 0x8040201, v38
	v_lshrrev_b32_e32 v43, 18, v38
	v_cmp_ne_u16_sdwa s16, v42, v31 src0_sel:BYTE_3 src1_sel:DWORD
	v_cmp_ne_u16_sdwa s17, v42, v31 src0_sel:BYTE_1 src1_sel:DWORD
	v_bfe_i32 v42, v38, 0, 1
	v_bfe_i32 v43, v43, 0, 1
	v_cndmask_b32_e64 v46, 0, -1, s16
	v_cndmask_b32_e64 v44, 0, -1, s17
	v_lshlrev_b16 v46, 8, v46
	v_lshlrev_b16 v44, 8, v44
	v_or_b32_sdwa v47, v43, v46 dst_sel:WORD_1 dst_unused:UNUSED_PAD src0_sel:BYTE_0 src1_sel:DWORD
	v_or_b32_sdwa v45, v42, v44 dst_sel:DWORD dst_unused:UNUSED_PAD src0_sel:BYTE_0 src1_sel:DWORD
	v_lshlrev_b16 v42, 8, v42
	v_lshlrev_b16 v43, 8, v43
	v_or_b32_sdwa v45, v45, v47 dst_sel:DWORD dst_unused:UNUSED_PAD src0_sel:WORD_0 src1_sel:DWORD
	s_waitcnt vmcnt(0)
	v_xor_b32_e32 v36, v36, v45
	v_lshrrev_b32_e32 v45, 16, v36
	v_and_b32_e32 v47, 0xffffff00, v36
	v_lshlrev_b16 v36, 8, v36
	v_sub_nc_i16 v44, v47, v44 clamp
	v_sub_nc_i16 v36, v36, v42 clamp
	v_and_b32_e32 v42, 0xffffff00, v45
	v_perm_b32 v36, v36, v44, 0xc0c0105
	v_lshlrev_b16 v44, 8, v45
	v_sub_nc_i16 v42, v42, v46 clamp
	v_sub_nc_i16 v43, v44, v43 clamp
	v_perm_b32 v42, v43, v42, 0xc0c0105
	v_lshl_or_b32 v36, v42, 16, v36
	v_and_b32_e32 v42, 0x80402010, v38
	v_lshrrev_b32_e32 v38, 22, v38
	v_cmp_ne_u16_sdwa s16, v42, v31 src0_sel:BYTE_3 src1_sel:DWORD
	v_cmp_ne_u16_sdwa s17, v42, v31 src0_sel:BYTE_1 src1_sel:DWORD
	v_lshrrev_b16 v42, 4, v42
	v_bfe_i32 v38, v38, 0, 1
	v_cndmask_b32_e64 v45, 0, -1, s16
	v_cndmask_b32_e64 v43, 0, -1, s17
	v_bfe_i32 v42, v42, 0, 1
	v_lshlrev_b16 v45, 8, v45
	v_lshlrev_b16 v43, 8, v43
	v_or_b32_sdwa v46, v38, v45 dst_sel:WORD_1 dst_unused:UNUSED_PAD src0_sel:BYTE_0 src1_sel:DWORD
	v_or_b32_sdwa v44, v42, v43 dst_sel:DWORD dst_unused:UNUSED_PAD src0_sel:BYTE_0 src1_sel:DWORD
	v_lshlrev_b16 v42, 8, v42
	v_lshlrev_b16 v38, 8, v38
	v_or_b32_sdwa v44, v44, v46 dst_sel:DWORD dst_unused:UNUSED_PAD src0_sel:WORD_0 src1_sel:DWORD
	v_xor_b32_e32 v37, v37, v44
	v_lshrrev_b32_e32 v44, 16, v37
	v_and_b32_e32 v46, 0xffffff00, v37
	v_lshlrev_b16 v37, 8, v37
	v_sub_nc_i16 v43, v46, v43 clamp
	v_sub_nc_i16 v37, v37, v42 clamp
	v_and_b32_e32 v42, 0xffffff00, v44
	v_perm_b32 v37, v37, v43, 0xc0c0105
	v_lshlrev_b16 v43, 8, v44
	v_sub_nc_i16 v42, v42, v45 clamp
	v_sub_nc_i16 v38, v43, v38 clamp
	v_perm_b32 v38, v38, v42, 0xc0c0105
	v_lshrrev_b32_e32 v42, 25, v39
	v_lshl_or_b32 v37, v38, 16, v37
	v_mov_b32_e32 v38, 0
	v_bcnt_u32_b32 v42, v42, 0
	v_dot4c_i32_i8 v38, v36, v3
	v_lshrrev_b32_e32 v36, 13, v39
	v_and_b32_e32 v42, 1, v42
	v_dot4c_i32_i8 v38, v37, v4
	v_and_b32_e32 v36, 0xff8, v36
	v_alignbit_b32 v39, v42, v39, 25
	global_load_dwordx2 v[36:37], v36, s[2:3]
	v_mul_lo_u32 v39, 0x1010101, v39
	v_and_b32_e32 v42, 0x8040201, v39
	v_lshrrev_b32_e32 v43, 18, v39
	v_cmp_ne_u16_sdwa s2, v42, v31 src0_sel:BYTE_3 src1_sel:DWORD
	v_cmp_ne_u16_sdwa s3, v42, v31 src0_sel:BYTE_1 src1_sel:DWORD
	v_bfe_i32 v42, v39, 0, 1
	v_bfe_i32 v43, v43, 0, 1
	v_cndmask_b32_e64 v46, 0, -1, s2
	v_cndmask_b32_e64 v44, 0, -1, s3
	v_lshlrev_b16 v46, 8, v46
	v_lshlrev_b16 v44, 8, v44
	v_or_b32_sdwa v47, v43, v46 dst_sel:WORD_1 dst_unused:UNUSED_PAD src0_sel:BYTE_0 src1_sel:DWORD
	v_or_b32_sdwa v45, v42, v44 dst_sel:DWORD dst_unused:UNUSED_PAD src0_sel:BYTE_0 src1_sel:DWORD
	v_lshlrev_b16 v42, 8, v42
	v_lshlrev_b16 v43, 8, v43
	v_or_b32_sdwa v45, v45, v47 dst_sel:DWORD dst_unused:UNUSED_PAD src0_sel:WORD_0 src1_sel:DWORD
	s_waitcnt vmcnt(0)
	v_xor_b32_e32 v36, v36, v45
	v_lshrrev_b32_e32 v45, 16, v36
	v_and_b32_e32 v47, 0xffffff00, v36
	v_lshlrev_b16 v36, 8, v36
	v_sub_nc_i16 v44, v47, v44 clamp
	v_sub_nc_i16 v36, v36, v42 clamp
	v_and_b32_e32 v42, 0xffffff00, v45
	v_perm_b32 v36, v36, v44, 0xc0c0105
	v_lshlrev_b16 v44, 8, v45
	v_sub_nc_i16 v42, v42, v46 clamp
	v_sub_nc_i16 v43, v44, v43 clamp
	v_perm_b32 v42, v43, v42, 0xc0c0105
	v_lshl_or_b32 v36, v42, 16, v36
	v_and_b32_e32 v42, 0x80402010, v39
	v_lshrrev_b32_e32 v39, 22, v39
	v_dot4c_i32_i8 v38, v36, v5
	v_cmp_ne_u16_sdwa s2, v42, v31 src0_sel:BYTE_3 src1_sel:DWORD
	v_cmp_ne_u16_sdwa s3, v42, v31 src0_sel:BYTE_1 src1_sel:DWORD
	v_lshrrev_b16 v42, 4, v42
	v_bfe_i32 v39, v39, 0, 1
	v_lshrrev_b32_e32 v36, 4, v40
	v_cndmask_b32_e64 v45, 0, -1, s2
	v_cndmask_b32_e64 v43, 0, -1, s3
	v_bfe_i32 v42, v42, 0, 1
	v_lshlrev_b16 v45, 8, v45
	v_lshlrev_b16 v43, 8, v43
	v_or_b32_sdwa v46, v39, v45 dst_sel:WORD_1 dst_unused:UNUSED_PAD src0_sel:BYTE_0 src1_sel:DWORD
	v_or_b32_sdwa v44, v42, v43 dst_sel:DWORD dst_unused:UNUSED_PAD src0_sel:BYTE_0 src1_sel:DWORD
	v_lshlrev_b16 v42, 8, v42
	v_lshlrev_b16 v39, 8, v39
	v_or_b32_sdwa v44, v44, v46 dst_sel:DWORD dst_unused:UNUSED_PAD src0_sel:WORD_0 src1_sel:DWORD
	v_xor_b32_e32 v37, v37, v44
	v_lshrrev_b32_e32 v44, 16, v37
	v_and_b32_e32 v46, 0xffffff00, v37
	v_lshlrev_b16 v37, 8, v37
	v_sub_nc_i16 v43, v46, v43 clamp
	v_sub_nc_i16 v37, v37, v42 clamp
	v_and_b32_e32 v42, 0xffffff00, v44
	v_perm_b32 v37, v37, v43, 0xc0c0105
	v_lshlrev_b16 v43, 8, v44
	v_sub_nc_i16 v42, v42, v45 clamp
	v_sub_nc_i16 v39, v43, v39 clamp
	v_perm_b32 v39, v39, v42, 0xc0c0105
	v_lshl_or_b32 v37, v39, 16, v37
	v_dot4c_i32_i8 v38, v37, v35
	v_and_b32_e32 v37, 15, v40
	v_mul_lo_u32 v36, v38, v36
	v_add_nc_u32_e32 v38, v38, v41
	v_mul_lo_u32 v37, v41, v37
	v_lshrrev_b32_e32 v39, 31, v38
	v_add_nc_u32_e32 v38, v38, v39
	v_ashrrev_i32_e32 v38, 1, v38
	v_add3_u32 v36, v36, v37, v38
	v_ashrrev_i32_e32 v37, 31, v36
	v_lshrrev_b32_e32 v37, 30, v37
	v_add_nc_u32_e32 v36, v36, v37
	v_ashrrev_i32_e32 v36, 2, v36
	v_cvt_f32_i32_e32 v23, v36
	v_fmac_f32_e32 v27, v22, v23
	s_branch .LBB171_13
.LBB171_16:
	s_or_b32 exec_lo, exec_lo, s14
.LBB171_17:
	s_or_b32 exec_lo, exec_lo, s11
	s_load_dword s2, s[4:5], 0x30
	s_waitcnt vmcnt(0) lgkmcnt(0)
	; wave barrier
	buffer_gl0_inv
	s_mov_b32 s3, exec_lo
	v_cmpx_eq_u32_e32 0, v1
	s_cbranch_execz .LBB171_44
; %bb.18:
	v_mbcnt_lo_u32_b32 v2, -1, 0
	v_xor_b32_e32 v1, 16, v2
	v_xor_b32_e32 v4, 8, v2
	;; [unrolled: 1-line block ×3, first 2 shown]
	v_cmp_gt_i32_e32 vcc_lo, 32, v1
	v_cndmask_b32_e32 v1, v2, v1, vcc_lo
	v_cmp_gt_i32_e32 vcc_lo, 32, v4
	v_lshlrev_b32_e32 v1, 2, v1
	v_cndmask_b32_e32 v4, v2, v4, vcc_lo
	v_cmp_gt_i32_e32 vcc_lo, 32, v5
	ds_bpermute_b32 v3, v1, v29
	v_lshlrev_b32_e32 v4, 2, v4
	v_cndmask_b32_e32 v5, v2, v5, vcc_lo
	v_lshlrev_b32_e32 v5, 2, v5
	s_waitcnt lgkmcnt(0)
	v_add_f32_e32 v3, v29, v3
	ds_bpermute_b32 v6, v4, v3
	s_waitcnt lgkmcnt(0)
	v_add_f32_e32 v3, v3, v6
	v_xor_b32_e32 v6, 2, v2
	ds_bpermute_b32 v7, v5, v3
	v_cmp_gt_i32_e32 vcc_lo, 32, v6
	v_cndmask_b32_e32 v6, v2, v6, vcc_lo
	v_lshlrev_b32_e32 v6, 2, v6
	s_waitcnt lgkmcnt(0)
	v_add_f32_e32 v3, v3, v7
	v_xor_b32_e32 v7, 1, v2
	ds_bpermute_b32 v8, v6, v3
	v_cmp_gt_i32_e32 vcc_lo, 32, v7
	v_cndmask_b32_e32 v2, v2, v7, vcc_lo
	v_cmp_ne_u32_e32 vcc_lo, 1, v26
	v_lshlrev_b32_e32 v7, 2, v2
	s_waitcnt lgkmcnt(0)
	v_add_f32_e32 v2, v3, v8
	ds_bpermute_b32 v3, v7, v2
	s_cbranch_vccnz .LBB171_20
; %bb.19:
	ds_bpermute_b32 v1, v1, v27
	s_waitcnt lgkmcnt(0)
	v_add_f32_e32 v1, v27, v1
	ds_bpermute_b32 v4, v4, v1
	s_waitcnt lgkmcnt(0)
	v_add_f32_e32 v1, v1, v4
	;; [unrolled: 3-line block ×5, first 2 shown]
.LBB171_20:
	v_cmp_eq_u32_e32 vcc_lo, 0, v0
	s_and_b32 exec_lo, exec_lo, vcc_lo
	s_cbranch_execz .LBB171_44
; %bb.21:
	s_waitcnt lgkmcnt(0)
	v_add_f32_e32 v1, v2, v3
	v_cmp_ne_u32_e32 vcc_lo, 1, v26
	v_add_f32_e32 v2, v25, v1
	v_cndmask_b32_e64 v1, v1, v2, s0
	s_cbranch_vccnz .LBB171_43
; %bb.22:
	v_add_f32_e32 v2, v24, v27
	s_cmp_lt_i32 s2, 2
	s_mov_b32 s0, 0
	v_cndmask_b32_e64 v2, v27, v2, s1
	s_cbranch_scc1 .LBB171_26
; %bb.23:
	s_cmp_gt_i32 s2, 2
	s_cbranch_scc0 .LBB171_27
; %bb.24:
	s_cmp_eq_u32 s2, 3
	s_cbranch_scc0 .LBB171_28
; %bb.25:
	v_max_f32_e32 v3, v2, v2
	s_mov_b32 s1, 0
	v_min_f32_e32 v3, 0x40e00000, v3
	v_mul_f32_e32 v4, 0xbfd9db23, v3
	v_mul_f32_e32 v5, 0x3fb8aa3b, v4
	v_cmp_ngt_f32_e32 vcc_lo, 0xc2ce8ed0, v4
	v_fma_f32 v6, 0x3fb8aa3b, v4, -v5
	v_rndne_f32_e32 v7, v5
	v_fmamk_f32 v6, v4, 0x32a5705f, v6
	v_sub_f32_e32 v5, v5, v7
	v_add_f32_e32 v5, v5, v6
	v_cvt_i32_f32_e32 v6, v7
	v_exp_f32_e32 v5, v5
	v_ldexp_f32 v5, v5, v6
	v_cndmask_b32_e32 v5, 0, v5, vcc_lo
	v_cmp_nlt_f32_e32 vcc_lo, 0x42b17218, v4
	v_cndmask_b32_e32 v4, 0x7f800000, v5, vcc_lo
	v_add_f32_e32 v4, 1.0, v4
	v_div_scale_f32 v5, null, v4, v4, v3
	v_div_scale_f32 v8, vcc_lo, v3, v4, v3
	v_rcp_f32_e32 v6, v5
	v_fma_f32 v7, -v5, v6, 1.0
	v_fmac_f32_e32 v6, v7, v6
	v_mul_f32_e32 v7, v8, v6
	v_fma_f32 v9, -v5, v7, v8
	v_fmac_f32_e32 v7, v9, v6
	v_max_f32_e32 v9, v1, v1
	v_fma_f32 v5, -v5, v7, v8
	v_min_f32_e32 v8, 0x40e00000, v9
	v_div_fmas_f32 v5, v5, v6, v7
	v_max_f32_e32 v6, 0xc0e00000, v8
	v_div_fixup_f32 v3, v5, v4, v3
	v_add_f32_e32 v4, 1.0, v6
	v_mul_f32_e32 v3, v4, v3
	s_branch .LBB171_29
.LBB171_26:
	s_mov_b32 s1, 0
                                        ; implicit-def: $vgpr3
	s_cbranch_execnz .LBB171_33
	s_branch .LBB171_34
.LBB171_27:
	s_mov_b32 s3, -1
	s_mov_b32 s1, 0
                                        ; implicit-def: $vgpr3
	s_branch .LBB171_30
.LBB171_28:
	s_mov_b32 s1, -1
                                        ; implicit-def: $vgpr3
.LBB171_29:
	s_mov_b32 s3, 0
.LBB171_30:
	s_and_b32 vcc_lo, exec_lo, s3
	s_cbranch_vccz .LBB171_32
; %bb.31:
	v_mul_f32_e32 v3, 0xbfb8aa3b, v2
	v_cmp_nlt_f32_e32 vcc_lo, 0x42ce8ed0, v2
	v_rndne_f32_e32 v4, v3
	v_fma_f32 v5, 0xbfb8aa3b, v2, -v3
	v_sub_f32_e32 v3, v3, v4
	v_fmamk_f32 v5, v2, 0xb2a5705f, v5
	v_cvt_i32_f32_e32 v4, v4
	v_add_f32_e32 v3, v3, v5
	v_exp_f32_e32 v3, v3
	v_ldexp_f32 v3, v3, v4
	v_cndmask_b32_e32 v3, 0, v3, vcc_lo
	v_cmp_ngt_f32_e32 vcc_lo, 0xc2b17218, v2
	v_cndmask_b32_e32 v3, 0x7f800000, v3, vcc_lo
	v_add_f32_e32 v3, 1.0, v3
	v_div_scale_f32 v4, null, v3, v3, v2
	v_rcp_f32_e32 v5, v4
	v_fma_f32 v6, -v4, v5, 1.0
	v_fmac_f32_e32 v5, v6, v5
	v_div_scale_f32 v6, vcc_lo, v2, v3, v2
	v_mul_f32_e32 v7, v6, v5
	v_fma_f32 v8, -v4, v7, v6
	v_fmac_f32_e32 v7, v8, v5
	v_fma_f32 v4, -v4, v7, v6
	v_div_fmas_f32 v4, v4, v5, v7
	v_div_fixup_f32 v3, v4, v3, v2
	v_mul_f32_e32 v3, v1, v3
.LBB171_32:
	s_branch .LBB171_34
.LBB171_33:
	s_cmp_lg_u32 s2, 1
	s_mov_b32 s0, -1
	s_cselect_b32 s1, -1, 0
.LBB171_34:
	s_andn2_b32 vcc_lo, exec_lo, s1
	s_cbranch_vccz .LBB171_36
; %bb.35:
	s_andn2_b32 vcc_lo, exec_lo, s0
	s_cbranch_vccz .LBB171_37
	s_branch .LBB171_42
.LBB171_36:
	v_mul_f32_e32 v3, v2, v1
	s_cbranch_execnz .LBB171_42
.LBB171_37:
	v_mul_f32_e32 v3, 0x3d372713, v2
	v_mul_f32_e32 v4, 0x3f4c422a, v2
	v_fma_f32 v3, v2, v3, 1.0
	v_mul_f32_e32 v3, v4, v3
                                        ; implicit-def: $vgpr4
	v_cmp_ngt_f32_e64 s0, 0x3f200000, |v3|
	s_and_saveexec_b32 s1, s0
	s_xor_b32 s0, exec_lo, s1
	s_cbranch_execz .LBB171_39
; %bb.38:
	v_add_f32_e64 v4, |v3|, |v3|
	v_mul_f32_e32 v5, 0x3fb8aa3b, v4
	v_cmp_ngt_f32_e32 vcc_lo, 0xc2ce8ed0, v4
	v_rndne_f32_e32 v6, v5
	v_fma_f32 v7, 0x3fb8aa3b, v4, -v5
	v_sub_f32_e32 v5, v5, v6
	v_fmamk_f32 v7, v4, 0x32a5705f, v7
	v_cvt_i32_f32_e32 v6, v6
	v_add_f32_e32 v5, v5, v7
	v_exp_f32_e32 v5, v5
	v_ldexp_f32 v5, v5, v6
	v_cndmask_b32_e32 v5, 0, v5, vcc_lo
	v_cmp_nlt_f32_e32 vcc_lo, 0x42b17218, v4
	v_cndmask_b32_e32 v4, 0x7f800000, v5, vcc_lo
	v_add_f32_e32 v4, 1.0, v4
	v_rcp_f32_e32 v4, v4
	v_fma_f32 v4, v4, -2.0, 1.0
.LBB171_39:
	s_andn2_saveexec_b32 s0, s0
	s_cbranch_execz .LBB171_41
; %bb.40:
	v_mul_f32_e32 v4, v3, v3
	s_mov_b32 s1, 0xbbbac73d
	v_fmaak_f32 v5, s1, v4, 0x3ca908c9
	v_fmaak_f32 v5, v4, v5, 0xbd5c1c4e
	;; [unrolled: 1-line block ×4, first 2 shown]
	v_mul_f32_e64 v5, |v3|, v5
	v_fma_f32 v4, v4, v5, |v3|
.LBB171_41:
	s_or_b32 exec_lo, exec_lo, s0
	v_bfi_b32 v3, 0x7fffffff, v4, v3
	v_mul_f32_e32 v2, 0.5, v2
	v_add_f32_e32 v3, 1.0, v3
	v_mul_f32_e32 v2, v2, v3
	v_mul_f32_e32 v3, v1, v2
.LBB171_42:
	v_mov_b32_e32 v1, v3
.LBB171_43:
	s_load_dwordx2 s[0:1], s[4:5], 0x38
	s_mul_i32 s2, s22, s10
	s_mul_i32 s3, s26, s8
	s_add_i32 s2, s2, s6
	v_lshlrev_b32_e32 v0, 2, v0
	s_add_i32 s2, s2, s3
	s_mov_b32 s3, 0
	s_lshl_b64 s[2:3], s[2:3], 2
	s_waitcnt lgkmcnt(0)
	s_add_u32 s0, s0, s2
	s_addc_u32 s1, s1, s3
	global_store_dword v0, v1, s[0:1]
.LBB171_44:
	s_endpgm
	.section	.rodata,"a",@progbits
	.p2align	6, 0x0
	.amdhsa_kernel _ZL13mul_mat_vec_qIL9ggml_type17ELi1ELb1ELb0EEvPKvS2_PKi31ggml_cuda_mm_fusion_args_devicePfj15HIP_vector_typeIjLj3EEjjjS8_jjjS8_jjjj
		.amdhsa_group_segment_fixed_size 0
		.amdhsa_private_segment_fixed_size 0
		.amdhsa_kernarg_size 144
		.amdhsa_user_sgpr_count 6
		.amdhsa_user_sgpr_private_segment_buffer 1
		.amdhsa_user_sgpr_dispatch_ptr 0
		.amdhsa_user_sgpr_queue_ptr 0
		.amdhsa_user_sgpr_kernarg_segment_ptr 1
		.amdhsa_user_sgpr_dispatch_id 0
		.amdhsa_user_sgpr_flat_scratch_init 0
		.amdhsa_user_sgpr_private_segment_size 0
		.amdhsa_wavefront_size32 1
		.amdhsa_uses_dynamic_stack 0
		.amdhsa_system_sgpr_private_segment_wavefront_offset 0
		.amdhsa_system_sgpr_workgroup_id_x 1
		.amdhsa_system_sgpr_workgroup_id_y 1
		.amdhsa_system_sgpr_workgroup_id_z 1
		.amdhsa_system_sgpr_workgroup_info 0
		.amdhsa_system_vgpr_workitem_id 1
		.amdhsa_next_free_vgpr 52
		.amdhsa_next_free_sgpr 40
		.amdhsa_reserve_vcc 1
		.amdhsa_reserve_flat_scratch 0
		.amdhsa_float_round_mode_32 0
		.amdhsa_float_round_mode_16_64 0
		.amdhsa_float_denorm_mode_32 3
		.amdhsa_float_denorm_mode_16_64 3
		.amdhsa_dx10_clamp 1
		.amdhsa_ieee_mode 1
		.amdhsa_fp16_overflow 0
		.amdhsa_workgroup_processor_mode 1
		.amdhsa_memory_ordered 1
		.amdhsa_forward_progress 1
		.amdhsa_shared_vgpr_count 0
		.amdhsa_exception_fp_ieee_invalid_op 0
		.amdhsa_exception_fp_denorm_src 0
		.amdhsa_exception_fp_ieee_div_zero 0
		.amdhsa_exception_fp_ieee_overflow 0
		.amdhsa_exception_fp_ieee_underflow 0
		.amdhsa_exception_fp_ieee_inexact 0
		.amdhsa_exception_int_div_zero 0
	.end_amdhsa_kernel
	.section	.text._ZL13mul_mat_vec_qIL9ggml_type17ELi1ELb1ELb0EEvPKvS2_PKi31ggml_cuda_mm_fusion_args_devicePfj15HIP_vector_typeIjLj3EEjjjS8_jjjS8_jjjj,"axG",@progbits,_ZL13mul_mat_vec_qIL9ggml_type17ELi1ELb1ELb0EEvPKvS2_PKi31ggml_cuda_mm_fusion_args_devicePfj15HIP_vector_typeIjLj3EEjjjS8_jjjS8_jjjj,comdat
.Lfunc_end171:
	.size	_ZL13mul_mat_vec_qIL9ggml_type17ELi1ELb1ELb0EEvPKvS2_PKi31ggml_cuda_mm_fusion_args_devicePfj15HIP_vector_typeIjLj3EEjjjS8_jjjS8_jjjj, .Lfunc_end171-_ZL13mul_mat_vec_qIL9ggml_type17ELi1ELb1ELb0EEvPKvS2_PKi31ggml_cuda_mm_fusion_args_devicePfj15HIP_vector_typeIjLj3EEjjjS8_jjjS8_jjjj
                                        ; -- End function
	.set _ZL13mul_mat_vec_qIL9ggml_type17ELi1ELb1ELb0EEvPKvS2_PKi31ggml_cuda_mm_fusion_args_devicePfj15HIP_vector_typeIjLj3EEjjjS8_jjjS8_jjjj.num_vgpr, 52
	.set _ZL13mul_mat_vec_qIL9ggml_type17ELi1ELb1ELb0EEvPKvS2_PKi31ggml_cuda_mm_fusion_args_devicePfj15HIP_vector_typeIjLj3EEjjjS8_jjjS8_jjjj.num_agpr, 0
	.set _ZL13mul_mat_vec_qIL9ggml_type17ELi1ELb1ELb0EEvPKvS2_PKi31ggml_cuda_mm_fusion_args_devicePfj15HIP_vector_typeIjLj3EEjjjS8_jjjS8_jjjj.numbered_sgpr, 40
	.set _ZL13mul_mat_vec_qIL9ggml_type17ELi1ELb1ELb0EEvPKvS2_PKi31ggml_cuda_mm_fusion_args_devicePfj15HIP_vector_typeIjLj3EEjjjS8_jjjS8_jjjj.num_named_barrier, 0
	.set _ZL13mul_mat_vec_qIL9ggml_type17ELi1ELb1ELb0EEvPKvS2_PKi31ggml_cuda_mm_fusion_args_devicePfj15HIP_vector_typeIjLj3EEjjjS8_jjjS8_jjjj.private_seg_size, 0
	.set _ZL13mul_mat_vec_qIL9ggml_type17ELi1ELb1ELb0EEvPKvS2_PKi31ggml_cuda_mm_fusion_args_devicePfj15HIP_vector_typeIjLj3EEjjjS8_jjjS8_jjjj.uses_vcc, 1
	.set _ZL13mul_mat_vec_qIL9ggml_type17ELi1ELb1ELb0EEvPKvS2_PKi31ggml_cuda_mm_fusion_args_devicePfj15HIP_vector_typeIjLj3EEjjjS8_jjjS8_jjjj.uses_flat_scratch, 0
	.set _ZL13mul_mat_vec_qIL9ggml_type17ELi1ELb1ELb0EEvPKvS2_PKi31ggml_cuda_mm_fusion_args_devicePfj15HIP_vector_typeIjLj3EEjjjS8_jjjS8_jjjj.has_dyn_sized_stack, 0
	.set _ZL13mul_mat_vec_qIL9ggml_type17ELi1ELb1ELb0EEvPKvS2_PKi31ggml_cuda_mm_fusion_args_devicePfj15HIP_vector_typeIjLj3EEjjjS8_jjjS8_jjjj.has_recursion, 0
	.set _ZL13mul_mat_vec_qIL9ggml_type17ELi1ELb1ELb0EEvPKvS2_PKi31ggml_cuda_mm_fusion_args_devicePfj15HIP_vector_typeIjLj3EEjjjS8_jjjS8_jjjj.has_indirect_call, 0
	.section	.AMDGPU.csdata,"",@progbits
; Kernel info:
; codeLenInByte = 6384
; TotalNumSgprs: 42
; NumVgprs: 52
; ScratchSize: 0
; MemoryBound: 0
; FloatMode: 240
; IeeeMode: 1
; LDSByteSize: 0 bytes/workgroup (compile time only)
; SGPRBlocks: 0
; VGPRBlocks: 6
; NumSGPRsForWavesPerEU: 42
; NumVGPRsForWavesPerEU: 52
; Occupancy: 16
; WaveLimiterHint : 0
; COMPUTE_PGM_RSRC2:SCRATCH_EN: 0
; COMPUTE_PGM_RSRC2:USER_SGPR: 6
; COMPUTE_PGM_RSRC2:TRAP_HANDLER: 0
; COMPUTE_PGM_RSRC2:TGID_X_EN: 1
; COMPUTE_PGM_RSRC2:TGID_Y_EN: 1
; COMPUTE_PGM_RSRC2:TGID_Z_EN: 1
; COMPUTE_PGM_RSRC2:TIDIG_COMP_CNT: 1
	.section	.text._ZL13mul_mat_vec_qIL9ggml_type17ELi1ELb0ELb0EEvPKvS2_PKi31ggml_cuda_mm_fusion_args_devicePfj15HIP_vector_typeIjLj3EEjjjS8_jjjS8_jjjj,"axG",@progbits,_ZL13mul_mat_vec_qIL9ggml_type17ELi1ELb0ELb0EEvPKvS2_PKi31ggml_cuda_mm_fusion_args_devicePfj15HIP_vector_typeIjLj3EEjjjS8_jjjS8_jjjj,comdat
	.globl	_ZL13mul_mat_vec_qIL9ggml_type17ELi1ELb0ELb0EEvPKvS2_PKi31ggml_cuda_mm_fusion_args_devicePfj15HIP_vector_typeIjLj3EEjjjS8_jjjS8_jjjj ; -- Begin function _ZL13mul_mat_vec_qIL9ggml_type17ELi1ELb0ELb0EEvPKvS2_PKi31ggml_cuda_mm_fusion_args_devicePfj15HIP_vector_typeIjLj3EEjjjS8_jjjS8_jjjj
	.p2align	8
	.type	_ZL13mul_mat_vec_qIL9ggml_type17ELi1ELb0ELb0EEvPKvS2_PKi31ggml_cuda_mm_fusion_args_devicePfj15HIP_vector_typeIjLj3EEjjjS8_jjjS8_jjjj,@function
_ZL13mul_mat_vec_qIL9ggml_type17ELi1ELb0ELb0EEvPKvS2_PKi31ggml_cuda_mm_fusion_args_devicePfj15HIP_vector_typeIjLj3EEjjjS8_jjjS8_jjjj: ; @_ZL13mul_mat_vec_qIL9ggml_type17ELi1ELb0ELb0EEvPKvS2_PKi31ggml_cuda_mm_fusion_args_devicePfj15HIP_vector_typeIjLj3EEjjjS8_jjjS8_jjjj
; %bb.0:
	s_clause 0x1
	s_load_dwordx2 s[0:1], s[4:5], 0x10
	s_load_dwordx4 s[16:19], s[4:5], 0x40
	s_mov_b32 s10, s7
	s_waitcnt lgkmcnt(0)
	s_cmp_lg_u64 s[0:1], 0
	s_cselect_b32 s7, -1, 0
	s_cmp_eq_u64 s[0:1], 0
	s_cbranch_scc1 .LBB172_5
; %bb.1:
	s_mov_b32 s11, 0
	s_lshl_b64 s[2:3], s[10:11], 2
	s_add_u32 s0, s0, s2
	s_addc_u32 s1, s1, s3
	s_load_dword s20, s[0:1], 0x0
	s_clause 0x1
	s_load_dwordx4 s[0:3], s[4:5], 0x68
	s_load_dword s21, s[4:5], 0x50
	s_cbranch_execnz .LBB172_3
.LBB172_2:
	s_load_dwordx2 s[12:13], s[4:5], 0x5c
	s_waitcnt lgkmcnt(0)
	s_mul_hi_u32 s9, s12, s10
	s_add_i32 s9, s10, s9
	s_lshr_b32 s20, s9, s13
.LBB172_3:
	s_load_dword s11, s[4:5], 0x78
	s_andn2_b32 vcc_lo, exec_lo, s7
	s_cbranch_vccnz .LBB172_6
; %bb.4:
	s_mul_hi_u32 s7, s17, s10
	s_add_i32 s7, s10, s7
	s_lshr_b32 s7, s7, s18
	s_mul_i32 s7, s7, s19
	s_sub_i32 s17, s10, s7
	s_branch .LBB172_7
.LBB172_5:
                                        ; implicit-def: $sgpr20
	s_clause 0x1
	s_load_dwordx4 s[0:3], s[4:5], 0x68
	s_load_dword s21, s[4:5], 0x50
	s_branch .LBB172_2
.LBB172_6:
	s_mov_b32 s17, s10
.LBB172_7:
	s_load_dwordx4 s[12:15], s[4:5], 0x80
	v_lshl_or_b32 v2, v1, 5, v0
	v_mov_b32_e32 v13, 0
	s_lshr_b32 s9, s16, 8
	s_mov_b32 s7, exec_lo
	v_lshrrev_b32_e32 v12, 3, v2
	v_cmpx_gt_u32_e64 s9, v12
	s_cbranch_execz .LBB172_11
; %bb.8:
	v_lshrrev_b32_e32 v2, 3, v2
	s_waitcnt lgkmcnt(0)
	s_mul_i32 s1, s17, s1
	v_and_b32_e32 v14, 7, v0
	s_mul_hi_u32 s17, s1, 36
	s_mul_i32 s16, s1, 36
	s_mul_i32 s1, s13, s8
	v_mad_u64_u32 v[2:3], null, 0x120, v2, s[16:17]
	s_load_dwordx4 s[16:19], s[4:5], 0x0
	v_lshlrev_b32_e32 v4, 1, v0
	s_mul_i32 s21, s21, s6
	v_mov_b32_e32 v15, 0
	v_mov_b32_e32 v13, 0
	v_mad_u64_u32 v[2:3], null, s1, 36, v[2:3]
	v_and_b32_e32 v4, 14, v4
	s_mul_hi_u32 s1, s3, s8
	s_mov_b32 s3, 0
	s_add_i32 s1, s8, s1
	v_lshlrev_b32_e32 v4, 1, v4
	v_mad_u64_u32 v[2:3], null, v14, 36, v[2:3]
	s_lshr_b32 s1, s1, s11
	s_mul_i32 s11, s20, s0
	s_mul_i32 s0, s1, s12
	v_lshlrev_b32_e32 v16, 1, v4
	s_add_i32 s0, s0, s21
	s_waitcnt lgkmcnt(0)
	v_add_co_u32 v2, vcc_lo, s18, v2
	v_add_co_ci_u32_e64 v3, null, s19, v3, vcc_lo
	s_add_i32 s11, s11, s0
	v_add_co_u32 v10, vcc_lo, v2, 32
	v_add_co_ci_u32_e64 v11, null, 0, v3, vcc_lo
.LBB172_9:                              ; =>This Inner Loop Header: Depth=1
	v_add_nc_u32_e32 v17, s11, v12
	s_clause 0x1
	global_load_dwordx4 v[2:5], v[10:11], off offset:-32
	global_load_dwordx4 v[6:9], v[10:11], off offset:-16
	s_getpc_b64 s[0:1]
	s_add_u32 s0, s0, _ZL10iq2xs_grid@rel32@lo+4
	s_addc_u32 s1, s1, _ZL10iq2xs_grid@rel32@hi+12
	v_add_nc_u32_e32 v12, 4, v12
	v_mad_i64_i32 v[18:19], null, 0x4a, v17, s[16:17]
	v_add_co_u32 v20, vcc_lo, v18, v16
	v_add_co_ci_u32_e64 v21, null, 0, v19, vcc_lo
	v_add_co_u32 v22, vcc_lo, v18, v14
	v_add_co_ci_u32_e64 v23, null, 0, v19, vcc_lo
	s_clause 0x2
	global_load_dwordx2 v[20:21], v[20:21], off offset:2
	global_load_ubyte v17, v[22:23], off offset:66
	global_load_ushort v28, v[18:19], off
	s_waitcnt vmcnt(4)
	v_cvt_f32_f16_e32 v2, v2
	s_waitcnt vmcnt(2)
	v_and_b32_e32 v18, 0x1ff, v20
	v_lshrrev_b32_e32 v19, 13, v20
	v_and_b32_e32 v23, 0x1ff, v21
	v_lshrrev_b32_e32 v24, 13, v21
	v_lshrrev_b32_e32 v22, 25, v20
	;; [unrolled: 1-line block ×3, first 2 shown]
	v_lshlrev_b32_e32 v18, 3, v18
	v_and_b32_e32 v26, 0xff8, v19
	v_lshlrev_b32_e32 v27, 3, v23
	v_and_b32_e32 v34, 0xff8, v24
	v_bcnt_u32_b32 v32, v22, 0
	v_bcnt_u32_b32 v35, v25, 0
	s_clause 0x3
	global_load_dwordx2 v[18:19], v18, s[0:1]
	global_load_dwordx2 v[22:23], v26, s[0:1]
	;; [unrolled: 1-line block ×4, first 2 shown]
	v_bfe_u32 v29, v20, 9, 7
	v_bfe_u32 v30, v21, 9, 7
	v_and_b32_e32 v32, 1, v32
	v_and_b32_e32 v34, 1, v35
	v_bcnt_u32_b32 v31, v29, 0
	v_bcnt_u32_b32 v33, v30, 0
	v_alignbit_b32 v20, v32, v20, 25
	v_alignbit_b32 v21, v34, v21, 25
	v_and_b32_e32 v31, 1, v31
	v_and_b32_e32 v33, 1, v33
	v_mul_lo_u32 v20, 0x1010101, v20
	v_mul_lo_u32 v21, 0x1010101, v21
	v_lshl_or_b32 v29, v31, 7, v29
	v_lshl_or_b32 v30, v33, 7, v30
	v_mul_lo_u32 v29, 0x1010101, v29
	v_and_b32_e32 v35, 0x8040201, v20
	v_and_b32_e32 v38, 0x80402010, v20
	v_mul_lo_u32 v30, 0x1010101, v30
	v_lshrrev_b32_e32 v36, 18, v20
	v_and_b32_e32 v43, 0x8040201, v21
	v_bfe_i32 v37, v20, 0, 1
	v_lshrrev_b16 v51, 4, v38
	v_and_b32_e32 v31, 0x8040201, v29
	v_and_b32_e32 v34, 0x80402010, v29
	v_lshrrev_b32_e32 v32, 18, v29
	v_and_b32_e32 v39, 0x8040201, v30
	v_and_b32_e32 v42, 0x80402010, v30
	v_cmp_ne_u16_sdwa s0, v31, v15 src0_sel:BYTE_1 src1_sel:DWORD
	v_lshrrev_b16 v48, 4, v34
	v_bfe_i32 v33, v29, 0, 1
	v_lshrrev_b32_e32 v29, 22, v29
	v_bfe_i32 v32, v32, 0, 1
	v_cndmask_b32_e64 v47, 0, -1, s0
	v_cmp_ne_u16_sdwa s0, v31, v15 src0_sel:BYTE_3 src1_sel:DWORD
	v_bfe_i32 v48, v48, 0, 1
	v_bfe_i32 v29, v29, 0, 1
	v_lshrrev_b32_e32 v20, 22, v20
	v_lshlrev_b16 v47, 8, v47
	v_cndmask_b32_e64 v31, 0, -1, s0
	v_cmp_ne_u16_sdwa s0, v34, v15 src0_sel:BYTE_1 src1_sel:DWORD
	v_bfe_i32 v36, v36, 0, 1
	v_lshrrev_b16 v54, 4, v42
	v_or_b32_sdwa v59, v33, v47 dst_sel:DWORD dst_unused:UNUSED_PAD src0_sel:BYTE_0 src1_sel:DWORD
	v_lshlrev_b16 v31, 8, v31
	v_cndmask_b32_e64 v49, 0, -1, s0
	v_cmp_ne_u16_sdwa s0, v34, v15 src0_sel:BYTE_3 src1_sel:DWORD
	v_lshrrev_b32_e32 v40, 18, v30
	v_and_b32_e32 v46, 0x80402010, v21
	v_or_b32_sdwa v60, v32, v31 dst_sel:WORD_1 dst_unused:UNUSED_PAD src0_sel:BYTE_0 src1_sel:DWORD
	v_lshlrev_b16 v49, 8, v49
	v_cndmask_b32_e64 v34, 0, -1, s0
	v_cmp_ne_u16_sdwa s0, v35, v15 src0_sel:BYTE_1 src1_sel:DWORD
	v_bfe_i32 v20, v20, 0, 1
	v_or_b32_sdwa v59, v59, v60 dst_sel:DWORD dst_unused:UNUSED_PAD src0_sel:WORD_0 src1_sel:DWORD
	v_or_b32_sdwa v61, v48, v49 dst_sel:DWORD dst_unused:UNUSED_PAD src0_sel:BYTE_0 src1_sel:DWORD
	v_lshlrev_b16 v34, 8, v34
	v_cndmask_b32_e64 v50, 0, -1, s0
	v_cmp_ne_u16_sdwa s0, v35, v15 src0_sel:BYTE_3 src1_sel:DWORD
	v_bfe_i32 v51, v51, 0, 1
	v_bfe_i32 v41, v30, 0, 1
	v_or_b32_sdwa v60, v29, v34 dst_sel:WORD_1 dst_unused:UNUSED_PAD src0_sel:BYTE_0 src1_sel:DWORD
	v_lshlrev_b16 v50, 8, v50
	v_cndmask_b32_e64 v35, 0, -1, s0
	v_cmp_ne_u16_sdwa s0, v38, v15 src0_sel:BYTE_1 src1_sel:DWORD
	v_lshrrev_b32_e32 v30, 22, v30
	v_or_b32_sdwa v60, v61, v60 dst_sel:DWORD dst_unused:UNUSED_PAD src0_sel:WORD_0 src1_sel:DWORD
	v_or_b32_sdwa v61, v37, v50 dst_sel:DWORD dst_unused:UNUSED_PAD src0_sel:BYTE_0 src1_sel:DWORD
	v_lshlrev_b16 v35, 8, v35
	v_cndmask_b32_e64 v52, 0, -1, s0
	v_cmp_ne_u16_sdwa s0, v38, v15 src0_sel:BYTE_3 src1_sel:DWORD
	v_bfe_i32 v40, v40, 0, 1
	v_lshrrev_b32_e32 v44, 18, v21
	v_bfe_i32 v30, v30, 0, 1
	v_lshlrev_b16 v52, 8, v52
	v_cndmask_b32_e64 v38, 0, -1, s0
	v_cmp_ne_u16_sdwa s0, v39, v15 src0_sel:BYTE_1 src1_sel:DWORD
	v_bfe_i32 v54, v54, 0, 1
	v_bfe_i32 v45, v21, 0, 1
	v_lshrrev_b32_e32 v21, 22, v21
	v_lshlrev_b16 v38, 8, v38
	v_cndmask_b32_e64 v53, 0, -1, s0
	v_cmp_ne_u16_sdwa s0, v39, v15 src0_sel:BYTE_3 src1_sel:DWORD
	v_bfe_i32 v44, v44, 0, 1
	v_lshrrev_b16 v57, 4, v46
	v_bfe_i32 v21, v21, 0, 1
	v_lshlrev_b16 v53, 8, v53
	v_cndmask_b32_e64 v39, 0, -1, s0
	v_cmp_ne_u16_sdwa s0, v42, v15 src0_sel:BYTE_1 src1_sel:DWORD
	v_bfe_i32 v57, v57, 0, 1
	v_lshlrev_b16 v33, 8, v33
	v_lshlrev_b16 v48, 8, v48
	;; [unrolled: 1-line block ×3, first 2 shown]
	v_cndmask_b32_e64 v55, 0, -1, s0
	v_cmp_ne_u16_sdwa s0, v42, v15 src0_sel:BYTE_3 src1_sel:DWORD
	v_lshlrev_b16 v37, 8, v37
	v_lshlrev_b16 v32, 8, v32
	;; [unrolled: 1-line block ×4, first 2 shown]
	v_cndmask_b32_e64 v42, 0, -1, s0
	v_cmp_ne_u16_sdwa s0, v43, v15 src0_sel:BYTE_1 src1_sel:DWORD
	v_lshlrev_b16 v42, 8, v42
	v_cndmask_b32_e64 v56, 0, -1, s0
	v_cmp_ne_u16_sdwa s0, v43, v15 src0_sel:BYTE_3 src1_sel:DWORD
	v_lshlrev_b16 v56, 8, v56
	v_cndmask_b32_e64 v43, 0, -1, s0
	v_cmp_ne_u16_sdwa s0, v46, v15 src0_sel:BYTE_1 src1_sel:DWORD
	v_lshlrev_b16 v43, 8, v43
	v_cndmask_b32_e64 v58, 0, -1, s0
	v_cmp_ne_u16_sdwa s0, v46, v15 src0_sel:BYTE_3 src1_sel:DWORD
	v_lshlrev_b16 v58, 8, v58
	v_cndmask_b32_e64 v46, 0, -1, s0
	v_cmp_le_u32_e64 s0, s9, v12
	v_lshlrev_b16 v46, 8, v46
	s_or_b32 s3, s0, s3
	s_waitcnt vmcnt(3)
	v_xor_b32_e32 v18, v18, v59
	v_or_b32_sdwa v59, v36, v35 dst_sel:WORD_1 dst_unused:UNUSED_PAD src0_sel:BYTE_0 src1_sel:DWORD
	v_xor_b32_e32 v19, v19, v60
	v_or_b32_sdwa v60, v51, v52 dst_sel:DWORD dst_unused:UNUSED_PAD src0_sel:BYTE_0 src1_sel:DWORD
	v_lshlrev_b16 v51, 8, v51
	v_lshlrev_b16 v36, 8, v36
	v_or_b32_sdwa v59, v61, v59 dst_sel:DWORD dst_unused:UNUSED_PAD src0_sel:WORD_0 src1_sel:DWORD
	v_or_b32_sdwa v61, v20, v38 dst_sel:WORD_1 dst_unused:UNUSED_PAD src0_sel:BYTE_0 src1_sel:DWORD
	v_lshlrev_b16 v20, 8, v20
	s_waitcnt vmcnt(2)
	v_xor_b32_e32 v22, v22, v59
	v_or_b32_sdwa v60, v60, v61 dst_sel:DWORD dst_unused:UNUSED_PAD src0_sel:WORD_0 src1_sel:DWORD
	v_or_b32_sdwa v61, v41, v53 dst_sel:DWORD dst_unused:UNUSED_PAD src0_sel:BYTE_0 src1_sel:DWORD
	v_or_b32_sdwa v59, v40, v39 dst_sel:WORD_1 dst_unused:UNUSED_PAD src0_sel:BYTE_0 src1_sel:DWORD
	v_lshlrev_b16 v41, 8, v41
	v_lshlrev_b16 v40, 8, v40
	v_xor_b32_e32 v23, v23, v60
	v_or_b32_sdwa v60, v54, v55 dst_sel:DWORD dst_unused:UNUSED_PAD src0_sel:BYTE_0 src1_sel:DWORD
	v_or_b32_sdwa v59, v61, v59 dst_sel:DWORD dst_unused:UNUSED_PAD src0_sel:WORD_0 src1_sel:DWORD
	v_or_b32_sdwa v61, v30, v42 dst_sel:WORD_1 dst_unused:UNUSED_PAD src0_sel:BYTE_0 src1_sel:DWORD
	v_lshlrev_b16 v54, 8, v54
	v_lshlrev_b16 v30, 8, v30
	s_waitcnt vmcnt(1)
	v_xor_b32_e32 v24, v24, v59
	v_or_b32_sdwa v60, v60, v61 dst_sel:DWORD dst_unused:UNUSED_PAD src0_sel:WORD_0 src1_sel:DWORD
	v_or_b32_sdwa v61, v45, v56 dst_sel:DWORD dst_unused:UNUSED_PAD src0_sel:BYTE_0 src1_sel:DWORD
	v_or_b32_sdwa v59, v44, v43 dst_sel:WORD_1 dst_unused:UNUSED_PAD src0_sel:BYTE_0 src1_sel:DWORD
	v_lshlrev_b16 v45, 8, v45
	v_lshlrev_b16 v44, 8, v44
	v_xor_b32_e32 v25, v25, v60
	v_or_b32_sdwa v60, v57, v58 dst_sel:DWORD dst_unused:UNUSED_PAD src0_sel:BYTE_0 src1_sel:DWORD
	v_or_b32_sdwa v59, v61, v59 dst_sel:DWORD dst_unused:UNUSED_PAD src0_sel:WORD_0 src1_sel:DWORD
	v_or_b32_sdwa v61, v21, v46 dst_sel:WORD_1 dst_unused:UNUSED_PAD src0_sel:BYTE_0 src1_sel:DWORD
	v_lshlrev_b16 v57, 8, v57
	v_lshlrev_b16 v21, 8, v21
	s_waitcnt vmcnt(0)
	v_xor_b32_e32 v26, v26, v59
	v_or_b32_sdwa v60, v60, v61 dst_sel:DWORD dst_unused:UNUSED_PAD src0_sel:WORD_0 src1_sel:DWORD
	global_load_dword v61, v[10:11], off
	v_mov_b32_e32 v59, 0
	v_add_co_u32 v10, vcc_lo, 0x480, v10
	v_xor_b32_e32 v27, v27, v60
	v_and_b32_e32 v60, 0xffffff00, v18
	v_add_co_ci_u32_e64 v11, null, 0, v11, vcc_lo
	v_sub_nc_i16 v47, v60, v47 clamp
	v_lshlrev_b16 v60, 8, v18
	v_lshrrev_b32_e32 v18, 16, v18
	v_sub_nc_i16 v33, v60, v33 clamp
	v_and_b32_e32 v60, 0xffffff00, v19
	v_perm_b32 v33, v33, v47, 0xc0c0105
	v_sub_nc_i16 v49, v60, v49 clamp
	v_lshlrev_b16 v60, 8, v19
	v_lshrrev_b32_e32 v19, 16, v19
	v_and_b32_e32 v47, 0xffffff00, v18
	v_lshlrev_b16 v18, 8, v18
	v_sub_nc_i16 v48, v60, v48 clamp
	v_and_b32_e32 v60, 0xffffff00, v22
	v_sub_nc_i16 v31, v47, v31 clamp
	v_and_b32_e32 v47, 0xffffff00, v19
	v_lshlrev_b16 v19, 8, v19
	v_sub_nc_i16 v18, v18, v32 clamp
	v_sub_nc_i16 v50, v60, v50 clamp
	v_lshlrev_b16 v60, 8, v22
	v_sub_nc_i16 v34, v47, v34 clamp
	v_lshrrev_b32_e32 v22, 16, v22
	v_perm_b32 v48, v48, v49, 0xc0c0105
	v_sub_nc_i16 v19, v19, v29 clamp
	v_sub_nc_i16 v37, v60, v37 clamp
	v_and_b32_e32 v60, 0xffffff00, v23
	v_and_b32_e32 v32, 0xffffff00, v22
	v_lshlrev_b16 v22, 8, v22
	v_perm_b32 v18, v18, v31, 0xc0c0105
	v_perm_b32 v37, v37, v50, 0xc0c0105
	v_sub_nc_i16 v52, v60, v52 clamp
	v_lshlrev_b16 v60, 8, v23
	v_lshrrev_b32_e32 v23, 16, v23
	v_sub_nc_i16 v32, v32, v35 clamp
	v_sub_nc_i16 v22, v22, v36 clamp
	v_perm_b32 v19, v19, v34, 0xc0c0105
	v_sub_nc_i16 v51, v60, v51 clamp
	v_and_b32_e32 v60, 0xffffff00, v24
	v_and_b32_e32 v49, 0xffffff00, v23
	v_lshlrev_b16 v23, 8, v23
	v_lshl_or_b32 v18, v18, 16, v33
	v_perm_b32 v22, v22, v32, 0xc0c0105
	v_sub_nc_i16 v53, v60, v53 clamp
	v_lshlrev_b16 v60, 8, v24
	v_lshrrev_b32_e32 v24, 16, v24
	v_sub_nc_i16 v20, v23, v20 clamp
	v_sub_nc_i16 v38, v49, v38 clamp
	v_lshl_or_b32 v19, v19, 16, v48
	v_sub_nc_i16 v41, v60, v41 clamp
	v_and_b32_e32 v60, 0xffffff00, v25
	v_and_b32_e32 v47, 0xffffff00, v24
	v_lshlrev_b16 v24, 8, v24
	v_dot4c_i32_i8 v59, v18, v3
	v_perm_b32 v23, v41, v53, 0xc0c0105
	v_sub_nc_i16 v55, v60, v55 clamp
	v_lshlrev_b16 v60, 8, v25
	v_lshrrev_b32_e32 v25, 16, v25
	v_sub_nc_i16 v39, v47, v39 clamp
	v_sub_nc_i16 v24, v24, v40 clamp
	v_perm_b32 v36, v51, v52, 0xc0c0105
	v_sub_nc_i16 v54, v60, v54 clamp
	v_and_b32_e32 v60, 0xffffff00, v26
	v_and_b32_e32 v29, 0xffffff00, v25
	v_lshlrev_b16 v25, 8, v25
	v_perm_b32 v24, v24, v39, 0xc0c0105
	v_perm_b32 v40, v54, v55, 0xc0c0105
	v_sub_nc_i16 v56, v60, v56 clamp
	v_lshlrev_b16 v60, 8, v26
	v_lshrrev_b32_e32 v26, 16, v26
	v_sub_nc_i16 v29, v29, v42 clamp
	v_sub_nc_i16 v25, v25, v30 clamp
	v_lshl_or_b32 v23, v24, 16, v23
	v_sub_nc_i16 v45, v60, v45 clamp
	v_and_b32_e32 v60, 0xffffff00, v27
	v_and_b32_e32 v50, 0xffffff00, v26
	v_lshlrev_b16 v26, 8, v26
	v_perm_b32 v25, v25, v29, 0xc0c0105
	v_perm_b32 v30, v45, v56, 0xc0c0105
	v_sub_nc_i16 v58, v60, v58 clamp
	v_lshlrev_b16 v60, 8, v27
	v_lshrrev_b32_e32 v27, 16, v27
	v_sub_nc_i16 v41, v50, v43 clamp
	v_sub_nc_i16 v26, v26, v44 clamp
	v_lshl_or_b32 v24, v25, 16, v40
	v_sub_nc_i16 v57, v60, v57 clamp
	v_mov_b32_e32 v60, 0
	v_and_b32_e32 v35, 0xffffff00, v27
	v_lshlrev_b16 v27, 8, v27
	v_perm_b32 v26, v26, v41, 0xc0c0105
	v_perm_b32 v42, v57, v58, 0xc0c0105
	v_dot4c_i32_i8 v60, v23, v7
	v_sub_nc_i16 v35, v35, v46 clamp
	v_sub_nc_i16 v21, v27, v21 clamp
	v_perm_b32 v20, v20, v38, 0xc0c0105
	v_lshl_or_b32 v3, v22, 16, v37
	v_lshl_or_b32 v7, v26, 16, v30
	v_dot4c_i32_i8 v59, v19, v4
	v_perm_b32 v21, v21, v35, 0xc0c0105
	v_dot4c_i32_i8 v60, v24, v8
	v_lshl_or_b32 v4, v20, 16, v36
	v_dot4c_i32_i8 v59, v3, v5
	v_lshl_or_b32 v8, v21, 16, v42
	v_dot4c_i32_i8 v60, v7, v9
	v_dot4c_i32_i8 v59, v4, v6
	v_and_b32_e32 v4, 15, v17
	v_lshrrev_b32_e32 v6, 4, v17
	v_mul_lo_u32 v4, v59, v4
	s_waitcnt vmcnt(0)
	v_dot4c_i32_i8 v60, v8, v61
	v_add_nc_u32_e32 v3, v60, v59
	v_lshrrev_b32_e32 v5, 31, v3
	v_add_nc_u32_e32 v3, v3, v5
	v_mul_lo_u32 v5, v60, v6
	v_ashrrev_i32_e32 v3, 1, v3
	v_add3_u32 v3, v5, v4, v3
	v_ashrrev_i32_e32 v4, 31, v3
	v_lshrrev_b32_e32 v4, 30, v4
	v_add_nc_u32_e32 v3, v3, v4
	v_cvt_f32_f16_e32 v4, v28
	v_ashrrev_i32_e32 v3, 2, v3
	v_mul_f32_e32 v2, v4, v2
	v_cvt_f32_i32_e32 v3, v3
	v_fmac_f32_e32 v13, v2, v3
	s_andn2_b32 exec_lo, exec_lo, s3
	s_cbranch_execnz .LBB172_9
; %bb.10:
	s_or_b32 exec_lo, exec_lo, s3
.LBB172_11:
	s_or_b32 exec_lo, exec_lo, s7
	s_waitcnt lgkmcnt(0)
	; wave barrier
	buffer_gl0_inv
	s_mov_b32 s0, exec_lo
	v_cmpx_eq_u32_e32 0, v1
	s_cbranch_execz .LBB172_14
; %bb.12:
	v_mbcnt_lo_u32_b32 v1, -1, 0
	v_xor_b32_e32 v2, 16, v1
	v_xor_b32_e32 v3, 8, v1
	;; [unrolled: 1-line block ×3, first 2 shown]
	v_cmp_gt_i32_e32 vcc_lo, 32, v2
	v_cndmask_b32_e32 v2, v1, v2, vcc_lo
	v_cmp_gt_i32_e32 vcc_lo, 32, v3
	v_lshlrev_b32_e32 v2, 2, v2
	v_cndmask_b32_e32 v3, v1, v3, vcc_lo
	v_cmp_gt_i32_e32 vcc_lo, 32, v4
	ds_bpermute_b32 v2, v2, v13
	v_lshlrev_b32_e32 v3, 2, v3
	v_cndmask_b32_e32 v4, v1, v4, vcc_lo
	v_lshlrev_b32_e32 v4, 2, v4
	s_waitcnt lgkmcnt(0)
	v_add_f32_e32 v2, v13, v2
	ds_bpermute_b32 v3, v3, v2
	s_waitcnt lgkmcnt(0)
	v_add_f32_e32 v2, v2, v3
	ds_bpermute_b32 v3, v4, v2
	v_xor_b32_e32 v4, 2, v1
	v_cmp_gt_i32_e32 vcc_lo, 32, v4
	v_cndmask_b32_e32 v4, v1, v4, vcc_lo
	v_lshlrev_b32_e32 v4, 2, v4
	s_waitcnt lgkmcnt(0)
	v_add_f32_e32 v2, v2, v3
	ds_bpermute_b32 v3, v4, v2
	v_xor_b32_e32 v4, 1, v1
	v_cmp_gt_i32_e32 vcc_lo, 32, v4
	v_cndmask_b32_e32 v1, v1, v4, vcc_lo
	v_cmp_eq_u32_e32 vcc_lo, 0, v0
	v_lshlrev_b32_e32 v4, 2, v1
	s_waitcnt lgkmcnt(0)
	v_add_f32_e32 v1, v2, v3
	ds_bpermute_b32 v2, v4, v1
	s_and_b32 exec_lo, exec_lo, vcc_lo
	s_cbranch_execz .LBB172_14
; %bb.13:
	s_load_dwordx2 s[0:1], s[4:5], 0x38
	s_mul_i32 s2, s2, s10
	s_mul_i32 s3, s14, s8
	s_add_i32 s2, s2, s6
	s_waitcnt lgkmcnt(0)
	v_add_f32_e32 v0, v1, v2
	s_add_i32 s2, s2, s3
	s_mov_b32 s3, 0
	v_mov_b32_e32 v1, 0
	s_lshl_b64 s[2:3], s[2:3], 2
	s_add_u32 s0, s0, s2
	s_addc_u32 s1, s1, s3
	global_store_dword v1, v0, s[0:1]
.LBB172_14:
	s_endpgm
	.section	.rodata,"a",@progbits
	.p2align	6, 0x0
	.amdhsa_kernel _ZL13mul_mat_vec_qIL9ggml_type17ELi1ELb0ELb0EEvPKvS2_PKi31ggml_cuda_mm_fusion_args_devicePfj15HIP_vector_typeIjLj3EEjjjS8_jjjS8_jjjj
		.amdhsa_group_segment_fixed_size 0
		.amdhsa_private_segment_fixed_size 0
		.amdhsa_kernarg_size 144
		.amdhsa_user_sgpr_count 6
		.amdhsa_user_sgpr_private_segment_buffer 1
		.amdhsa_user_sgpr_dispatch_ptr 0
		.amdhsa_user_sgpr_queue_ptr 0
		.amdhsa_user_sgpr_kernarg_segment_ptr 1
		.amdhsa_user_sgpr_dispatch_id 0
		.amdhsa_user_sgpr_flat_scratch_init 0
		.amdhsa_user_sgpr_private_segment_size 0
		.amdhsa_wavefront_size32 1
		.amdhsa_uses_dynamic_stack 0
		.amdhsa_system_sgpr_private_segment_wavefront_offset 0
		.amdhsa_system_sgpr_workgroup_id_x 1
		.amdhsa_system_sgpr_workgroup_id_y 1
		.amdhsa_system_sgpr_workgroup_id_z 1
		.amdhsa_system_sgpr_workgroup_info 0
		.amdhsa_system_vgpr_workitem_id 1
		.amdhsa_next_free_vgpr 62
		.amdhsa_next_free_sgpr 22
		.amdhsa_reserve_vcc 1
		.amdhsa_reserve_flat_scratch 0
		.amdhsa_float_round_mode_32 0
		.amdhsa_float_round_mode_16_64 0
		.amdhsa_float_denorm_mode_32 3
		.amdhsa_float_denorm_mode_16_64 3
		.amdhsa_dx10_clamp 1
		.amdhsa_ieee_mode 1
		.amdhsa_fp16_overflow 0
		.amdhsa_workgroup_processor_mode 1
		.amdhsa_memory_ordered 1
		.amdhsa_forward_progress 1
		.amdhsa_shared_vgpr_count 0
		.amdhsa_exception_fp_ieee_invalid_op 0
		.amdhsa_exception_fp_denorm_src 0
		.amdhsa_exception_fp_ieee_div_zero 0
		.amdhsa_exception_fp_ieee_overflow 0
		.amdhsa_exception_fp_ieee_underflow 0
		.amdhsa_exception_fp_ieee_inexact 0
		.amdhsa_exception_int_div_zero 0
	.end_amdhsa_kernel
	.section	.text._ZL13mul_mat_vec_qIL9ggml_type17ELi1ELb0ELb0EEvPKvS2_PKi31ggml_cuda_mm_fusion_args_devicePfj15HIP_vector_typeIjLj3EEjjjS8_jjjS8_jjjj,"axG",@progbits,_ZL13mul_mat_vec_qIL9ggml_type17ELi1ELb0ELb0EEvPKvS2_PKi31ggml_cuda_mm_fusion_args_devicePfj15HIP_vector_typeIjLj3EEjjjS8_jjjS8_jjjj,comdat
.Lfunc_end172:
	.size	_ZL13mul_mat_vec_qIL9ggml_type17ELi1ELb0ELb0EEvPKvS2_PKi31ggml_cuda_mm_fusion_args_devicePfj15HIP_vector_typeIjLj3EEjjjS8_jjjS8_jjjj, .Lfunc_end172-_ZL13mul_mat_vec_qIL9ggml_type17ELi1ELb0ELb0EEvPKvS2_PKi31ggml_cuda_mm_fusion_args_devicePfj15HIP_vector_typeIjLj3EEjjjS8_jjjS8_jjjj
                                        ; -- End function
	.set _ZL13mul_mat_vec_qIL9ggml_type17ELi1ELb0ELb0EEvPKvS2_PKi31ggml_cuda_mm_fusion_args_devicePfj15HIP_vector_typeIjLj3EEjjjS8_jjjS8_jjjj.num_vgpr, 62
	.set _ZL13mul_mat_vec_qIL9ggml_type17ELi1ELb0ELb0EEvPKvS2_PKi31ggml_cuda_mm_fusion_args_devicePfj15HIP_vector_typeIjLj3EEjjjS8_jjjS8_jjjj.num_agpr, 0
	.set _ZL13mul_mat_vec_qIL9ggml_type17ELi1ELb0ELb0EEvPKvS2_PKi31ggml_cuda_mm_fusion_args_devicePfj15HIP_vector_typeIjLj3EEjjjS8_jjjS8_jjjj.numbered_sgpr, 22
	.set _ZL13mul_mat_vec_qIL9ggml_type17ELi1ELb0ELb0EEvPKvS2_PKi31ggml_cuda_mm_fusion_args_devicePfj15HIP_vector_typeIjLj3EEjjjS8_jjjS8_jjjj.num_named_barrier, 0
	.set _ZL13mul_mat_vec_qIL9ggml_type17ELi1ELb0ELb0EEvPKvS2_PKi31ggml_cuda_mm_fusion_args_devicePfj15HIP_vector_typeIjLj3EEjjjS8_jjjS8_jjjj.private_seg_size, 0
	.set _ZL13mul_mat_vec_qIL9ggml_type17ELi1ELb0ELb0EEvPKvS2_PKi31ggml_cuda_mm_fusion_args_devicePfj15HIP_vector_typeIjLj3EEjjjS8_jjjS8_jjjj.uses_vcc, 1
	.set _ZL13mul_mat_vec_qIL9ggml_type17ELi1ELb0ELb0EEvPKvS2_PKi31ggml_cuda_mm_fusion_args_devicePfj15HIP_vector_typeIjLj3EEjjjS8_jjjS8_jjjj.uses_flat_scratch, 0
	.set _ZL13mul_mat_vec_qIL9ggml_type17ELi1ELb0ELb0EEvPKvS2_PKi31ggml_cuda_mm_fusion_args_devicePfj15HIP_vector_typeIjLj3EEjjjS8_jjjS8_jjjj.has_dyn_sized_stack, 0
	.set _ZL13mul_mat_vec_qIL9ggml_type17ELi1ELb0ELb0EEvPKvS2_PKi31ggml_cuda_mm_fusion_args_devicePfj15HIP_vector_typeIjLj3EEjjjS8_jjjS8_jjjj.has_recursion, 0
	.set _ZL13mul_mat_vec_qIL9ggml_type17ELi1ELb0ELb0EEvPKvS2_PKi31ggml_cuda_mm_fusion_args_devicePfj15HIP_vector_typeIjLj3EEjjjS8_jjjS8_jjjj.has_indirect_call, 0
	.section	.AMDGPU.csdata,"",@progbits
; Kernel info:
; codeLenInByte = 3004
; TotalNumSgprs: 24
; NumVgprs: 62
; ScratchSize: 0
; MemoryBound: 0
; FloatMode: 240
; IeeeMode: 1
; LDSByteSize: 0 bytes/workgroup (compile time only)
; SGPRBlocks: 0
; VGPRBlocks: 7
; NumSGPRsForWavesPerEU: 24
; NumVGPRsForWavesPerEU: 62
; Occupancy: 16
; WaveLimiterHint : 0
; COMPUTE_PGM_RSRC2:SCRATCH_EN: 0
; COMPUTE_PGM_RSRC2:USER_SGPR: 6
; COMPUTE_PGM_RSRC2:TRAP_HANDLER: 0
; COMPUTE_PGM_RSRC2:TGID_X_EN: 1
; COMPUTE_PGM_RSRC2:TGID_Y_EN: 1
; COMPUTE_PGM_RSRC2:TGID_Z_EN: 1
; COMPUTE_PGM_RSRC2:TIDIG_COMP_CNT: 1
	.section	.text._ZL13mul_mat_vec_qIL9ggml_type17ELi2ELb0ELb0EEvPKvS2_PKi31ggml_cuda_mm_fusion_args_devicePfj15HIP_vector_typeIjLj3EEjjjS8_jjjS8_jjjj,"axG",@progbits,_ZL13mul_mat_vec_qIL9ggml_type17ELi2ELb0ELb0EEvPKvS2_PKi31ggml_cuda_mm_fusion_args_devicePfj15HIP_vector_typeIjLj3EEjjjS8_jjjS8_jjjj,comdat
	.globl	_ZL13mul_mat_vec_qIL9ggml_type17ELi2ELb0ELb0EEvPKvS2_PKi31ggml_cuda_mm_fusion_args_devicePfj15HIP_vector_typeIjLj3EEjjjS8_jjjS8_jjjj ; -- Begin function _ZL13mul_mat_vec_qIL9ggml_type17ELi2ELb0ELb0EEvPKvS2_PKi31ggml_cuda_mm_fusion_args_devicePfj15HIP_vector_typeIjLj3EEjjjS8_jjjS8_jjjj
	.p2align	8
	.type	_ZL13mul_mat_vec_qIL9ggml_type17ELi2ELb0ELb0EEvPKvS2_PKi31ggml_cuda_mm_fusion_args_devicePfj15HIP_vector_typeIjLj3EEjjjS8_jjjS8_jjjj,@function
_ZL13mul_mat_vec_qIL9ggml_type17ELi2ELb0ELb0EEvPKvS2_PKi31ggml_cuda_mm_fusion_args_devicePfj15HIP_vector_typeIjLj3EEjjjS8_jjjS8_jjjj: ; @_ZL13mul_mat_vec_qIL9ggml_type17ELi2ELb0ELb0EEvPKvS2_PKi31ggml_cuda_mm_fusion_args_devicePfj15HIP_vector_typeIjLj3EEjjjS8_jjjS8_jjjj
; %bb.0:
	s_clause 0x5
	s_load_dword s9, s[4:5], 0x40
	s_load_dwordx4 s[0:3], s[4:5], 0x50
	s_load_dword s24, s[4:5], 0x60
	s_load_dwordx4 s[12:15], s[4:5], 0x68
	;; [unrolled: 2-line block ×3, first 2 shown]
	v_lshl_or_b32 v2, v1, 5, v0
	v_mov_b32_e32 v6, 0
	v_mov_b32_e32 v8, 0
	v_lshrrev_b32_e32 v7, 3, v2
	s_waitcnt lgkmcnt(0)
	s_lshr_b32 s10, s9, 8
	s_mov_b32 s9, exec_lo
	v_cmpx_gt_u32_e64 s10, v7
	s_cbranch_execz .LBB173_4
; %bb.1:
	s_mul_hi_u32 s3, s3, s7
	s_mul_i32 s13, s13, s7
	s_add_i32 s3, s7, s3
	s_mul_hi_u32 s25, s13, 36
	s_lshr_b32 s3, s3, s24
	s_mul_i32 s24, s13, 36
	s_load_dwordx4 s[20:23], s[4:5], 0x0
	v_mad_u64_u32 v[2:3], null, 0x120, v7, s[24:25]
	s_mul_i32 s3, s3, s12
	s_mul_i32 s12, s17, s8
	v_lshlrev_b32_e32 v4, 1, v0
	v_and_b32_e32 v9, 7, v0
	s_mul_hi_u32 s15, s15, s8
	s_mul_hi_u32 s13, s12, 36
	v_mad_u64_u32 v[2:3], null, s12, 36, v[2:3]
	v_and_b32_e32 v6, 14, v4
	s_add_i32 s15, s8, s15
	s_mul_i32 s0, s0, s6
	s_lshr_b32 s11, s15, s11
	s_mul_i32 s15, s12, 36
	v_lshlrev_b32_e32 v6, 1, v6
	v_mad_u64_u32 v[4:5], null, v9, 36, v[2:3]
	v_mov_b32_e32 v10, 0
	s_waitcnt lgkmcnt(0)
	s_add_u32 s12, s22, s15
	s_addc_u32 s13, s23, s13
	s_add_u32 s12, s12, s24
	s_addc_u32 s13, s13, s25
	v_lshl_add_u32 v11, v7, 3, s1
	v_add_co_u32 v4, vcc_lo, s22, v4
	v_add_co_ci_u32_e64 v5, null, s23, v5, vcc_lo
	v_mad_u64_u32 v[2:3], null, v9, 36, s[12:13]
	v_add_co_u32 v4, vcc_lo, v4, 32
	v_add_co_ci_u32_e64 v5, null, 0, v5, vcc_lo
	v_lshlrev_b32_e32 v12, 1, v6
	v_mov_b32_e32 v6, 0
	v_mov_b32_e32 v8, 0
	s_mul_i32 s11, s11, s16
	s_add_i32 s3, s3, s0
	s_add_i32 s11, s11, s3
	s_mov_b32 s3, 0
.LBB173_2:                              ; =>This Inner Loop Header: Depth=1
	v_add_nc_u32_e32 v17, s11, v7
	global_load_dwordx4 v[13:16], v[4:5], off offset:-32
	s_getpc_b64 s[0:1]
	s_add_u32 s0, s0, _ZL10iq2xs_grid@rel32@lo+4
	s_addc_u32 s1, s1, _ZL10iq2xs_grid@rel32@hi+12
	v_add_nc_u32_e32 v7, 4, v7
	v_mad_i64_i32 v[17:18], null, 0x4a, v17, s[20:21]
	v_add_co_u32 v19, vcc_lo, v17, v12
	v_add_co_ci_u32_e64 v20, null, 0, v18, vcc_lo
	v_add_co_u32 v21, vcc_lo, v17, v9
	v_add_co_ci_u32_e64 v22, null, 0, v18, vcc_lo
	s_clause 0x2
	global_load_dwordx2 v[19:20], v[19:20], off offset:2
	global_load_ubyte v29, v[21:22], off offset:66
	global_load_ushort v30, v[17:18], off
	s_waitcnt vmcnt(3)
	v_cvt_f32_f16_e32 v13, v13
	s_waitcnt vmcnt(2)
	v_and_b32_e32 v17, 0x1ff, v19
	v_lshrrev_b32_e32 v18, 13, v19
	v_and_b32_e32 v22, 0x1ff, v20
	v_lshrrev_b32_e32 v23, 13, v20
	v_lshrrev_b32_e32 v21, 25, v19
	;; [unrolled: 1-line block ×3, first 2 shown]
	v_lshlrev_b32_e32 v17, 3, v17
	v_and_b32_e32 v25, 0xff8, v18
	v_lshlrev_b32_e32 v26, 3, v22
	v_and_b32_e32 v34, 0xff8, v23
	v_bcnt_u32_b32 v32, v21, 0
	v_bcnt_u32_b32 v35, v24, 0
	s_clause 0x3
	global_load_dwordx2 v[17:18], v17, s[0:1]
	global_load_dwordx2 v[21:22], v25, s[0:1]
	;; [unrolled: 1-line block ×4, first 2 shown]
	v_bfe_u32 v27, v19, 9, 7
	v_bfe_u32 v28, v20, 9, 7
	v_and_b32_e32 v32, 1, v32
	v_and_b32_e32 v34, 1, v35
	v_bcnt_u32_b32 v31, v27, 0
	v_bcnt_u32_b32 v33, v28, 0
	v_alignbit_b32 v19, v32, v19, 25
	v_alignbit_b32 v20, v34, v20, 25
	v_and_b32_e32 v31, 1, v31
	v_and_b32_e32 v33, 1, v33
	v_mul_lo_u32 v19, 0x1010101, v19
	v_mul_lo_u32 v20, 0x1010101, v20
	v_lshl_or_b32 v27, v31, 7, v27
	v_lshl_or_b32 v28, v33, 7, v28
	v_mul_lo_u32 v27, 0x1010101, v27
	v_and_b32_e32 v35, 0x8040201, v19
	v_and_b32_e32 v38, 0x80402010, v19
	v_mul_lo_u32 v28, 0x1010101, v28
	v_lshrrev_b32_e32 v36, 18, v19
	v_bfe_i32 v37, v19, 0, 1
	v_lshrrev_b32_e32 v19, 22, v19
	v_lshrrev_b16 v53, 4, v38
	v_and_b32_e32 v31, 0x8040201, v27
	v_and_b32_e32 v34, 0x80402010, v27
	v_lshrrev_b32_e32 v32, 18, v27
	v_bfe_i32 v33, v27, 0, 1
	v_lshrrev_b32_e32 v27, 22, v27
	v_cmp_ne_u16_sdwa s0, v31, v10 src0_sel:BYTE_1 src1_sel:DWORD
	v_lshrrev_b16 v49, 4, v34
	v_and_b32_e32 v39, 0x8040201, v28
	v_bfe_i32 v32, v32, 0, 1
	v_lshlrev_b16 v48, 8, v33
	v_cndmask_b32_e64 v47, 0, -1, s0
	v_cmp_ne_u16_sdwa s0, v31, v10 src0_sel:BYTE_3 src1_sel:DWORD
	v_bfe_i32 v27, v27, 0, 1
	v_bfe_i32 v55, v19, 0, 1
	;; [unrolled: 1-line block ×3, first 2 shown]
	v_lshlrev_b16 v47, 8, v47
	v_cndmask_b32_e64 v31, 0, -1, s0
	v_cmp_ne_u16_sdwa s0, v34, v10 src0_sel:BYTE_1 src1_sel:DWORD
	v_and_b32_e32 v42, 0x80402010, v28
	v_bfe_i32 v36, v36, 0, 1
	v_or_b32_sdwa v33, v33, v47 dst_sel:DWORD dst_unused:UNUSED_PAD src0_sel:BYTE_0 src1_sel:DWORD
	v_lshlrev_b16 v31, 8, v31
	v_cndmask_b32_e64 v50, 0, -1, s0
	v_cmp_ne_u16_sdwa s0, v34, v10 src0_sel:BYTE_3 src1_sel:DWORD
	v_lshrrev_b32_e32 v40, 18, v28
	v_bfe_i32 v41, v28, 0, 1
	v_or_b32_sdwa v60, v32, v31 dst_sel:WORD_1 dst_unused:UNUSED_PAD src0_sel:BYTE_0 src1_sel:DWORD
	v_lshlrev_b16 v50, 8, v50
	v_cndmask_b32_e64 v34, 0, -1, s0
	v_cmp_ne_u16_sdwa s0, v35, v10 src0_sel:BYTE_1 src1_sel:DWORD
	v_lshrrev_b32_e32 v28, 22, v28
	v_or_b32_sdwa v33, v33, v60 dst_sel:DWORD dst_unused:UNUSED_PAD src0_sel:WORD_0 src1_sel:DWORD
	v_or_b32_sdwa v61, v49, v50 dst_sel:DWORD dst_unused:UNUSED_PAD src0_sel:BYTE_0 src1_sel:DWORD
	v_lshlrev_b16 v34, 8, v34
	v_cndmask_b32_e64 v51, 0, -1, s0
	v_cmp_ne_u16_sdwa s0, v35, v10 src0_sel:BYTE_3 src1_sel:DWORD
	v_and_b32_e32 v43, 0x8040201, v20
	v_lshrrev_b32_e32 v44, 18, v20
	v_or_b32_sdwa v60, v27, v34 dst_sel:WORD_1 dst_unused:UNUSED_PAD src0_sel:BYTE_0 src1_sel:DWORD
	v_lshlrev_b16 v51, 8, v51
	v_cndmask_b32_e64 v35, 0, -1, s0
	v_cmp_ne_u16_sdwa s0, v38, v10 src0_sel:BYTE_1 src1_sel:DWORD
	v_bfe_i32 v45, v20, 0, 1
	v_or_b32_sdwa v60, v61, v60 dst_sel:DWORD dst_unused:UNUSED_PAD src0_sel:WORD_0 src1_sel:DWORD
	v_and_b32_e32 v46, 0x80402010, v20
	v_lshlrev_b16 v35, 8, v35
	v_cndmask_b32_e64 v54, 0, -1, s0
	v_cmp_ne_u16_sdwa s0, v38, v10 src0_sel:BYTE_3 src1_sel:DWORD
	v_lshrrev_b32_e32 v20, 22, v20
	v_bfe_i32 v53, v53, 0, 1
	v_lshlrev_b16 v52, 8, v37
	v_lshlrev_b16 v54, 8, v54
	v_cndmask_b32_e64 v19, 0, -1, s0
	v_cmp_ne_u16_sdwa s0, v39, v10 src0_sel:BYTE_1 src1_sel:DWORD
	v_bfe_i32 v40, v40, 0, 1
	v_lshrrev_b16 v57, 4, v42
	v_bfe_i32 v59, v28, 0, 1
	v_lshlrev_b16 v62, 8, v19
	v_cndmask_b32_e64 v38, 0, -1, s0
	v_cmp_ne_u16_sdwa s0, v39, v10 src0_sel:BYTE_3 src1_sel:DWORD
	v_or_b32_sdwa v19, v37, v51 dst_sel:DWORD dst_unused:UNUSED_PAD src0_sel:BYTE_0 src1_sel:DWORD
	v_or_b32_sdwa v37, v53, v54 dst_sel:DWORD dst_unused:UNUSED_PAD src0_sel:BYTE_0 src1_sel:DWORD
	v_cmp_ne_u16_sdwa s1, v46, v10 src0_sel:BYTE_1 src1_sel:DWORD
	v_lshlrev_b16 v56, 8, v41
	v_cndmask_b32_e64 v39, 0, -1, s0
	v_cmp_ne_u16_sdwa s0, v42, v10 src0_sel:BYTE_1 src1_sel:DWORD
	v_bfe_i32 v44, v44, 0, 1
	v_lshlrev_b16 v61, 8, v45
	v_cndmask_b32_e64 v58, 0, -1, s0
	v_cmp_ne_u16_sdwa s0, v42, v10 src0_sel:BYTE_3 src1_sel:DWORD
	v_cndmask_b32_e64 v28, 0, -1, s0
	v_cmp_ne_u16_sdwa s0, v43, v10 src0_sel:BYTE_1 src1_sel:DWORD
	v_cndmask_b32_e64 v42, 0, -1, s0
	v_cmp_ne_u16_sdwa s0, v43, v10 src0_sel:BYTE_3 src1_sel:DWORD
	v_cndmask_b32_e64 v43, 0, -1, s0
	v_cmp_ne_u16_sdwa s0, v46, v10 src0_sel:BYTE_3 src1_sel:DWORD
	v_lshrrev_b16 v46, 4, v46
	s_waitcnt vmcnt(3)
	v_xor_b32_e32 v17, v17, v33
	v_xor_b32_e32 v33, v18, v60
	v_or_b32_sdwa v18, v36, v35 dst_sel:WORD_1 dst_unused:UNUSED_PAD src0_sel:BYTE_0 src1_sel:DWORD
	v_bfe_i32 v60, v20, 0, 1
	v_lshlrev_b16 v20, 8, v38
	v_lshlrev_b16 v38, 8, v39
	v_bfe_i32 v39, v57, 0, 1
	v_or_b32_sdwa v18, v19, v18 dst_sel:DWORD dst_unused:UNUSED_PAD src0_sel:WORD_0 src1_sel:DWORD
	v_or_b32_sdwa v19, v55, v62 dst_sel:WORD_1 dst_unused:UNUSED_PAD src0_sel:BYTE_0 src1_sel:DWORD
	v_lshlrev_b16 v57, 8, v58
	v_lshlrev_b16 v58, 8, v28
	v_or_b32_sdwa v28, v41, v20 dst_sel:DWORD dst_unused:UNUSED_PAD src0_sel:BYTE_0 src1_sel:DWORD
	s_waitcnt vmcnt(2)
	v_xor_b32_e32 v21, v21, v18
	v_or_b32_sdwa v19, v37, v19 dst_sel:DWORD dst_unused:UNUSED_PAD src0_sel:WORD_0 src1_sel:DWORD
	v_or_b32_sdwa v18, v40, v38 dst_sel:WORD_1 dst_unused:UNUSED_PAD src0_sel:BYTE_0 src1_sel:DWORD
	v_cndmask_b32_e64 v37, 0, -1, s1
	v_lshlrev_b16 v41, 8, v42
	v_lshlrev_b16 v42, 8, v43
	v_xor_b32_e32 v22, v22, v19
	v_or_b32_sdwa v19, v39, v57 dst_sel:DWORD dst_unused:UNUSED_PAD src0_sel:BYTE_0 src1_sel:DWORD
	v_or_b32_sdwa v18, v28, v18 dst_sel:DWORD dst_unused:UNUSED_PAD src0_sel:WORD_0 src1_sel:DWORD
	v_or_b32_sdwa v28, v59, v58 dst_sel:WORD_1 dst_unused:UNUSED_PAD src0_sel:BYTE_0 src1_sel:DWORD
	v_bfe_i32 v43, v46, 0, 1
	v_lshlrev_b16 v37, 8, v37
	v_lshlrev_b16 v39, 8, v39
	v_or_b32_sdwa v19, v19, v28 dst_sel:DWORD dst_unused:UNUSED_PAD src0_sel:WORD_0 src1_sel:DWORD
	v_cndmask_b32_e64 v28, 0, -1, s0
	v_cmp_le_u32_e64 s0, s10, v7
	s_waitcnt vmcnt(1)
	v_xor_b32_e32 v63, v24, v19
	v_lshlrev_b16 v46, 8, v28
	v_or_b32_sdwa v28, v45, v41 dst_sel:DWORD dst_unused:UNUSED_PAD src0_sel:BYTE_0 src1_sel:DWORD
	v_xor_b32_e32 v45, v23, v18
	v_or_b32_sdwa v18, v44, v42 dst_sel:WORD_1 dst_unused:UNUSED_PAD src0_sel:BYTE_0 src1_sel:DWORD
	v_or_b32_sdwa v19, v43, v37 dst_sel:DWORD dst_unused:UNUSED_PAD src0_sel:BYTE_0 src1_sel:DWORD
	v_or_b32_sdwa v23, v60, v46 dst_sel:WORD_1 dst_unused:UNUSED_PAD src0_sel:BYTE_0 src1_sel:DWORD
	v_lshlrev_b16 v24, 8, v49
	v_lshlrev_b16 v43, 8, v43
	v_or_b32_sdwa v18, v28, v18 dst_sel:DWORD dst_unused:UNUSED_PAD src0_sel:WORD_0 src1_sel:DWORD
	v_lshlrev_b16 v28, 8, v53
	v_or_b32_sdwa v19, v19, v23 dst_sel:DWORD dst_unused:UNUSED_PAD src0_sel:WORD_0 src1_sel:DWORD
	v_lshrrev_b32_e32 v23, 16, v17
	v_lshlrev_b16 v44, 8, v44
	s_waitcnt vmcnt(0)
	v_xor_b32_e32 v49, v25, v18
	v_lshlrev_b16 v25, 8, v33
	v_xor_b32_e32 v53, v26, v19
	v_lshlrev_b16 v19, 8, v17
	v_and_b32_e32 v26, 0xffffff00, v21
	v_and_b32_e32 v18, 0xffffff00, v17
	v_sub_nc_i16 v24, v25, v24 clamp
	v_and_b32_e32 v25, 0xffffff00, v22
	v_sub_nc_i16 v19, v19, v48 clamp
	v_sub_nc_i16 v48, v26, v51 clamp
	v_lshlrev_b16 v26, 8, v22
	v_and_b32_e32 v17, 0xffffff00, v33
	v_sub_nc_i16 v51, v25, v54 clamp
	v_lshlrev_b16 v25, 8, v45
	v_sub_nc_i16 v18, v18, v47 clamp
	v_sub_nc_i16 v28, v26, v28 clamp
	v_and_b32_e32 v26, 0xffffff00, v63
	v_sub_nc_i16 v47, v17, v50 clamp
	v_sub_nc_i16 v54, v25, v56 clamp
	v_lshlrev_b16 v25, 8, v49
	v_lshlrev_b16 v17, 8, v21
	v_sub_nc_i16 v56, v26, v57 clamp
	v_perm_b32 v47, v24, v47, 0xc0c0105
	v_lshlrev_b16 v24, 8, v36
	v_sub_nc_i16 v57, v25, v61 clamp
	v_and_b32_e32 v25, 0xffffff00, v23
	v_lshlrev_b16 v23, 8, v23
	v_sub_nc_i16 v50, v17, v52 clamp
	v_and_b32_e32 v17, 0xffffff00, v45
	v_lshrrev_b32_e32 v21, 16, v21
	v_sub_nc_i16 v31, v25, v31 clamp
	v_lshlrev_b16 v25, 8, v32
	v_lshrrev_b32_e32 v32, 16, v33
	v_perm_b32 v36, v50, v48, 0xc0c0105
	v_perm_b32 v50, v28, v51, 0xc0c0105
	v_lshlrev_b16 v28, 8, v55
	v_sub_nc_i16 v33, v23, v25 clamp
	v_and_b32_e32 v23, 0xffffff00, v32
	v_sub_nc_i16 v52, v17, v20 clamp
	v_lshlrev_b16 v17, 8, v63
	v_and_b32_e32 v20, 0xffffff00, v49
	v_mad_u64_u32 v[25:26], null, v11, 36, v[2:3]
	v_sub_nc_i16 v34, v23, v34 clamp
	v_lshlrev_b16 v23, 8, v27
	v_lshrrev_b32_e32 v27, 16, v22
	v_lshlrev_b16 v22, 8, v32
	v_sub_nc_i16 v39, v17, v39 clamp
	v_and_b32_e32 v17, 0xffffff00, v53
	v_sub_nc_i16 v41, v20, v41 clamp
	v_lshlrev_b16 v20, 8, v53
	v_sub_nc_i16 v32, v22, v23 clamp
	v_and_b32_e32 v23, 0xffffff00, v27
	v_lshlrev_b16 v27, 8, v27
	v_and_b32_e32 v22, 0xffffff00, v21
	v_lshlrev_b16 v21, 8, v21
	v_sub_nc_i16 v37, v17, v37 clamp
	v_sub_nc_i16 v43, v20, v43 clamp
	;; [unrolled: 1-line block ×3, first 2 shown]
	v_lshrrev_b32_e32 v28, 16, v45
	v_lshlrev_b16 v27, 8, v40
	v_perm_b32 v61, v19, v18, 0xc0c0105
	global_load_dwordx4 v[17:20], v[4:5], off offset:-16
	v_sub_nc_i16 v35, v22, v35 clamp
	v_and_b32_e32 v45, 0xffffff00, v28
	v_lshlrev_b16 v28, 8, v28
	v_sub_nc_i16 v48, v21, v24 clamp
	v_sub_nc_i16 v51, v23, v62 clamp
	s_clause 0x1
	global_load_dwordx4 v[21:24], v[25:26], off
	global_load_dword v62, v[25:26], off offset:32
	v_sub_nc_i16 v38, v45, v38 clamp
	v_sub_nc_i16 v45, v28, v27 clamp
	global_load_dwordx4 v[25:28], v[25:26], off offset:16
	v_perm_b32 v39, v39, v56, 0xc0c0105
	global_load_dword v56, v[4:5], off
	v_perm_b32 v40, v54, v52, 0xc0c0105
	v_lshrrev_b32_e32 v52, 16, v63
	v_lshrrev_b32_e32 v49, 16, v49
	;; [unrolled: 1-line block ×3, first 2 shown]
	v_perm_b32 v41, v57, v41, 0xc0c0105
	v_perm_b32 v37, v43, v37, 0xc0c0105
	v_and_b32_e32 v54, 0xffffff00, v52
	v_lshlrev_b16 v52, 8, v52
	v_and_b32_e32 v57, 0xffffff00, v49
	v_lshlrev_b16 v49, 8, v49
	v_and_b32_e32 v43, 0xffffff00, v53
	v_sub_nc_i16 v54, v54, v58 clamp
	v_lshlrev_b16 v58, 8, v59
	v_perm_b32 v31, v33, v31, 0xc0c0105
	v_perm_b32 v33, v48, v35, 0xc0c0105
	;; [unrolled: 1-line block ×3, first 2 shown]
	v_sub_nc_i16 v42, v57, v42 clamp
	v_sub_nc_i16 v52, v52, v58 clamp
	v_mov_b32_e32 v58, 0
	v_mov_b32_e32 v57, 0
	v_sub_nc_i16 v44, v49, v44 clamp
	v_mov_b32_e32 v49, 0
	v_sub_nc_i16 v43, v43, v46 clamp
	v_mov_b32_e32 v46, 0
	v_lshlrev_b16 v59, 8, v60
	v_lshlrev_b16 v53, 8, v53
	v_perm_b32 v32, v32, v34, 0xc0c0105
	v_perm_b32 v38, v52, v54, 0xc0c0105
	v_lshl_or_b32 v31, v31, 16, v61
	v_lshl_or_b32 v35, v35, 16, v40
	v_sub_nc_i16 v53, v53, v59 clamp
	v_perm_b32 v42, v44, v42, 0xc0c0105
	v_lshl_or_b32 v32, v32, 16, v47
	v_lshl_or_b32 v33, v33, 16, v36
	;; [unrolled: 1-line block ×3, first 2 shown]
	v_dot4c_i32_i8 v58, v31, v14
	v_perm_b32 v34, v55, v51, 0xc0c0105
	v_perm_b32 v43, v53, v43, 0xc0c0105
	v_lshl_or_b32 v38, v42, 16, v41
	v_and_b32_e32 v14, 15, v29
	v_dot4c_i32_i8 v58, v32, v15
	v_lshl_or_b32 v34, v34, 16, v50
	v_lshl_or_b32 v37, v43, 16, v37
	v_add_co_u32 v4, vcc_lo, 0x480, v4
	v_dot4c_i32_i8 v58, v33, v16
	v_add_nc_u32_e32 v11, 32, v11
	v_add_co_ci_u32_e64 v5, null, 0, v5, vcc_lo
	s_or_b32 s3, s0, s3
	s_waitcnt vmcnt(4)
	v_dot4c_i32_i8 v57, v35, v18
	v_dot4c_i32_i8 v58, v34, v17
	v_lshrrev_b32_e32 v17, 4, v29
	v_dot4c_i32_i8 v57, v36, v19
	s_waitcnt vmcnt(3)
	v_dot4c_i32_i8 v49, v31, v22
	v_mul_lo_u32 v18, v58, v14
	s_waitcnt vmcnt(1)
	v_dot4c_i32_i8 v46, v35, v26
	v_dot4c_i32_i8 v49, v32, v23
	;; [unrolled: 1-line block ×5, first 2 shown]
	s_waitcnt vmcnt(0)
	v_dot4c_i32_i8 v57, v37, v56
	v_dot4c_i32_i8 v46, v38, v28
	;; [unrolled: 1-line block ×3, first 2 shown]
	v_add_nc_u32_e32 v15, v57, v58
	v_mul_lo_u32 v22, v57, v17
	v_dot4c_i32_i8 v46, v37, v62
	v_mul_lo_u32 v14, v49, v14
	v_lshrrev_b32_e32 v19, 31, v15
	v_add_nc_u32_e32 v16, v46, v49
	v_mul_lo_u32 v17, v46, v17
	v_add_nc_u32_e32 v15, v15, v19
	v_lshrrev_b32_e32 v20, 31, v16
	v_ashrrev_i32_e32 v15, 1, v15
	v_add_nc_u32_e32 v16, v16, v20
	v_add3_u32 v15, v22, v18, v15
	v_ashrrev_i32_e32 v16, 1, v16
	v_add3_u32 v14, v17, v14, v16
	v_ashrrev_i32_e32 v16, 31, v15
	v_ashrrev_i32_e32 v17, 31, v14
	v_lshrrev_b32_e32 v16, 30, v16
	v_lshrrev_b32_e32 v17, 30, v17
	v_add_nc_u32_e32 v15, v15, v16
	v_cvt_f32_f16_e32 v16, v21
	v_add_nc_u32_e32 v14, v14, v17
	v_cvt_f32_f16_e32 v17, v30
	v_ashrrev_i32_e32 v15, 2, v15
	v_ashrrev_i32_e32 v14, 2, v14
	v_mul_f32_e32 v13, v17, v13
	v_mul_f32_e32 v16, v17, v16
	v_cvt_f32_i32_e32 v15, v15
	v_cvt_f32_i32_e32 v14, v14
	v_fmac_f32_e32 v8, v13, v15
	v_fmac_f32_e32 v6, v16, v14
	s_andn2_b32 exec_lo, exec_lo, s3
	s_cbranch_execnz .LBB173_2
; %bb.3:
	s_or_b32 exec_lo, exec_lo, s3
.LBB173_4:
	s_or_b32 exec_lo, exec_lo, s9
	s_mov_b32 s1, 0
	; wave barrier
	buffer_gl0_inv
	s_mov_b32 s0, exec_lo
	v_cmpx_eq_u32_e32 0, v1
	s_cbranch_execz .LBB173_9
; %bb.5:
	v_mbcnt_lo_u32_b32 v5, -1, 0
	s_load_dwordx2 s[4:5], s[4:5], 0x38
	s_mul_i32 s0, s14, s7
	s_mul_i32 s3, s18, s8
	s_add_i32 s0, s0, s6
	v_xor_b32_e32 v1, 16, v5
	v_xor_b32_e32 v2, 8, v5
	;; [unrolled: 1-line block ×3, first 2 shown]
	s_add_i32 s0, s0, s3
	s_lshl_b64 s[0:1], s[0:1], 2
	v_cmp_gt_i32_e32 vcc_lo, 32, v1
	v_cndmask_b32_e32 v1, v5, v1, vcc_lo
	v_cmp_gt_i32_e32 vcc_lo, 32, v2
	v_lshlrev_b32_e32 v1, 2, v1
	v_cndmask_b32_e32 v2, v5, v2, vcc_lo
	s_waitcnt lgkmcnt(0)
	s_add_u32 s0, s4, s0
	s_addc_u32 s1, s5, s1
	ds_bpermute_b32 v3, v1, v8
	v_lshlrev_b32_e32 v2, 2, v2
	s_waitcnt lgkmcnt(0)
	v_add_f32_e32 v4, v8, v3
	v_xor_b32_e32 v3, 4, v5
	ds_bpermute_b32 v7, v2, v4
	v_cmp_gt_i32_e32 vcc_lo, 32, v3
	v_cndmask_b32_e32 v3, v5, v3, vcc_lo
	v_lshlrev_b32_e32 v3, 2, v3
	s_waitcnt lgkmcnt(0)
	v_add_f32_e32 v7, v4, v7
	v_xor_b32_e32 v4, 2, v5
	ds_bpermute_b32 v8, v3, v7
	v_cmp_gt_i32_e32 vcc_lo, 32, v4
	v_cndmask_b32_e32 v4, v5, v4, vcc_lo
	v_cmp_gt_i32_e32 vcc_lo, 32, v9
	v_lshlrev_b32_e32 v4, 2, v4
	v_cndmask_b32_e32 v5, v5, v9, vcc_lo
	v_cmp_eq_u32_e32 vcc_lo, 0, v0
	v_lshlrev_b32_e32 v5, 2, v5
	s_waitcnt lgkmcnt(0)
	v_add_f32_e32 v7, v7, v8
	ds_bpermute_b32 v8, v4, v7
	s_waitcnt lgkmcnt(0)
	v_add_f32_e32 v7, v7, v8
	ds_bpermute_b32 v8, v5, v7
	s_and_saveexec_b32 s3, vcc_lo
	s_cbranch_execz .LBB173_7
; %bb.6:
	s_waitcnt lgkmcnt(0)
	v_add_f32_e32 v0, v7, v8
	v_mov_b32_e32 v7, 0
	global_store_dword v7, v0, s[0:1]
.LBB173_7:
	s_or_b32 exec_lo, exec_lo, s3
	ds_bpermute_b32 v0, v1, v6
	s_waitcnt lgkmcnt(0)
	v_add_f32_e32 v0, v6, v0
	ds_bpermute_b32 v1, v2, v0
	s_waitcnt lgkmcnt(0)
	v_add_f32_e32 v0, v0, v1
	;; [unrolled: 3-line block ×4, first 2 shown]
	ds_bpermute_b32 v1, v5, v0
	s_and_b32 exec_lo, exec_lo, vcc_lo
	s_cbranch_execz .LBB173_9
; %bb.8:
	s_mov_b32 s3, 0
	s_waitcnt lgkmcnt(0)
	v_add_f32_e32 v0, v0, v1
	s_lshl_b64 s[2:3], s[2:3], 2
	v_mov_b32_e32 v1, 0
	s_add_u32 s0, s0, s2
	s_addc_u32 s1, s1, s3
	global_store_dword v1, v0, s[0:1]
.LBB173_9:
	s_endpgm
	.section	.rodata,"a",@progbits
	.p2align	6, 0x0
	.amdhsa_kernel _ZL13mul_mat_vec_qIL9ggml_type17ELi2ELb0ELb0EEvPKvS2_PKi31ggml_cuda_mm_fusion_args_devicePfj15HIP_vector_typeIjLj3EEjjjS8_jjjS8_jjjj
		.amdhsa_group_segment_fixed_size 0
		.amdhsa_private_segment_fixed_size 0
		.amdhsa_kernarg_size 144
		.amdhsa_user_sgpr_count 6
		.amdhsa_user_sgpr_private_segment_buffer 1
		.amdhsa_user_sgpr_dispatch_ptr 0
		.amdhsa_user_sgpr_queue_ptr 0
		.amdhsa_user_sgpr_kernarg_segment_ptr 1
		.amdhsa_user_sgpr_dispatch_id 0
		.amdhsa_user_sgpr_flat_scratch_init 0
		.amdhsa_user_sgpr_private_segment_size 0
		.amdhsa_wavefront_size32 1
		.amdhsa_uses_dynamic_stack 0
		.amdhsa_system_sgpr_private_segment_wavefront_offset 0
		.amdhsa_system_sgpr_workgroup_id_x 1
		.amdhsa_system_sgpr_workgroup_id_y 1
		.amdhsa_system_sgpr_workgroup_id_z 1
		.amdhsa_system_sgpr_workgroup_info 0
		.amdhsa_system_vgpr_workitem_id 1
		.amdhsa_next_free_vgpr 64
		.amdhsa_next_free_sgpr 26
		.amdhsa_reserve_vcc 1
		.amdhsa_reserve_flat_scratch 0
		.amdhsa_float_round_mode_32 0
		.amdhsa_float_round_mode_16_64 0
		.amdhsa_float_denorm_mode_32 3
		.amdhsa_float_denorm_mode_16_64 3
		.amdhsa_dx10_clamp 1
		.amdhsa_ieee_mode 1
		.amdhsa_fp16_overflow 0
		.amdhsa_workgroup_processor_mode 1
		.amdhsa_memory_ordered 1
		.amdhsa_forward_progress 1
		.amdhsa_shared_vgpr_count 0
		.amdhsa_exception_fp_ieee_invalid_op 0
		.amdhsa_exception_fp_denorm_src 0
		.amdhsa_exception_fp_ieee_div_zero 0
		.amdhsa_exception_fp_ieee_overflow 0
		.amdhsa_exception_fp_ieee_underflow 0
		.amdhsa_exception_fp_ieee_inexact 0
		.amdhsa_exception_int_div_zero 0
	.end_amdhsa_kernel
	.section	.text._ZL13mul_mat_vec_qIL9ggml_type17ELi2ELb0ELb0EEvPKvS2_PKi31ggml_cuda_mm_fusion_args_devicePfj15HIP_vector_typeIjLj3EEjjjS8_jjjS8_jjjj,"axG",@progbits,_ZL13mul_mat_vec_qIL9ggml_type17ELi2ELb0ELb0EEvPKvS2_PKi31ggml_cuda_mm_fusion_args_devicePfj15HIP_vector_typeIjLj3EEjjjS8_jjjS8_jjjj,comdat
.Lfunc_end173:
	.size	_ZL13mul_mat_vec_qIL9ggml_type17ELi2ELb0ELb0EEvPKvS2_PKi31ggml_cuda_mm_fusion_args_devicePfj15HIP_vector_typeIjLj3EEjjjS8_jjjS8_jjjj, .Lfunc_end173-_ZL13mul_mat_vec_qIL9ggml_type17ELi2ELb0ELb0EEvPKvS2_PKi31ggml_cuda_mm_fusion_args_devicePfj15HIP_vector_typeIjLj3EEjjjS8_jjjS8_jjjj
                                        ; -- End function
	.set _ZL13mul_mat_vec_qIL9ggml_type17ELi2ELb0ELb0EEvPKvS2_PKi31ggml_cuda_mm_fusion_args_devicePfj15HIP_vector_typeIjLj3EEjjjS8_jjjS8_jjjj.num_vgpr, 64
	.set _ZL13mul_mat_vec_qIL9ggml_type17ELi2ELb0ELb0EEvPKvS2_PKi31ggml_cuda_mm_fusion_args_devicePfj15HIP_vector_typeIjLj3EEjjjS8_jjjS8_jjjj.num_agpr, 0
	.set _ZL13mul_mat_vec_qIL9ggml_type17ELi2ELb0ELb0EEvPKvS2_PKi31ggml_cuda_mm_fusion_args_devicePfj15HIP_vector_typeIjLj3EEjjjS8_jjjS8_jjjj.numbered_sgpr, 26
	.set _ZL13mul_mat_vec_qIL9ggml_type17ELi2ELb0ELb0EEvPKvS2_PKi31ggml_cuda_mm_fusion_args_devicePfj15HIP_vector_typeIjLj3EEjjjS8_jjjS8_jjjj.num_named_barrier, 0
	.set _ZL13mul_mat_vec_qIL9ggml_type17ELi2ELb0ELb0EEvPKvS2_PKi31ggml_cuda_mm_fusion_args_devicePfj15HIP_vector_typeIjLj3EEjjjS8_jjjS8_jjjj.private_seg_size, 0
	.set _ZL13mul_mat_vec_qIL9ggml_type17ELi2ELb0ELb0EEvPKvS2_PKi31ggml_cuda_mm_fusion_args_devicePfj15HIP_vector_typeIjLj3EEjjjS8_jjjS8_jjjj.uses_vcc, 1
	.set _ZL13mul_mat_vec_qIL9ggml_type17ELi2ELb0ELb0EEvPKvS2_PKi31ggml_cuda_mm_fusion_args_devicePfj15HIP_vector_typeIjLj3EEjjjS8_jjjS8_jjjj.uses_flat_scratch, 0
	.set _ZL13mul_mat_vec_qIL9ggml_type17ELi2ELb0ELb0EEvPKvS2_PKi31ggml_cuda_mm_fusion_args_devicePfj15HIP_vector_typeIjLj3EEjjjS8_jjjS8_jjjj.has_dyn_sized_stack, 0
	.set _ZL13mul_mat_vec_qIL9ggml_type17ELi2ELb0ELb0EEvPKvS2_PKi31ggml_cuda_mm_fusion_args_devicePfj15HIP_vector_typeIjLj3EEjjjS8_jjjS8_jjjj.has_recursion, 0
	.set _ZL13mul_mat_vec_qIL9ggml_type17ELi2ELb0ELb0EEvPKvS2_PKi31ggml_cuda_mm_fusion_args_devicePfj15HIP_vector_typeIjLj3EEjjjS8_jjjS8_jjjj.has_indirect_call, 0
	.section	.AMDGPU.csdata,"",@progbits
; Kernel info:
; codeLenInByte = 3200
; TotalNumSgprs: 28
; NumVgprs: 64
; ScratchSize: 0
; MemoryBound: 0
; FloatMode: 240
; IeeeMode: 1
; LDSByteSize: 0 bytes/workgroup (compile time only)
; SGPRBlocks: 0
; VGPRBlocks: 7
; NumSGPRsForWavesPerEU: 28
; NumVGPRsForWavesPerEU: 64
; Occupancy: 16
; WaveLimiterHint : 0
; COMPUTE_PGM_RSRC2:SCRATCH_EN: 0
; COMPUTE_PGM_RSRC2:USER_SGPR: 6
; COMPUTE_PGM_RSRC2:TRAP_HANDLER: 0
; COMPUTE_PGM_RSRC2:TGID_X_EN: 1
; COMPUTE_PGM_RSRC2:TGID_Y_EN: 1
; COMPUTE_PGM_RSRC2:TGID_Z_EN: 1
; COMPUTE_PGM_RSRC2:TIDIG_COMP_CNT: 1
	.section	.text._ZL13mul_mat_vec_qIL9ggml_type17ELi3ELb0ELb0EEvPKvS2_PKi31ggml_cuda_mm_fusion_args_devicePfj15HIP_vector_typeIjLj3EEjjjS8_jjjS8_jjjj,"axG",@progbits,_ZL13mul_mat_vec_qIL9ggml_type17ELi3ELb0ELb0EEvPKvS2_PKi31ggml_cuda_mm_fusion_args_devicePfj15HIP_vector_typeIjLj3EEjjjS8_jjjS8_jjjj,comdat
	.globl	_ZL13mul_mat_vec_qIL9ggml_type17ELi3ELb0ELb0EEvPKvS2_PKi31ggml_cuda_mm_fusion_args_devicePfj15HIP_vector_typeIjLj3EEjjjS8_jjjS8_jjjj ; -- Begin function _ZL13mul_mat_vec_qIL9ggml_type17ELi3ELb0ELb0EEvPKvS2_PKi31ggml_cuda_mm_fusion_args_devicePfj15HIP_vector_typeIjLj3EEjjjS8_jjjS8_jjjj
	.p2align	8
	.type	_ZL13mul_mat_vec_qIL9ggml_type17ELi3ELb0ELb0EEvPKvS2_PKi31ggml_cuda_mm_fusion_args_devicePfj15HIP_vector_typeIjLj3EEjjjS8_jjjS8_jjjj,@function
_ZL13mul_mat_vec_qIL9ggml_type17ELi3ELb0ELb0EEvPKvS2_PKi31ggml_cuda_mm_fusion_args_devicePfj15HIP_vector_typeIjLj3EEjjjS8_jjjS8_jjjj: ; @_ZL13mul_mat_vec_qIL9ggml_type17ELi3ELb0ELb0EEvPKvS2_PKi31ggml_cuda_mm_fusion_args_devicePfj15HIP_vector_typeIjLj3EEjjjS8_jjjS8_jjjj
; %bb.0:
	s_clause 0x5
	s_load_dword s9, s[4:5], 0x40
	s_load_dwordx4 s[0:3], s[4:5], 0x50
	s_load_dword s11, s[4:5], 0x60
	s_load_dwordx4 s[12:15], s[4:5], 0x68
	;; [unrolled: 2-line block ×3, first 2 shown]
	v_lshl_or_b32 v2, v1, 5, v0
	v_mov_b32_e32 v6, 0
	v_mov_b32_e32 v7, 0
	;; [unrolled: 1-line block ×3, first 2 shown]
	v_lshrrev_b32_e32 v8, 3, v2
	s_waitcnt lgkmcnt(0)
	s_lshr_b32 s10, s9, 8
	s_mov_b32 s9, exec_lo
	v_cmpx_gt_u32_e64 s10, v8
	s_cbranch_execz .LBB174_4
; %bb.1:
	s_mul_i32 s13, s13, s7
	s_load_dwordx4 s[20:23], s[4:5], 0x0
	s_mul_hi_u32 s27, s13, 36
	s_mul_i32 s26, s13, 36
	s_mul_i32 s17, s17, s8
	v_mad_u64_u32 v[2:3], null, 0x120, v8, s[26:27]
	v_lshlrev_b32_e32 v4, 1, v0
	v_and_b32_e32 v10, 7, v0
	s_mul_hi_u32 s3, s3, s7
	s_mul_hi_u32 s15, s15, s8
	s_add_i32 s3, s7, s3
	v_and_b32_e32 v6, 14, v4
	v_mad_u64_u32 v[2:3], null, s17, 36, v[2:3]
	s_add_i32 s15, s8, s15
	s_mul_i32 s13, s17, 36
	s_lshr_b32 s3, s3, s11
	s_mul_hi_u32 s19, s17, 36
	s_lshr_b32 s11, s15, s24
	s_mul_i32 s3, s3, s12
	v_mad_u64_u32 v[4:5], null, v10, 36, v[2:3]
	s_waitcnt lgkmcnt(0)
	s_add_u32 s12, s22, s13
	s_addc_u32 s13, s23, s19
	s_add_u32 s12, s12, s26
	s_addc_u32 s13, s13, s27
	v_lshlrev_b32_e32 v7, 3, v8
	v_lshlrev_b32_e32 v6, 1, v6
	v_add_co_u32 v4, vcc_lo, s22, v4
	v_add_co_ci_u32_e64 v5, null, s23, v5, vcc_lo
	v_mad_u64_u32 v[2:3], null, v10, 36, s[12:13]
	v_add_co_u32 v4, vcc_lo, v4, 16
	s_mul_i32 s0, s0, s6
	v_mov_b32_e32 v11, 0
	v_add_nc_u32_e32 v12, s1, v7
	v_lshl_add_u32 v13, s1, 1, v7
	v_add_co_ci_u32_e64 v5, null, 0, v5, vcc_lo
	v_lshlrev_b32_e32 v14, 1, v6
	v_mov_b32_e32 v6, 0
	v_mov_b32_e32 v7, 0
	;; [unrolled: 1-line block ×3, first 2 shown]
	s_mul_i32 s11, s11, s16
	s_add_i32 s3, s3, s0
	s_add_i32 s11, s11, s3
	s_mov_b32 s3, 0
.LBB174_2:                              ; =>This Inner Loop Header: Depth=1
	v_add_nc_u32_e32 v15, s11, v8
	s_getpc_b64 s[0:1]
	s_add_u32 s0, s0, _ZL10iq2xs_grid@rel32@lo+4
	s_addc_u32 s1, s1, _ZL10iq2xs_grid@rel32@hi+12
	v_add_nc_u32_e32 v8, 4, v8
	v_mad_i64_i32 v[16:17], null, 0x4a, v15, s[20:21]
	v_add_co_u32 v18, vcc_lo, v16, v14
	v_add_co_ci_u32_e64 v19, null, 0, v17, vcc_lo
	v_add_co_u32 v20, vcc_lo, v16, v10
	v_add_co_ci_u32_e64 v21, null, 0, v17, vcc_lo
	s_clause 0x2
	global_load_dwordx2 v[18:19], v[18:19], off offset:2
	global_load_ubyte v15, v[20:21], off offset:66
	global_load_ushort v40, v[16:17], off
	s_waitcnt vmcnt(2)
	v_and_b32_e32 v16, 0x1ff, v18
	v_lshrrev_b32_e32 v17, 13, v18
	v_and_b32_e32 v21, 0x1ff, v19
	v_lshrrev_b32_e32 v22, 13, v19
	v_lshrrev_b32_e32 v20, 25, v18
	;; [unrolled: 1-line block ×3, first 2 shown]
	v_lshlrev_b32_e32 v16, 3, v16
	v_and_b32_e32 v24, 0xff8, v17
	v_lshlrev_b32_e32 v25, 3, v21
	v_and_b32_e32 v31, 0xff8, v22
	v_bcnt_u32_b32 v29, v20, 0
	v_bcnt_u32_b32 v32, v23, 0
	s_clause 0x3
	global_load_dwordx2 v[16:17], v16, s[0:1]
	global_load_dwordx2 v[20:21], v24, s[0:1]
	global_load_dwordx2 v[22:23], v25, s[0:1]
	global_load_dwordx2 v[24:25], v31, s[0:1]
	v_bfe_u32 v26, v18, 9, 7
	v_bfe_u32 v27, v19, 9, 7
	v_and_b32_e32 v29, 1, v29
	v_and_b32_e32 v31, 1, v32
	v_bcnt_u32_b32 v28, v26, 0
	v_bcnt_u32_b32 v30, v27, 0
	v_alignbit_b32 v18, v29, v18, 25
	v_alignbit_b32 v19, v31, v19, 25
	v_and_b32_e32 v28, 1, v28
	v_and_b32_e32 v30, 1, v30
	v_mul_lo_u32 v18, 0x1010101, v18
	v_mul_lo_u32 v19, 0x1010101, v19
	v_lshl_or_b32 v26, v28, 7, v26
	v_lshl_or_b32 v27, v30, 7, v27
	v_mul_lo_u32 v26, 0x1010101, v26
	v_and_b32_e32 v32, 0x8040201, v18
	v_and_b32_e32 v35, 0x80402010, v18
	v_mul_lo_u32 v27, 0x1010101, v27
	v_lshrrev_b32_e32 v33, 18, v18
	v_bfe_i32 v34, v18, 0, 1
	v_lshrrev_b32_e32 v18, 22, v18
	v_lshrrev_b16 v49, 4, v35
	v_and_b32_e32 v28, 0x8040201, v26
	v_and_b32_e32 v31, 0x80402010, v26
	;; [unrolled: 1-line block ×4, first 2 shown]
	v_bfe_i32 v51, v18, 0, 1
	v_cmp_ne_u16_sdwa s0, v28, v11 src0_sel:BYTE_1 src1_sel:DWORD
	v_lshrrev_b16 v46, 4, v31
	v_and_b32_e32 v39, 0x80402010, v27
	v_lshrrev_b32_e32 v37, 18, v27
	v_bfe_i32 v38, v27, 0, 1
	v_cndmask_b32_e64 v45, 0, -1, s0
	v_cmp_ne_u16_sdwa s0, v28, v11 src0_sel:BYTE_3 src1_sel:DWORD
	v_lshrrev_b32_e32 v27, 22, v27
	v_and_b32_e32 v44, 0x80402010, v19
	v_bfe_i32 v52, v37, 0, 1
	v_lshrrev_b16 v37, 4, v39
	v_cndmask_b32_e64 v28, 0, -1, s0
	v_cmp_ne_u16_sdwa s0, v31, v11 src0_sel:BYTE_1 src1_sel:DWORD
	v_bfe_i32 v54, v27, 0, 1
	v_lshrrev_b32_e32 v29, 18, v26
	v_bfe_i32 v30, v26, 0, 1
	v_lshrrev_b32_e32 v26, 22, v26
	v_cndmask_b32_e64 v47, 0, -1, s0
	v_cmp_ne_u16_sdwa s0, v31, v11 src0_sel:BYTE_3 src1_sel:DWORD
	v_lshrrev_b32_e32 v42, 18, v19
	v_bfe_i32 v43, v19, 0, 1
	v_lshrrev_b32_e32 v19, 22, v19
	v_bfe_i32 v29, v29, 0, 1
	v_cndmask_b32_e64 v31, 0, -1, s0
	v_cmp_ne_u16_sdwa s0, v32, v11 src0_sel:BYTE_1 src1_sel:DWORD
	v_bfe_i32 v26, v26, 0, 1
	v_lshrrev_b16 v55, 4, v44
	v_bfe_i32 v57, v19, 0, 1
	v_lshlrev_b16 v28, 8, v28
	v_cndmask_b32_e64 v48, 0, -1, s0
	v_cmp_ne_u16_sdwa s0, v32, v11 src0_sel:BYTE_3 src1_sel:DWORD
	v_lshlrev_b16 v31, 8, v31
	v_bfe_i32 v33, v33, 0, 1
	v_bfe_i32 v42, v42, 0, 1
	v_cndmask_b32_e64 v32, 0, -1, s0
	v_cmp_ne_u16_sdwa s0, v35, v11 src0_sel:BYTE_1 src1_sel:DWORD
	v_or_b32_sdwa v60, v26, v31 dst_sel:WORD_1 dst_unused:UNUSED_PAD src0_sel:BYTE_0 src1_sel:DWORD
	v_lshlrev_b16 v32, 8, v32
	v_cndmask_b32_e64 v50, 0, -1, s0
	v_cmp_ne_u16_sdwa s0, v35, v11 src0_sel:BYTE_3 src1_sel:DWORD
	v_cndmask_b32_e64 v18, 0, -1, s0
	v_cmp_ne_u16_sdwa s0, v36, v11 src0_sel:BYTE_1 src1_sel:DWORD
	v_cndmask_b32_e64 v35, 0, -1, s0
	v_cmp_ne_u16_sdwa s0, v36, v11 src0_sel:BYTE_3 src1_sel:DWORD
	v_lshlrev_b16 v35, 8, v35
	v_cndmask_b32_e64 v36, 0, -1, s0
	v_cmp_ne_u16_sdwa s0, v39, v11 src0_sel:BYTE_1 src1_sel:DWORD
	v_lshlrev_b16 v58, 8, v36
	v_cndmask_b32_e64 v53, 0, -1, s0
	v_cmp_ne_u16_sdwa s0, v39, v11 src0_sel:BYTE_3 src1_sel:DWORD
	v_bfe_i32 v36, v37, 0, 1
	v_lshlrev_b16 v37, 8, v53
	v_cndmask_b32_e64 v27, 0, -1, s0
	v_cmp_ne_u16_sdwa s0, v41, v11 src0_sel:BYTE_1 src1_sel:DWORD
	v_bfe_i32 v53, v55, 0, 1
	v_lshlrev_b16 v27, 8, v27
	v_cndmask_b32_e64 v39, 0, -1, s0
	v_cmp_ne_u16_sdwa s0, v41, v11 src0_sel:BYTE_3 src1_sel:DWORD
	v_lshlrev_b16 v39, 8, v39
	v_cndmask_b32_e64 v41, 0, -1, s0
	v_cmp_ne_u16_sdwa s0, v44, v11 src0_sel:BYTE_1 src1_sel:DWORD
	v_lshlrev_b16 v41, 8, v41
	v_cndmask_b32_e64 v56, 0, -1, s0
	v_cmp_ne_u16_sdwa s0, v44, v11 src0_sel:BYTE_3 src1_sel:DWORD
	v_lshlrev_b16 v44, 8, v45
	v_bfe_i32 v45, v46, 0, 1
	v_lshlrev_b16 v46, 8, v47
	v_lshlrev_b16 v47, 8, v48
	v_cndmask_b32_e64 v19, 0, -1, s0
	v_bfe_i32 v48, v49, 0, 1
	v_lshlrev_b16 v49, 8, v50
	v_lshlrev_b16 v50, 8, v18
	;; [unrolled: 1-line block ×4, first 2 shown]
	v_or_b32_sdwa v18, v30, v44 dst_sel:DWORD dst_unused:UNUSED_PAD src0_sel:BYTE_0 src1_sel:DWORD
	v_or_b32_sdwa v19, v29, v28 dst_sel:WORD_1 dst_unused:UNUSED_PAD src0_sel:BYTE_0 src1_sel:DWORD
	v_or_b32_sdwa v59, v45, v46 dst_sel:DWORD dst_unused:UNUSED_PAD src0_sel:BYTE_0 src1_sel:DWORD
	v_or_b32_sdwa v61, v34, v47 dst_sel:DWORD dst_unused:UNUSED_PAD src0_sel:BYTE_0 src1_sel:DWORD
	v_or_b32_sdwa v18, v18, v19 dst_sel:DWORD dst_unused:UNUSED_PAD src0_sel:WORD_0 src1_sel:DWORD
	v_or_b32_sdwa v19, v33, v32 dst_sel:WORD_1 dst_unused:UNUSED_PAD src0_sel:BYTE_0 src1_sel:DWORD
	v_or_b32_sdwa v59, v59, v60 dst_sel:DWORD dst_unused:UNUSED_PAD src0_sel:WORD_0 src1_sel:DWORD
	v_or_b32_sdwa v60, v48, v49 dst_sel:DWORD dst_unused:UNUSED_PAD src0_sel:BYTE_0 src1_sel:DWORD
	s_waitcnt vmcnt(3)
	v_xor_b32_e32 v62, v16, v18
	v_xor_b32_e32 v59, v17, v59
	v_or_b32_sdwa v17, v38, v35 dst_sel:DWORD dst_unused:UNUSED_PAD src0_sel:BYTE_0 src1_sel:DWORD
	v_or_b32_sdwa v18, v61, v19 dst_sel:DWORD dst_unused:UNUSED_PAD src0_sel:WORD_0 src1_sel:DWORD
	v_or_b32_sdwa v19, v52, v58 dst_sel:WORD_1 dst_unused:UNUSED_PAD src0_sel:BYTE_0 src1_sel:DWORD
	v_or_b32_sdwa v16, v51, v50 dst_sel:WORD_1 dst_unused:UNUSED_PAD src0_sel:BYTE_0 src1_sel:DWORD
	s_waitcnt vmcnt(2)
	v_xor_b32_e32 v61, v20, v18
	v_or_b32_sdwa v18, v43, v39 dst_sel:DWORD dst_unused:UNUSED_PAD src0_sel:BYTE_0 src1_sel:DWORD
	v_or_b32_sdwa v17, v17, v19 dst_sel:DWORD dst_unused:UNUSED_PAD src0_sel:WORD_0 src1_sel:DWORD
	v_or_b32_sdwa v19, v42, v41 dst_sel:WORD_1 dst_unused:UNUSED_PAD src0_sel:BYTE_0 src1_sel:DWORD
	v_or_b32_sdwa v20, v53, v55 dst_sel:DWORD dst_unused:UNUSED_PAD src0_sel:BYTE_0 src1_sel:DWORD
	v_or_b32_sdwa v16, v60, v16 dst_sel:DWORD dst_unused:UNUSED_PAD src0_sel:WORD_0 src1_sel:DWORD
	v_or_b32_sdwa v60, v36, v37 dst_sel:DWORD dst_unused:UNUSED_PAD src0_sel:BYTE_0 src1_sel:DWORD
	v_or_b32_sdwa v18, v18, v19 dst_sel:DWORD dst_unused:UNUSED_PAD src0_sel:WORD_0 src1_sel:DWORD
	v_or_b32_sdwa v19, v57, v56 dst_sel:WORD_1 dst_unused:UNUSED_PAD src0_sel:BYTE_0 src1_sel:DWORD
	v_xor_b32_e32 v63, v21, v16
	v_or_b32_sdwa v16, v54, v27 dst_sel:WORD_1 dst_unused:UNUSED_PAD src0_sel:BYTE_0 src1_sel:DWORD
	v_lshlrev_b16 v21, 8, v34
	s_waitcnt vmcnt(0)
	v_xor_b32_e32 v65, v24, v18
	v_or_b32_sdwa v19, v20, v19 dst_sel:DWORD dst_unused:UNUSED_PAD src0_sel:WORD_0 src1_sel:DWORD
	v_lshlrev_b16 v20, 8, v30
	v_lshlrev_b16 v30, 8, v36
	v_and_b32_e32 v36, 0xffffff00, v62
	v_or_b32_sdwa v16, v60, v16 dst_sel:DWORD dst_unused:UNUSED_PAD src0_sel:WORD_0 src1_sel:DWORD
	v_xor_b32_e32 v60, v22, v17
	v_lshlrev_b16 v22, 8, v38
	v_lshlrev_b16 v38, 8, v62
	v_sub_nc_i16 v36, v36, v44 clamp
	v_lshlrev_b16 v44, 8, v61
	v_xor_b32_e32 v66, v25, v19
	v_lshlrev_b16 v24, 8, v29
	v_lshlrev_b16 v25, 8, v45
	;; [unrolled: 1-line block ×3, first 2 shown]
	v_sub_nc_i16 v44, v44, v21 clamp
	v_and_b32_e32 v21, 0xffffff00, v63
	v_sub_nc_i16 v20, v38, v20 clamp
	v_and_b32_e32 v38, 0xffffff00, v59
	v_xor_b32_e32 v64, v23, v16
	v_lshlrev_b16 v23, 8, v43
	v_sub_nc_i16 v45, v21, v49 clamp
	v_lshlrev_b16 v21, 8, v63
	v_sub_nc_i16 v38, v38, v46 clamp
	v_lshlrev_b16 v43, 8, v59
	v_lshlrev_b16 v34, 8, v53
	global_load_dwordx4 v[16:19], v[4:5], off offset:-16
	v_sub_nc_i16 v46, v21, v29 clamp
	v_and_b32_e32 v21, 0xffffff00, v60
	v_sub_nc_i16 v25, v43, v25 clamp
	v_and_b32_e32 v43, 0xffffff00, v61
	v_lshrrev_b32_e32 v29, 16, v59
	v_perm_b32 v45, v46, v45, 0xc0c0105
	v_sub_nc_i16 v35, v21, v35 clamp
	v_lshlrev_b16 v21, 8, v60
	v_sub_nc_i16 v43, v43, v47 clamp
	v_perm_b32 v67, v25, v38, 0xc0c0105
	v_lshrrev_b32_e32 v25, 16, v61
	v_sub_nc_i16 v47, v21, v22 clamp
	v_and_b32_e32 v21, 0xffffff00, v64
	v_lshrrev_b32_e32 v22, 16, v62
	v_perm_b32 v43, v44, v43, 0xc0c0105
	v_perm_b32 v47, v47, v35, 0xc0c0105
	v_sub_nc_i16 v48, v21, v37 clamp
	v_lshlrev_b16 v21, 8, v64
	v_sub_nc_i16 v30, v21, v30 clamp
	v_and_b32_e32 v21, 0xffffff00, v65
	v_perm_b32 v48, v30, v48, 0xc0c0105
	v_sub_nc_i16 v39, v21, v39 clamp
	v_lshlrev_b16 v21, 8, v65
	v_lshlrev_b16 v30, 8, v54
	v_sub_nc_i16 v49, v21, v23 clamp
	v_and_b32_e32 v21, 0xffffff00, v66
	v_sub_nc_i16 v53, v21, v55 clamp
	v_lshlrev_b16 v21, 8, v66
	v_perm_b32 v55, v20, v36, 0xc0c0105
	v_and_b32_e32 v20, 0xffffff00, v29
	v_mad_u64_u32 v[36:37], null, v13, 36, v[2:3]
	v_sub_nc_i16 v34, v21, v34 clamp
	v_and_b32_e32 v21, 0xffffff00, v22
	v_lshlrev_b16 v22, 8, v22
	v_sub_nc_i16 v38, v20, v31 clamp
	v_lshrrev_b32_e32 v31, 16, v60
	v_perm_b32 v53, v34, v53, 0xc0c0105
	v_sub_nc_i16 v59, v21, v28 clamp
	v_sub_nc_i16 v62, v22, v24 clamp
	v_lshlrev_b16 v24, 8, v26
	v_lshlrev_b16 v26, 8, v29
	v_mad_u64_u32 v[28:29], null, v12, 36, v[2:3]
	global_load_dwordx4 v[20:23], v[4:5], off
	v_perm_b32 v59, v62, v59, 0xc0c0105
	v_sub_nc_i16 v61, v26, v24 clamp
	v_and_b32_e32 v24, 0xffffff00, v25
	v_lshrrev_b32_e32 v26, 16, v63
	v_lshlrev_b16 v25, 8, v25
	s_clause 0x1
	global_load_dword v60, v[28:29], off offset:32
	global_load_dword v62, v[36:37], off offset:32
	v_sub_nc_i16 v44, v24, v32 clamp
	v_lshlrev_b16 v24, 8, v33
	v_lshrrev_b32_e32 v32, 16, v64
	v_lshrrev_b32_e32 v33, 16, v66
	v_perm_b32 v61, v61, v38, 0xc0c0105
	v_lshl_or_b32 v55, v59, 16, v55
	v_sub_nc_i16 v63, v25, v24 clamp
	v_and_b32_e32 v24, 0xffffff00, v26
	v_lshlrev_b16 v26, 8, v26
	v_lshlrev_b16 v25, 8, v52
	v_and_b32_e32 v34, 0xffffff00, v33
	v_lshlrev_b16 v33, 8, v33
	v_sub_nc_i16 v46, v24, v50 clamp
	v_lshlrev_b16 v24, 8, v51
	v_perm_b32 v44, v63, v44, 0xc0c0105
	v_sub_nc_i16 v56, v34, v56 clamp
	v_mov_b32_e32 v59, 0
	v_add_nc_u32_e32 v12, 32, v12
	v_sub_nc_i16 v50, v26, v24 clamp
	v_and_b32_e32 v24, 0xffffff00, v31
	v_lshlrev_b16 v26, 8, v31
	v_and_b32_e32 v31, 0xffffff00, v32
	v_lshl_or_b32 v43, v44, 16, v43
	v_perm_b32 v46, v50, v46, 0xc0c0105
	v_sub_nc_i16 v51, v24, v58 clamp
	v_sub_nc_i16 v52, v26, v25 clamp
	;; [unrolled: 1-line block ×3, first 2 shown]
	v_lshlrev_b16 v31, 8, v32
	global_load_dwordx4 v[24:27], v[28:29], off
	v_mov_b32_e32 v44, 0
	v_perm_b32 v50, v52, v51, 0xc0c0105
	global_load_dword v52, v[4:5], off offset:16
	v_sub_nc_i16 v54, v31, v30 clamp
	v_lshrrev_b32_e32 v31, 16, v65
	v_lshlrev_b16 v30, 8, v42
	v_perm_b32 v42, v49, v39, 0xc0c0105
	v_lshl_or_b32 v45, v46, 16, v45
	v_perm_b32 v51, v54, v58, 0xc0c0105
	v_and_b32_e32 v32, 0xffffff00, v31
	v_lshlrev_b16 v31, 8, v31
	v_mov_b32_e32 v46, 0
	v_lshl_or_b32 v47, v50, 16, v47
	v_lshl_or_b32 v58, v61, 16, v67
	v_sub_nc_i16 v41, v32, v41 clamp
	v_lshlrev_b16 v32, 8, v57
	v_sub_nc_i16 v49, v31, v30 clamp
	global_load_dwordx4 v[28:31], v[28:29], off offset:16
	v_lshl_or_b32 v48, v51, 16, v48
	v_lshrrev_b32_e32 v50, 4, v15
	v_sub_nc_i16 v57, v33, v32 clamp
	s_clause 0x1
	global_load_dwordx4 v[32:35], v[36:37], off
	global_load_dwordx4 v[36:39], v[36:37], off offset:16
	v_perm_b32 v41, v49, v41, 0xc0c0105
	v_mov_b32_e32 v49, 0
	v_perm_b32 v54, v57, v56, 0xc0c0105
	v_mov_b32_e32 v56, 0
	v_mov_b32_e32 v57, 0
	v_lshl_or_b32 v41, v41, 16, v42
	v_and_b32_e32 v15, 15, v15
	v_lshl_or_b32 v42, v54, 16, v53
	v_add_co_u32 v4, vcc_lo, 0x480, v4
	v_add_co_ci_u32_e64 v5, null, 0, v5, vcc_lo
	v_cmp_le_u32_e32 vcc_lo, s10, v8
	v_add_nc_u32_e32 v13, 32, v13
	s_or_b32 s3, vcc_lo, s3
	s_waitcnt vmcnt(8)
	v_dot4c_i32_i8 v49, v55, v17
	v_cvt_f32_f16_e32 v16, v16
	v_dot4c_i32_i8 v49, v58, v18
	v_dot4c_i32_i8 v49, v43, v19
	s_waitcnt vmcnt(7)
	v_dot4c_i32_i8 v56, v47, v21
	v_dot4c_i32_i8 v49, v45, v20
	;; [unrolled: 1-line block ×3, first 2 shown]
	v_mul_lo_u32 v17, v49, v15
	v_dot4c_i32_i8 v56, v41, v23
	s_waitcnt vmcnt(4)
	v_dot4c_i32_i8 v57, v55, v25
	v_cvt_f32_f16_e32 v24, v24
	s_waitcnt vmcnt(3)
	v_dot4c_i32_i8 v56, v42, v52
	v_dot4c_i32_i8 v57, v58, v26
	v_add_nc_u32_e32 v19, v56, v49
	v_mul_lo_u32 v18, v56, v50
	v_dot4c_i32_i8 v57, v43, v27
	v_lshrrev_b32_e32 v25, 31, v19
	s_waitcnt vmcnt(2)
	v_dot4c_i32_i8 v59, v47, v29
	v_dot4c_i32_i8 v57, v45, v28
	v_add_nc_u32_e32 v19, v19, v25
	s_waitcnt vmcnt(1)
	v_dot4c_i32_i8 v44, v55, v33
	s_waitcnt vmcnt(0)
	v_dot4c_i32_i8 v46, v47, v37
	v_dot4c_i32_i8 v59, v48, v30
	v_mul_lo_u32 v22, v57, v15
	v_ashrrev_i32_e32 v19, 1, v19
	v_dot4c_i32_i8 v44, v58, v34
	v_dot4c_i32_i8 v46, v48, v38
	v_dot4c_i32_i8 v59, v41, v31
	v_add3_u32 v17, v18, v17, v19
	v_dot4c_i32_i8 v44, v43, v35
	v_dot4c_i32_i8 v46, v41, v39
	;; [unrolled: 1-line block ×3, first 2 shown]
	v_cvt_f32_f16_e32 v19, v32
	v_dot4c_i32_i8 v44, v45, v36
	v_dot4c_i32_i8 v46, v42, v62
	v_add_nc_u32_e32 v20, v59, v57
	v_mul_lo_u32 v23, v59, v50
	v_mul_lo_u32 v15, v44, v15
	v_add_nc_u32_e32 v21, v46, v44
	v_lshrrev_b32_e32 v26, 31, v20
	v_mul_lo_u32 v25, v46, v50
	v_lshrrev_b32_e32 v27, 31, v21
	v_add_nc_u32_e32 v20, v20, v26
	v_add_nc_u32_e32 v21, v21, v27
	v_ashrrev_i32_e32 v20, 1, v20
	v_ashrrev_i32_e32 v21, 1, v21
	v_add3_u32 v18, v23, v22, v20
	v_ashrrev_i32_e32 v20, 31, v17
	v_cvt_f32_f16_e32 v23, v40
	v_add3_u32 v15, v25, v15, v21
	v_ashrrev_i32_e32 v21, 31, v18
	v_lshrrev_b32_e32 v20, 30, v20
	v_mul_f32_e32 v16, v23, v16
	v_mul_f32_e32 v19, v23, v19
	v_ashrrev_i32_e32 v22, 31, v15
	v_lshrrev_b32_e32 v21, 30, v21
	v_add_nc_u32_e32 v17, v17, v20
	v_mul_f32_e32 v20, v23, v24
	v_lshrrev_b32_e32 v22, 30, v22
	v_add_nc_u32_e32 v18, v18, v21
	v_ashrrev_i32_e32 v17, 2, v17
	v_add_nc_u32_e32 v15, v15, v22
	v_ashrrev_i32_e32 v18, 2, v18
	v_cvt_f32_i32_e32 v17, v17
	v_ashrrev_i32_e32 v15, 2, v15
	v_cvt_f32_i32_e32 v18, v18
	v_fmac_f32_e32 v9, v16, v17
	v_cvt_f32_i32_e32 v15, v15
	v_fmac_f32_e32 v7, v20, v18
	v_fmac_f32_e32 v6, v19, v15
	s_andn2_b32 exec_lo, exec_lo, s3
	s_cbranch_execnz .LBB174_2
; %bb.3:
	s_or_b32 exec_lo, exec_lo, s3
.LBB174_4:
	s_or_b32 exec_lo, exec_lo, s9
	s_mov_b32 s1, 0
	; wave barrier
	buffer_gl0_inv
	s_mov_b32 s0, exec_lo
	v_cmpx_eq_u32_e32 0, v1
	s_cbranch_execz .LBB174_11
; %bb.5:
	v_mbcnt_lo_u32_b32 v5, -1, 0
	s_load_dwordx2 s[4:5], s[4:5], 0x38
	s_mul_i32 s0, s14, s7
	s_mul_i32 s3, s18, s8
	s_add_i32 s0, s0, s6
	v_xor_b32_e32 v1, 16, v5
	v_xor_b32_e32 v2, 8, v5
	;; [unrolled: 1-line block ×3, first 2 shown]
	s_add_i32 s0, s0, s3
	s_lshl_b64 s[0:1], s[0:1], 2
	v_cmp_gt_i32_e32 vcc_lo, 32, v1
	v_cndmask_b32_e32 v1, v5, v1, vcc_lo
	v_cmp_gt_i32_e32 vcc_lo, 32, v2
	v_lshlrev_b32_e32 v1, 2, v1
	v_cndmask_b32_e32 v2, v5, v2, vcc_lo
	s_waitcnt lgkmcnt(0)
	s_add_u32 s0, s4, s0
	s_addc_u32 s1, s5, s1
	ds_bpermute_b32 v3, v1, v9
	v_lshlrev_b32_e32 v2, 2, v2
	s_waitcnt lgkmcnt(0)
	v_add_f32_e32 v4, v9, v3
	v_xor_b32_e32 v3, 4, v5
	ds_bpermute_b32 v8, v2, v4
	v_cmp_gt_i32_e32 vcc_lo, 32, v3
	v_cndmask_b32_e32 v3, v5, v3, vcc_lo
	v_lshlrev_b32_e32 v3, 2, v3
	s_waitcnt lgkmcnt(0)
	v_add_f32_e32 v8, v4, v8
	v_xor_b32_e32 v4, 2, v5
	ds_bpermute_b32 v9, v3, v8
	v_cmp_gt_i32_e32 vcc_lo, 32, v4
	v_cndmask_b32_e32 v4, v5, v4, vcc_lo
	v_cmp_gt_i32_e32 vcc_lo, 32, v10
	v_lshlrev_b32_e32 v4, 2, v4
	v_cndmask_b32_e32 v5, v5, v10, vcc_lo
	v_cmp_eq_u32_e32 vcc_lo, 0, v0
	v_lshlrev_b32_e32 v5, 2, v5
	s_waitcnt lgkmcnt(0)
	v_add_f32_e32 v8, v8, v9
	ds_bpermute_b32 v9, v4, v8
	s_waitcnt lgkmcnt(0)
	v_add_f32_e32 v8, v8, v9
	ds_bpermute_b32 v9, v5, v8
	s_and_saveexec_b32 s3, vcc_lo
	s_cbranch_execz .LBB174_7
; %bb.6:
	s_waitcnt lgkmcnt(0)
	v_add_f32_e32 v0, v8, v9
	v_mov_b32_e32 v8, 0
	global_store_dword v8, v0, s[0:1]
.LBB174_7:
	s_or_b32 exec_lo, exec_lo, s3
	ds_bpermute_b32 v0, v1, v7
	s_waitcnt lgkmcnt(0)
	v_add_f32_e32 v0, v7, v0
	ds_bpermute_b32 v7, v2, v0
	s_waitcnt lgkmcnt(0)
	v_add_f32_e32 v0, v0, v7
	;; [unrolled: 3-line block ×4, first 2 shown]
	ds_bpermute_b32 v7, v5, v0
	s_and_saveexec_b32 s4, vcc_lo
	s_cbranch_execz .LBB174_9
; %bb.8:
	s_mov_b32 s3, 0
	s_waitcnt lgkmcnt(0)
	v_add_f32_e32 v0, v0, v7
	s_lshl_b64 s[6:7], s[2:3], 2
	v_mov_b32_e32 v7, 0
	s_add_u32 s6, s0, s6
	s_addc_u32 s7, s1, s7
	global_store_dword v7, v0, s[6:7]
.LBB174_9:
	s_or_b32 exec_lo, exec_lo, s4
	ds_bpermute_b32 v0, v1, v6
	s_waitcnt lgkmcnt(0)
	v_add_f32_e32 v0, v6, v0
	ds_bpermute_b32 v1, v2, v0
	s_waitcnt lgkmcnt(0)
	v_add_f32_e32 v0, v0, v1
	;; [unrolled: 3-line block ×4, first 2 shown]
	ds_bpermute_b32 v1, v5, v0
	s_and_b32 exec_lo, exec_lo, vcc_lo
	s_cbranch_execz .LBB174_11
; %bb.10:
	s_lshl_b32 s2, s2, 1
	s_mov_b32 s3, 0
	s_waitcnt lgkmcnt(0)
	v_add_f32_e32 v0, v0, v1
	s_lshl_b64 s[2:3], s[2:3], 2
	v_mov_b32_e32 v1, 0
	s_add_u32 s0, s0, s2
	s_addc_u32 s1, s1, s3
	global_store_dword v1, v0, s[0:1]
.LBB174_11:
	s_endpgm
	.section	.rodata,"a",@progbits
	.p2align	6, 0x0
	.amdhsa_kernel _ZL13mul_mat_vec_qIL9ggml_type17ELi3ELb0ELb0EEvPKvS2_PKi31ggml_cuda_mm_fusion_args_devicePfj15HIP_vector_typeIjLj3EEjjjS8_jjjS8_jjjj
		.amdhsa_group_segment_fixed_size 0
		.amdhsa_private_segment_fixed_size 0
		.amdhsa_kernarg_size 144
		.amdhsa_user_sgpr_count 6
		.amdhsa_user_sgpr_private_segment_buffer 1
		.amdhsa_user_sgpr_dispatch_ptr 0
		.amdhsa_user_sgpr_queue_ptr 0
		.amdhsa_user_sgpr_kernarg_segment_ptr 1
		.amdhsa_user_sgpr_dispatch_id 0
		.amdhsa_user_sgpr_flat_scratch_init 0
		.amdhsa_user_sgpr_private_segment_size 0
		.amdhsa_wavefront_size32 1
		.amdhsa_uses_dynamic_stack 0
		.amdhsa_system_sgpr_private_segment_wavefront_offset 0
		.amdhsa_system_sgpr_workgroup_id_x 1
		.amdhsa_system_sgpr_workgroup_id_y 1
		.amdhsa_system_sgpr_workgroup_id_z 1
		.amdhsa_system_sgpr_workgroup_info 0
		.amdhsa_system_vgpr_workitem_id 1
		.amdhsa_next_free_vgpr 68
		.amdhsa_next_free_sgpr 28
		.amdhsa_reserve_vcc 1
		.amdhsa_reserve_flat_scratch 0
		.amdhsa_float_round_mode_32 0
		.amdhsa_float_round_mode_16_64 0
		.amdhsa_float_denorm_mode_32 3
		.amdhsa_float_denorm_mode_16_64 3
		.amdhsa_dx10_clamp 1
		.amdhsa_ieee_mode 1
		.amdhsa_fp16_overflow 0
		.amdhsa_workgroup_processor_mode 1
		.amdhsa_memory_ordered 1
		.amdhsa_forward_progress 1
		.amdhsa_shared_vgpr_count 0
		.amdhsa_exception_fp_ieee_invalid_op 0
		.amdhsa_exception_fp_denorm_src 0
		.amdhsa_exception_fp_ieee_div_zero 0
		.amdhsa_exception_fp_ieee_overflow 0
		.amdhsa_exception_fp_ieee_underflow 0
		.amdhsa_exception_fp_ieee_inexact 0
		.amdhsa_exception_int_div_zero 0
	.end_amdhsa_kernel
	.section	.text._ZL13mul_mat_vec_qIL9ggml_type17ELi3ELb0ELb0EEvPKvS2_PKi31ggml_cuda_mm_fusion_args_devicePfj15HIP_vector_typeIjLj3EEjjjS8_jjjS8_jjjj,"axG",@progbits,_ZL13mul_mat_vec_qIL9ggml_type17ELi3ELb0ELb0EEvPKvS2_PKi31ggml_cuda_mm_fusion_args_devicePfj15HIP_vector_typeIjLj3EEjjjS8_jjjS8_jjjj,comdat
.Lfunc_end174:
	.size	_ZL13mul_mat_vec_qIL9ggml_type17ELi3ELb0ELb0EEvPKvS2_PKi31ggml_cuda_mm_fusion_args_devicePfj15HIP_vector_typeIjLj3EEjjjS8_jjjS8_jjjj, .Lfunc_end174-_ZL13mul_mat_vec_qIL9ggml_type17ELi3ELb0ELb0EEvPKvS2_PKi31ggml_cuda_mm_fusion_args_devicePfj15HIP_vector_typeIjLj3EEjjjS8_jjjS8_jjjj
                                        ; -- End function
	.set _ZL13mul_mat_vec_qIL9ggml_type17ELi3ELb0ELb0EEvPKvS2_PKi31ggml_cuda_mm_fusion_args_devicePfj15HIP_vector_typeIjLj3EEjjjS8_jjjS8_jjjj.num_vgpr, 68
	.set _ZL13mul_mat_vec_qIL9ggml_type17ELi3ELb0ELb0EEvPKvS2_PKi31ggml_cuda_mm_fusion_args_devicePfj15HIP_vector_typeIjLj3EEjjjS8_jjjS8_jjjj.num_agpr, 0
	.set _ZL13mul_mat_vec_qIL9ggml_type17ELi3ELb0ELb0EEvPKvS2_PKi31ggml_cuda_mm_fusion_args_devicePfj15HIP_vector_typeIjLj3EEjjjS8_jjjS8_jjjj.numbered_sgpr, 28
	.set _ZL13mul_mat_vec_qIL9ggml_type17ELi3ELb0ELb0EEvPKvS2_PKi31ggml_cuda_mm_fusion_args_devicePfj15HIP_vector_typeIjLj3EEjjjS8_jjjS8_jjjj.num_named_barrier, 0
	.set _ZL13mul_mat_vec_qIL9ggml_type17ELi3ELb0ELb0EEvPKvS2_PKi31ggml_cuda_mm_fusion_args_devicePfj15HIP_vector_typeIjLj3EEjjjS8_jjjS8_jjjj.private_seg_size, 0
	.set _ZL13mul_mat_vec_qIL9ggml_type17ELi3ELb0ELb0EEvPKvS2_PKi31ggml_cuda_mm_fusion_args_devicePfj15HIP_vector_typeIjLj3EEjjjS8_jjjS8_jjjj.uses_vcc, 1
	.set _ZL13mul_mat_vec_qIL9ggml_type17ELi3ELb0ELb0EEvPKvS2_PKi31ggml_cuda_mm_fusion_args_devicePfj15HIP_vector_typeIjLj3EEjjjS8_jjjS8_jjjj.uses_flat_scratch, 0
	.set _ZL13mul_mat_vec_qIL9ggml_type17ELi3ELb0ELb0EEvPKvS2_PKi31ggml_cuda_mm_fusion_args_devicePfj15HIP_vector_typeIjLj3EEjjjS8_jjjS8_jjjj.has_dyn_sized_stack, 0
	.set _ZL13mul_mat_vec_qIL9ggml_type17ELi3ELb0ELb0EEvPKvS2_PKi31ggml_cuda_mm_fusion_args_devicePfj15HIP_vector_typeIjLj3EEjjjS8_jjjS8_jjjj.has_recursion, 0
	.set _ZL13mul_mat_vec_qIL9ggml_type17ELi3ELb0ELb0EEvPKvS2_PKi31ggml_cuda_mm_fusion_args_devicePfj15HIP_vector_typeIjLj3EEjjjS8_jjjS8_jjjj.has_indirect_call, 0
	.section	.AMDGPU.csdata,"",@progbits
; Kernel info:
; codeLenInByte = 3492
; TotalNumSgprs: 30
; NumVgprs: 68
; ScratchSize: 0
; MemoryBound: 0
; FloatMode: 240
; IeeeMode: 1
; LDSByteSize: 0 bytes/workgroup (compile time only)
; SGPRBlocks: 0
; VGPRBlocks: 8
; NumSGPRsForWavesPerEU: 30
; NumVGPRsForWavesPerEU: 68
; Occupancy: 12
; WaveLimiterHint : 0
; COMPUTE_PGM_RSRC2:SCRATCH_EN: 0
; COMPUTE_PGM_RSRC2:USER_SGPR: 6
; COMPUTE_PGM_RSRC2:TRAP_HANDLER: 0
; COMPUTE_PGM_RSRC2:TGID_X_EN: 1
; COMPUTE_PGM_RSRC2:TGID_Y_EN: 1
; COMPUTE_PGM_RSRC2:TGID_Z_EN: 1
; COMPUTE_PGM_RSRC2:TIDIG_COMP_CNT: 1
	.section	.text._ZL13mul_mat_vec_qIL9ggml_type17ELi4ELb0ELb0EEvPKvS2_PKi31ggml_cuda_mm_fusion_args_devicePfj15HIP_vector_typeIjLj3EEjjjS8_jjjS8_jjjj,"axG",@progbits,_ZL13mul_mat_vec_qIL9ggml_type17ELi4ELb0ELb0EEvPKvS2_PKi31ggml_cuda_mm_fusion_args_devicePfj15HIP_vector_typeIjLj3EEjjjS8_jjjS8_jjjj,comdat
	.globl	_ZL13mul_mat_vec_qIL9ggml_type17ELi4ELb0ELb0EEvPKvS2_PKi31ggml_cuda_mm_fusion_args_devicePfj15HIP_vector_typeIjLj3EEjjjS8_jjjS8_jjjj ; -- Begin function _ZL13mul_mat_vec_qIL9ggml_type17ELi4ELb0ELb0EEvPKvS2_PKi31ggml_cuda_mm_fusion_args_devicePfj15HIP_vector_typeIjLj3EEjjjS8_jjjS8_jjjj
	.p2align	8
	.type	_ZL13mul_mat_vec_qIL9ggml_type17ELi4ELb0ELb0EEvPKvS2_PKi31ggml_cuda_mm_fusion_args_devicePfj15HIP_vector_typeIjLj3EEjjjS8_jjjS8_jjjj,@function
_ZL13mul_mat_vec_qIL9ggml_type17ELi4ELb0ELb0EEvPKvS2_PKi31ggml_cuda_mm_fusion_args_devicePfj15HIP_vector_typeIjLj3EEjjjS8_jjjS8_jjjj: ; @_ZL13mul_mat_vec_qIL9ggml_type17ELi4ELb0ELb0EEvPKvS2_PKi31ggml_cuda_mm_fusion_args_devicePfj15HIP_vector_typeIjLj3EEjjjS8_jjjS8_jjjj
; %bb.0:
	s_clause 0x5
	s_load_dword s9, s[4:5], 0x40
	s_load_dwordx4 s[0:3], s[4:5], 0x50
	s_load_dword s24, s[4:5], 0x60
	s_load_dwordx4 s[12:15], s[4:5], 0x68
	;; [unrolled: 2-line block ×3, first 2 shown]
	v_lshl_or_b32 v2, v1, 5, v0
	v_mov_b32_e32 v7, 0
	v_mov_b32_e32 v8, 0
	;; [unrolled: 1-line block ×4, first 2 shown]
	v_lshrrev_b32_e32 v10, 3, v2
	s_waitcnt lgkmcnt(0)
	s_lshr_b32 s10, s9, 8
	s_mov_b32 s9, exec_lo
	v_cmpx_gt_u32_e64 s10, v10
	s_cbranch_execz .LBB175_4
; %bb.1:
	s_mul_i32 s13, s13, s7
	s_load_dwordx4 s[20:23], s[4:5], 0x0
	s_mul_hi_u32 s27, s13, 36
	s_mul_i32 s26, s13, 36
	s_mul_i32 s17, s17, s8
	v_mad_u64_u32 v[2:3], null, 0x120, v10, s[26:27]
	v_and_b32_e32 v12, 7, v0
	v_lshlrev_b32_e32 v4, 1, v0
	s_mul_hi_u32 s3, s3, s7
	s_mul_hi_u32 s15, s15, s8
	v_lshlrev_b32_e32 v6, 3, v10
	s_add_i32 s3, s7, s3
	v_mad_u64_u32 v[2:3], null, s17, 36, v[2:3]
	v_and_b32_e32 v4, 14, v4
	s_add_i32 s15, s8, s15
	s_mul_i32 s25, s17, 36
	s_lshr_b32 s3, s3, s24
	s_mul_hi_u32 s19, s17, 36
	s_lshr_b32 s11, s15, s11
	v_mad_u64_u32 v[7:8], null, v12, 36, v[2:3]
	s_mul_i32 s3, s3, s12
	s_waitcnt lgkmcnt(0)
	s_add_u32 s12, s22, s25
	v_lshlrev_b32_e32 v9, 1, v4
	s_addc_u32 s13, s23, s19
	s_add_u32 s12, s12, s26
	s_addc_u32 s13, s13, s27
	v_mad_u64_u32 v[4:5], null, s1, 3, v[6:7]
	v_add_co_u32 v5, vcc_lo, s22, v7
	v_add_co_ci_u32_e64 v7, null, s23, v8, vcc_lo
	v_mad_u64_u32 v[2:3], null, v12, 36, s[12:13]
	v_add_co_u32 v5, vcc_lo, v5, 16
	s_mul_i32 s0, s0, s6
	v_mov_b32_e32 v13, 0
	v_add_nc_u32_e32 v14, s1, v6
	v_lshl_add_u32 v15, s1, 1, v6
	v_add_co_ci_u32_e64 v6, null, 0, v7, vcc_lo
	v_lshlrev_b32_e32 v16, 1, v9
	v_mov_b32_e32 v7, 0
	v_mov_b32_e32 v8, 0
	;; [unrolled: 1-line block ×4, first 2 shown]
	s_mul_i32 s11, s11, s16
	s_add_i32 s3, s3, s0
	s_add_i32 s11, s11, s3
	s_mov_b32 s3, 0
.LBB175_2:                              ; =>This Inner Loop Header: Depth=1
	v_add_nc_u32_e32 v17, s11, v10
	s_getpc_b64 s[0:1]
	s_add_u32 s0, s0, _ZL10iq2xs_grid@rel32@lo+4
	s_addc_u32 s1, s1, _ZL10iq2xs_grid@rel32@hi+12
	v_add_nc_u32_e32 v10, 4, v10
	v_mad_i64_i32 v[18:19], null, 0x4a, v17, s[20:21]
	v_add_co_u32 v20, vcc_lo, v18, v16
	v_add_co_ci_u32_e64 v21, null, 0, v19, vcc_lo
	v_add_co_u32 v22, vcc_lo, v18, v12
	v_add_co_ci_u32_e64 v23, null, 0, v19, vcc_lo
	s_clause 0x2
	global_load_dwordx2 v[20:21], v[20:21], off offset:2
	global_load_ubyte v17, v[22:23], off offset:66
	global_load_ushort v38, v[18:19], off
	s_waitcnt vmcnt(2)
	v_and_b32_e32 v18, 0x1ff, v20
	v_lshrrev_b32_e32 v19, 13, v20
	v_and_b32_e32 v23, 0x1ff, v21
	v_lshrrev_b32_e32 v24, 13, v21
	v_lshrrev_b32_e32 v22, 25, v20
	;; [unrolled: 1-line block ×3, first 2 shown]
	v_lshlrev_b32_e32 v18, 3, v18
	v_and_b32_e32 v26, 0xff8, v19
	v_lshlrev_b32_e32 v27, 3, v23
	v_and_b32_e32 v33, 0xff8, v24
	v_bcnt_u32_b32 v31, v22, 0
	v_bcnt_u32_b32 v34, v25, 0
	s_clause 0x3
	global_load_dwordx2 v[18:19], v18, s[0:1]
	global_load_dwordx2 v[22:23], v26, s[0:1]
	global_load_dwordx2 v[24:25], v27, s[0:1]
	global_load_dwordx2 v[26:27], v33, s[0:1]
	v_bfe_u32 v28, v20, 9, 7
	v_bfe_u32 v29, v21, 9, 7
	v_and_b32_e32 v31, 1, v31
	v_and_b32_e32 v33, 1, v34
	v_bcnt_u32_b32 v30, v28, 0
	v_bcnt_u32_b32 v32, v29, 0
	v_alignbit_b32 v20, v31, v20, 25
	v_alignbit_b32 v21, v33, v21, 25
	v_and_b32_e32 v30, 1, v30
	v_and_b32_e32 v32, 1, v32
	v_mul_lo_u32 v20, 0x1010101, v20
	v_mul_lo_u32 v21, 0x1010101, v21
	v_lshl_or_b32 v28, v30, 7, v28
	v_lshl_or_b32 v29, v32, 7, v29
	v_mul_lo_u32 v28, 0x1010101, v28
	v_and_b32_e32 v34, 0x8040201, v20
	v_and_b32_e32 v37, 0x80402010, v20
	v_mul_lo_u32 v29, 0x1010101, v29
	v_lshrrev_b32_e32 v35, 18, v20
	v_bfe_i32 v36, v20, 0, 1
	v_lshrrev_b32_e32 v20, 22, v20
	v_lshrrev_b16 v51, 4, v37
	v_and_b32_e32 v30, 0x8040201, v28
	v_and_b32_e32 v33, 0x80402010, v28
	v_lshrrev_b32_e32 v31, 18, v28
	v_and_b32_e32 v39, 0x8040201, v29
	v_bfe_i32 v53, v20, 0, 1
	v_cmp_ne_u16_sdwa s0, v30, v13 src0_sel:BYTE_1 src1_sel:DWORD
	v_lshrrev_b16 v48, 4, v33
	v_and_b32_e32 v42, 0x80402010, v29
	v_and_b32_e32 v43, 0x8040201, v21
	v_lshrrev_b32_e32 v44, 18, v21
	v_cndmask_b32_e64 v47, 0, -1, s0
	v_cmp_ne_u16_sdwa s0, v30, v13 src0_sel:BYTE_3 src1_sel:DWORD
	v_bfe_i32 v45, v21, 0, 1
	v_and_b32_e32 v46, 0x80402010, v21
	v_lshrrev_b32_e32 v21, 22, v21
	v_bfe_i32 v32, v28, 0, 1
	v_cndmask_b32_e64 v30, 0, -1, s0
	v_cmp_ne_u16_sdwa s0, v33, v13 src0_sel:BYTE_1 src1_sel:DWORD
	v_lshrrev_b32_e32 v28, 22, v28
	v_bfe_i32 v31, v31, 0, 1
	v_lshrrev_b16 v54, 4, v42
	v_bfe_i32 v58, v21, 0, 1
	v_cndmask_b32_e64 v49, 0, -1, s0
	v_cmp_ne_u16_sdwa s0, v33, v13 src0_sel:BYTE_3 src1_sel:DWORD
	v_lshlrev_b16 v21, 8, v47
	v_lshlrev_b16 v30, 8, v30
	v_bfe_i32 v28, v28, 0, 1
	v_bfe_i32 v47, v48, 0, 1
	v_cndmask_b32_e64 v33, 0, -1, s0
	v_cmp_ne_u16_sdwa s0, v34, v13 src0_sel:BYTE_1 src1_sel:DWORD
	v_lshlrev_b16 v48, 8, v49
	v_or_b32_sdwa v59, v31, v30 dst_sel:WORD_1 dst_unused:UNUSED_PAD src0_sel:BYTE_0 src1_sel:DWORD
	v_bfe_i32 v35, v35, 0, 1
	v_lshlrev_b16 v33, 8, v33
	v_cndmask_b32_e64 v50, 0, -1, s0
	v_cmp_ne_u16_sdwa s0, v34, v13 src0_sel:BYTE_3 src1_sel:DWORD
	v_or_b32_sdwa v60, v47, v48 dst_sel:DWORD dst_unused:UNUSED_PAD src0_sel:BYTE_0 src1_sel:DWORD
	v_lshrrev_b32_e32 v40, 18, v29
	v_bfe_i32 v41, v29, 0, 1
	v_lshlrev_b16 v49, 8, v50
	v_cndmask_b32_e64 v34, 0, -1, s0
	v_cmp_ne_u16_sdwa s0, v37, v13 src0_sel:BYTE_1 src1_sel:DWORD
	v_bfe_i32 v50, v51, 0, 1
	v_lshrrev_b32_e32 v29, 22, v29
	v_bfe_i32 v40, v40, 0, 1
	v_lshlrev_b16 v34, 8, v34
	v_cndmask_b32_e64 v52, 0, -1, s0
	v_cmp_ne_u16_sdwa s0, v37, v13 src0_sel:BYTE_3 src1_sel:DWORD
	v_bfe_i32 v29, v29, 0, 1
	v_cmp_ne_u16_sdwa s1, v46, v13 src0_sel:BYTE_1 src1_sel:DWORD
	v_bfe_i32 v44, v44, 0, 1
	v_lshlrev_b16 v51, 8, v52
	v_cndmask_b32_e64 v20, 0, -1, s0
	v_cmp_ne_u16_sdwa s0, v39, v13 src0_sel:BYTE_1 src1_sel:DWORD
	v_lshrrev_b16 v57, 4, v46
	v_lshlrev_b16 v31, 8, v31
	v_lshlrev_b16 v52, 8, v20
	v_cndmask_b32_e64 v37, 0, -1, s0
	v_cmp_ne_u16_sdwa s0, v39, v13 src0_sel:BYTE_3 src1_sel:DWORD
	v_bfe_i32 v57, v57, 0, 1
	v_lshlrev_b16 v20, 8, v37
	v_cndmask_b32_e64 v39, 0, -1, s0
	v_cmp_ne_u16_sdwa s0, v42, v13 src0_sel:BYTE_1 src1_sel:DWORD
	v_lshlrev_b16 v37, 8, v39
	v_cndmask_b32_e64 v55, 0, -1, s0
	v_bfe_i32 v39, v54, 0, 1
	v_cmp_ne_u16_sdwa s0, v42, v13 src0_sel:BYTE_3 src1_sel:DWORD
	v_lshlrev_b16 v54, 8, v55
	v_or_b32_sdwa v55, v32, v21 dst_sel:DWORD dst_unused:UNUSED_PAD src0_sel:BYTE_0 src1_sel:DWORD
	v_cndmask_b32_e64 v42, 0, -1, s0
	v_cmp_ne_u16_sdwa s0, v43, v13 src0_sel:BYTE_1 src1_sel:DWORD
	v_or_b32_sdwa v55, v55, v59 dst_sel:DWORD dst_unused:UNUSED_PAD src0_sel:WORD_0 src1_sel:DWORD
	v_or_b32_sdwa v59, v28, v33 dst_sel:WORD_1 dst_unused:UNUSED_PAD src0_sel:BYTE_0 src1_sel:DWORD
	v_cndmask_b32_e64 v56, 0, -1, s0
	v_cmp_ne_u16_sdwa s0, v43, v13 src0_sel:BYTE_3 src1_sel:DWORD
	v_lshlrev_b16 v42, 8, v42
	v_or_b32_sdwa v59, v60, v59 dst_sel:DWORD dst_unused:UNUSED_PAD src0_sel:WORD_0 src1_sel:DWORD
	v_or_b32_sdwa v60, v36, v49 dst_sel:DWORD dst_unused:UNUSED_PAD src0_sel:BYTE_0 src1_sel:DWORD
	v_cndmask_b32_e64 v43, 0, -1, s0
	v_cmp_ne_u16_sdwa s0, v46, v13 src0_sel:BYTE_3 src1_sel:DWORD
	v_cndmask_b32_e64 v46, 0, -1, s1
	v_lshlrev_b16 v56, 8, v56
	v_lshlrev_b16 v43, 8, v43
	;; [unrolled: 1-line block ×3, first 2 shown]
	s_waitcnt vmcnt(3)
	v_xor_b32_e32 v18, v18, v55
	v_xor_b32_e32 v55, v19, v59
	v_or_b32_sdwa v19, v35, v34 dst_sel:WORD_1 dst_unused:UNUSED_PAD src0_sel:BYTE_0 src1_sel:DWORD
	v_or_b32_sdwa v59, v50, v51 dst_sel:DWORD dst_unused:UNUSED_PAD src0_sel:BYTE_0 src1_sel:DWORD
	v_or_b32_sdwa v19, v60, v19 dst_sel:DWORD dst_unused:UNUSED_PAD src0_sel:WORD_0 src1_sel:DWORD
	v_or_b32_sdwa v60, v53, v52 dst_sel:WORD_1 dst_unused:UNUSED_PAD src0_sel:BYTE_0 src1_sel:DWORD
	s_waitcnt vmcnt(2)
	v_xor_b32_e32 v22, v22, v19
	v_or_b32_sdwa v59, v59, v60 dst_sel:DWORD dst_unused:UNUSED_PAD src0_sel:WORD_0 src1_sel:DWORD
	v_or_b32_sdwa v60, v41, v20 dst_sel:DWORD dst_unused:UNUSED_PAD src0_sel:BYTE_0 src1_sel:DWORD
	v_or_b32_sdwa v19, v40, v37 dst_sel:WORD_1 dst_unused:UNUSED_PAD src0_sel:BYTE_0 src1_sel:DWORD
	v_xor_b32_e32 v59, v23, v59
	v_or_b32_sdwa v23, v39, v54 dst_sel:DWORD dst_unused:UNUSED_PAD src0_sel:BYTE_0 src1_sel:DWORD
	v_or_b32_sdwa v19, v60, v19 dst_sel:DWORD dst_unused:UNUSED_PAD src0_sel:WORD_0 src1_sel:DWORD
	v_or_b32_sdwa v60, v29, v42 dst_sel:WORD_1 dst_unused:UNUSED_PAD src0_sel:BYTE_0 src1_sel:DWORD
	v_lshlrev_b16 v39, 8, v39
	v_lshlrev_b16 v29, 8, v29
	s_waitcnt vmcnt(1)
	v_xor_b32_e32 v61, v24, v19
	v_or_b32_sdwa v23, v23, v60 dst_sel:DWORD dst_unused:UNUSED_PAD src0_sel:WORD_0 src1_sel:DWORD
	v_cndmask_b32_e64 v60, 0, -1, s0
	v_or_b32_sdwa v19, v45, v56 dst_sel:DWORD dst_unused:UNUSED_PAD src0_sel:BYTE_0 src1_sel:DWORD
	v_xor_b32_e32 v62, v25, v23
	v_lshlrev_b16 v60, 8, v60
	v_or_b32_sdwa v23, v44, v43 dst_sel:WORD_1 dst_unused:UNUSED_PAD src0_sel:BYTE_0 src1_sel:DWORD
	v_lshlrev_b16 v25, 8, v36
	v_lshlrev_b16 v36, 8, v45
	;; [unrolled: 1-line block ×3, first 2 shown]
	v_or_b32_sdwa v24, v58, v60 dst_sel:WORD_1 dst_unused:UNUSED_PAD src0_sel:BYTE_0 src1_sel:DWORD
	v_or_b32_sdwa v19, v19, v23 dst_sel:DWORD dst_unused:UNUSED_PAD src0_sel:WORD_0 src1_sel:DWORD
	v_or_b32_sdwa v23, v57, v46 dst_sel:DWORD dst_unused:UNUSED_PAD src0_sel:BYTE_0 src1_sel:DWORD
	v_lshlrev_b16 v58, 8, v58
	s_waitcnt vmcnt(0)
	v_xor_b32_e32 v50, v26, v19
	v_or_b32_sdwa v23, v23, v24 dst_sel:DWORD dst_unused:UNUSED_PAD src0_sel:WORD_0 src1_sel:DWORD
	v_and_b32_e32 v19, 0xffffff00, v18
	v_lshlrev_b16 v24, 8, v32
	v_lshlrev_b16 v32, 8, v41
	;; [unrolled: 1-line block ×4, first 2 shown]
	v_xor_b32_e32 v57, v27, v23
	v_lshlrev_b16 v23, 8, v18
	v_sub_nc_i16 v19, v19, v21 clamp
	v_and_b32_e32 v21, 0xffffff00, v55
	v_lshlrev_b16 v27, 8, v22
	v_lshrrev_b32_e32 v18, 16, v18
	v_sub_nc_i16 v23, v23, v24 clamp
	v_lshlrev_b16 v24, 8, v55
	v_sub_nc_i16 v26, v21, v48 clamp
	v_and_b32_e32 v21, 0xffffff00, v22
	v_sub_nc_i16 v25, v27, v25 clamp
	v_lshlrev_b16 v27, 8, v59
	v_sub_nc_i16 v24, v24, v41 clamp
	v_lshrrev_b32_e32 v22, 16, v22
	v_sub_nc_i16 v41, v21, v49 clamp
	v_and_b32_e32 v21, 0xffffff00, v59
	v_sub_nc_i16 v27, v27, v45 clamp
	v_lshlrev_b16 v45, 8, v61
	v_perm_b32 v41, v25, v41, 0xc0c0105
	v_sub_nc_i16 v48, v21, v51 clamp
	v_and_b32_e32 v21, 0xffffff00, v61
	v_sub_nc_i16 v32, v45, v32 clamp
	v_perm_b32 v48, v27, v48, 0xc0c0105
	v_sub_nc_i16 v49, v21, v20 clamp
	v_and_b32_e32 v20, 0xffffff00, v62
	v_lshlrev_b16 v21, 8, v62
	v_perm_b32 v49, v32, v49, 0xc0c0105
	v_sub_nc_i16 v45, v20, v54 clamp
	v_and_b32_e32 v20, 0xffffff00, v50
	v_sub_nc_i16 v39, v21, v39 clamp
	v_lshlrev_b16 v21, 8, v50
	v_perm_b32 v54, v23, v19, 0xc0c0105
	v_lshlrev_b16 v23, 8, v28
	v_sub_nc_i16 v51, v20, v56 clamp
	v_and_b32_e32 v20, 0xffffff00, v57
	v_sub_nc_i16 v36, v21, v36 clamp
	v_lshlrev_b16 v21, 8, v57
	v_lshlrev_b16 v28, 8, v35
	v_lshrrev_b32_e32 v35, 16, v55
	v_sub_nc_i16 v46, v20, v46 clamp
	v_and_b32_e32 v20, 0xffffff00, v18
	v_lshlrev_b16 v18, 8, v18
	v_sub_nc_i16 v47, v21, v47 clamp
	v_perm_b32 v55, v24, v26, 0xc0c0105
	v_lshlrev_b16 v26, 8, v35
	v_sub_nc_i16 v30, v20, v30 clamp
	v_sub_nc_i16 v31, v18, v31 clamp
	global_load_dwordx4 v[18:21], v[5:6], off offset:-16
	v_and_b32_e32 v24, 0xffffff00, v35
	v_sub_nc_i16 v35, v26, v23 clamp
	v_lshrrev_b32_e32 v26, 16, v59
	v_mov_b32_e32 v56, 0
	v_perm_b32 v51, v36, v51, 0xc0c0105
	v_sub_nc_i16 v33, v24, v33 clamp
	v_and_b32_e32 v24, 0xffffff00, v22
	v_and_b32_e32 v27, 0xffffff00, v26
	v_lshlrev_b16 v26, 8, v26
	v_lshlrev_b16 v22, 8, v22
	v_perm_b32 v33, v35, v33, 0xc0c0105
	v_sub_nc_i16 v34, v24, v34 clamp
	v_sub_nc_i16 v52, v27, v52 clamp
	v_lshlrev_b16 v27, 8, v53
	v_lshrrev_b32_e32 v53, 16, v61
	v_sub_nc_i16 v28, v22, v28 clamp
	global_load_dwordx4 v[22:25], v[5:6], off
	v_perm_b32 v46, v47, v46, 0xc0c0105
	v_sub_nc_i16 v59, v26, v27 clamp
	v_and_b32_e32 v26, 0xffffff00, v53
	v_perm_b32 v28, v28, v34, 0xc0c0105
	v_mad_u64_u32 v[34:35], null, v4, 36, v[2:3]
	v_perm_b32 v39, v39, v45, 0xc0c0105
	v_sub_nc_i16 v32, v26, v37 clamp
	v_lshlrev_b16 v37, 8, v40
	v_lshlrev_b16 v40, 8, v53
	v_perm_b32 v53, v31, v30, 0xc0c0105
	v_mad_u64_u32 v[26:27], null, v14, 36, v[2:3]
	v_lshl_or_b32 v41, v28, 16, v41
	v_lshrrev_b32_e32 v28, 16, v62
	v_lshl_or_b32 v53, v53, 16, v54
	v_lshl_or_b32 v54, v33, 16, v55
	v_mad_u64_u32 v[30:31], null, v15, 36, v[2:3]
	v_and_b32_e32 v33, 0xffffff00, v28
	v_lshlrev_b16 v28, 8, v28
	v_sub_nc_i16 v37, v40, v37 clamp
	v_mov_b32_e32 v40, 0
	v_mov_b32_e32 v61, 0
	v_sub_nc_i16 v42, v33, v42 clamp
	v_lshrrev_b32_e32 v33, 16, v50
	v_sub_nc_i16 v50, v28, v29 clamp
	v_perm_b32 v52, v59, v52, 0xc0c0105
	v_perm_b32 v59, v37, v32, 0xc0c0105
	v_add_nc_u32_e32 v14, 32, v14
	v_and_b32_e32 v28, 0xffffff00, v33
	v_lshlrev_b16 v33, 8, v33
	v_perm_b32 v42, v50, v42, 0xc0c0105
	v_lshl_or_b32 v48, v52, 16, v48
	global_load_dword v52, v[5:6], off offset:16
	v_sub_nc_i16 v36, v28, v43 clamp
	v_lshlrev_b16 v43, 8, v44
	v_lshl_or_b32 v39, v42, 16, v39
	v_mov_b32_e32 v42, 0
	v_lshl_or_b32 v49, v59, 16, v49
	v_add_co_u32 v5, vcc_lo, 0x480, v5
	v_sub_nc_i16 v43, v33, v43 clamp
	v_lshrrev_b32_e32 v33, 16, v57
	v_add_co_ci_u32_e64 v6, null, 0, v6, vcc_lo
	v_cmp_le_u32_e32 vcc_lo, s10, v10
	v_perm_b32 v43, v43, v36, 0xc0c0105
	v_and_b32_e32 v47, 0xffffff00, v33
	v_lshlrev_b16 v33, 8, v33
	v_add_nc_u32_e32 v4, 32, v4
	v_add_nc_u32_e32 v15, 32, v15
	v_lshl_or_b32 v43, v43, 16, v51
	v_sub_nc_i16 v47, v47, v60 clamp
	v_sub_nc_i16 v58, v33, v58 clamp
	v_mov_b32_e32 v51, 0
	s_or_b32 s3, vcc_lo, s3
	s_clause 0x2
	global_load_dword v45, v[26:27], off offset:32
	global_load_dword v60, v[30:31], off offset:32
	;; [unrolled: 1-line block ×3, first 2 shown]
	v_perm_b32 v47, v58, v47, 0xc0c0105
	v_mov_b32_e32 v58, 0
	v_lshl_or_b32 v46, v47, 16, v46
	v_mov_b32_e32 v47, 0
	s_waitcnt vmcnt(5)
	v_dot4c_i32_i8 v56, v53, v19
	v_cvt_f32_f16_e32 v55, v18
	v_dot4c_i32_i8 v56, v54, v20
	v_dot4c_i32_i8 v56, v41, v21
	s_clause 0x1
	global_load_dwordx4 v[18:21], v[26:27], off
	global_load_dwordx4 v[26:29], v[26:27], off offset:16
	s_waitcnt vmcnt(6)
	v_dot4c_i32_i8 v58, v49, v23
	v_dot4c_i32_i8 v56, v48, v22
	v_lshrrev_b32_e32 v23, 4, v17
	v_and_b32_e32 v17, 15, v17
	v_dot4c_i32_i8 v58, v39, v24
	v_dot4c_i32_i8 v58, v43, v25
	s_waitcnt vmcnt(5)
	v_dot4c_i32_i8 v58, v46, v52
	v_add_nc_u32_e32 v22, v58, v56
	s_waitcnt vmcnt(1)
	v_dot4c_i32_i8 v40, v53, v19
	v_cvt_f32_f16_e32 v44, v18
	v_dot4c_i32_i8 v40, v54, v20
	v_dot4c_i32_i8 v40, v41, v21
	global_load_dwordx4 v[18:21], v[30:31], off
	s_waitcnt vmcnt(1)
	v_dot4c_i32_i8 v51, v49, v27
	global_load_dwordx4 v[30:33], v[30:31], off offset:16
	v_dot4c_i32_i8 v40, v48, v26
	v_dot4c_i32_i8 v51, v39, v28
	v_mul_lo_u32 v24, v40, v17
	v_dot4c_i32_i8 v51, v43, v29
	v_dot4c_i32_i8 v51, v46, v45
	v_add_nc_u32_e32 v26, v51, v40
	v_mul_lo_u32 v25, v51, v23
	s_waitcnt vmcnt(1)
	v_dot4c_i32_i8 v61, v53, v19
	v_cvt_f32_f16_e32 v57, v18
	s_waitcnt vmcnt(0)
	v_dot4c_i32_i8 v47, v49, v31
	v_lshrrev_b32_e32 v31, 31, v22
	v_dot4c_i32_i8 v61, v54, v20
	v_dot4c_i32_i8 v47, v39, v32
	v_lshrrev_b32_e32 v32, 31, v26
	v_add_nc_u32_e32 v22, v22, v31
	v_dot4c_i32_i8 v61, v41, v21
	s_clause 0x1
	global_load_dwordx4 v[18:21], v[34:35], off
	global_load_dwordx4 v[34:37], v[34:35], off offset:16
	v_dot4c_i32_i8 v47, v43, v33
	v_add_nc_u32_e32 v26, v26, v32
	v_dot4c_i32_i8 v61, v48, v30
	v_ashrrev_i32_e32 v22, 1, v22
	v_dot4c_i32_i8 v47, v46, v60
	v_mul_lo_u32 v27, v61, v17
	v_add_nc_u32_e32 v28, v47, v61
	v_mul_lo_u32 v30, v47, v23
	v_lshrrev_b32_e32 v33, 31, v28
	v_add_nc_u32_e32 v28, v28, v33
	s_waitcnt vmcnt(1)
	v_dot4c_i32_i8 v42, v53, v19
	v_mov_b32_e32 v19, 0
	v_cvt_f32_f16_e32 v18, v18
	v_dot4c_i32_i8 v42, v54, v20
	s_waitcnt vmcnt(0)
	v_dot4c_i32_i8 v19, v49, v35
	v_mul_lo_u32 v20, v56, v17
	v_dot4c_i32_i8 v42, v41, v21
	v_dot4c_i32_i8 v19, v39, v36
	v_mul_lo_u32 v21, v58, v23
	v_dot4c_i32_i8 v42, v48, v34
	v_dot4c_i32_i8 v19, v43, v37
	v_mul_lo_u32 v17, v42, v17
	v_dot4c_i32_i8 v19, v46, v50
	v_add3_u32 v20, v21, v20, v22
	v_add_nc_u32_e32 v29, v19, v42
	v_mul_lo_u32 v19, v19, v23
	v_ashrrev_i32_e32 v23, 1, v26
	v_ashrrev_i32_e32 v26, 1, v28
	v_lshrrev_b32_e32 v34, 31, v29
	v_add3_u32 v21, v25, v24, v23
	v_add3_u32 v22, v30, v27, v26
	v_ashrrev_i32_e32 v23, 31, v20
	v_add_nc_u32_e32 v29, v29, v34
	v_ashrrev_i32_e32 v24, 31, v21
	v_ashrrev_i32_e32 v25, 31, v22
	v_lshrrev_b32_e32 v23, 30, v23
	v_ashrrev_i32_e32 v28, 1, v29
	v_lshrrev_b32_e32 v24, 30, v24
	v_lshrrev_b32_e32 v25, 30, v25
	v_add_nc_u32_e32 v20, v20, v23
	v_add3_u32 v17, v19, v17, v28
	v_cvt_f32_f16_e32 v19, v38
	v_add_nc_u32_e32 v21, v21, v24
	v_add_nc_u32_e32 v22, v22, v25
	v_ashrrev_i32_e32 v20, 2, v20
	v_ashrrev_i32_e32 v26, 31, v17
	v_mul_f32_e32 v27, v19, v55
	v_ashrrev_i32_e32 v21, 2, v21
	v_ashrrev_i32_e32 v22, 2, v22
	v_mul_f32_e32 v28, v19, v44
	v_lshrrev_b32_e32 v26, 30, v26
	v_mul_f32_e32 v23, v19, v57
	v_mul_f32_e32 v18, v19, v18
	v_cvt_f32_i32_e32 v19, v20
	v_cvt_f32_i32_e32 v20, v21
	v_add_nc_u32_e32 v17, v17, v26
	v_cvt_f32_i32_e32 v21, v22
	v_fmac_f32_e32 v11, v27, v19
	v_fmac_f32_e32 v9, v28, v20
	v_ashrrev_i32_e32 v17, 2, v17
	v_fmac_f32_e32 v8, v23, v21
	v_cvt_f32_i32_e32 v17, v17
	v_fmac_f32_e32 v7, v18, v17
	s_andn2_b32 exec_lo, exec_lo, s3
	s_cbranch_execnz .LBB175_2
; %bb.3:
	s_or_b32 exec_lo, exec_lo, s3
.LBB175_4:
	s_or_b32 exec_lo, exec_lo, s9
	s_mov_b32 s1, 0
	; wave barrier
	buffer_gl0_inv
	s_mov_b32 s0, exec_lo
	v_cmpx_eq_u32_e32 0, v1
	s_cbranch_execz .LBB175_13
; %bb.5:
	v_mbcnt_lo_u32_b32 v5, -1, 0
	s_load_dwordx2 s[4:5], s[4:5], 0x38
	s_mul_i32 s0, s14, s7
	s_mul_i32 s3, s18, s8
	s_add_i32 s0, s0, s6
	v_xor_b32_e32 v1, 16, v5
	v_xor_b32_e32 v2, 8, v5
	s_add_i32 s0, s0, s3
	s_lshl_b64 s[0:1], s[0:1], 2
	v_cmp_gt_i32_e32 vcc_lo, 32, v1
	v_cndmask_b32_e32 v1, v5, v1, vcc_lo
	v_cmp_gt_i32_e32 vcc_lo, 32, v2
	v_lshlrev_b32_e32 v1, 2, v1
	v_cndmask_b32_e32 v2, v5, v2, vcc_lo
	s_waitcnt lgkmcnt(0)
	s_add_u32 s0, s4, s0
	s_addc_u32 s1, s5, s1
	ds_bpermute_b32 v3, v1, v11
	v_lshlrev_b32_e32 v2, 2, v2
	s_waitcnt lgkmcnt(0)
	v_add_f32_e32 v4, v11, v3
	v_xor_b32_e32 v3, 4, v5
	v_xor_b32_e32 v11, 1, v5
	ds_bpermute_b32 v6, v2, v4
	v_cmp_gt_i32_e32 vcc_lo, 32, v3
	v_cndmask_b32_e32 v3, v5, v3, vcc_lo
	v_lshlrev_b32_e32 v3, 2, v3
	s_waitcnt lgkmcnt(0)
	v_add_f32_e32 v6, v4, v6
	v_xor_b32_e32 v4, 2, v5
	ds_bpermute_b32 v10, v3, v6
	v_cmp_gt_i32_e32 vcc_lo, 32, v4
	v_cndmask_b32_e32 v4, v5, v4, vcc_lo
	v_cmp_gt_i32_e32 vcc_lo, 32, v11
	v_lshlrev_b32_e32 v4, 2, v4
	v_cndmask_b32_e32 v5, v5, v11, vcc_lo
	v_cmp_eq_u32_e32 vcc_lo, 0, v0
	v_lshlrev_b32_e32 v5, 2, v5
	s_waitcnt lgkmcnt(0)
	v_add_f32_e32 v6, v6, v10
	ds_bpermute_b32 v10, v4, v6
	s_waitcnt lgkmcnt(0)
	v_add_f32_e32 v6, v6, v10
	ds_bpermute_b32 v10, v5, v6
	s_and_saveexec_b32 s3, vcc_lo
	s_cbranch_execz .LBB175_7
; %bb.6:
	s_waitcnt lgkmcnt(0)
	v_add_f32_e32 v0, v6, v10
	v_mov_b32_e32 v6, 0
	global_store_dword v6, v0, s[0:1]
.LBB175_7:
	s_or_b32 exec_lo, exec_lo, s3
	ds_bpermute_b32 v0, v1, v9
	s_waitcnt lgkmcnt(0)
	v_add_f32_e32 v0, v9, v0
	ds_bpermute_b32 v6, v2, v0
	s_waitcnt lgkmcnt(0)
	v_add_f32_e32 v0, v0, v6
	;; [unrolled: 3-line block ×4, first 2 shown]
	ds_bpermute_b32 v6, v5, v0
	s_and_saveexec_b32 s4, vcc_lo
	s_cbranch_execz .LBB175_9
; %bb.8:
	s_mov_b32 s3, 0
	s_waitcnt lgkmcnt(0)
	v_add_f32_e32 v0, v0, v6
	s_lshl_b64 s[6:7], s[2:3], 2
	v_mov_b32_e32 v6, 0
	s_add_u32 s6, s0, s6
	s_addc_u32 s7, s1, s7
	global_store_dword v6, v0, s[6:7]
.LBB175_9:
	s_or_b32 exec_lo, exec_lo, s4
	ds_bpermute_b32 v0, v1, v8
	s_waitcnt lgkmcnt(0)
	v_add_f32_e32 v0, v8, v0
	ds_bpermute_b32 v6, v2, v0
	s_waitcnt lgkmcnt(0)
	v_add_f32_e32 v0, v0, v6
	;; [unrolled: 3-line block ×4, first 2 shown]
	ds_bpermute_b32 v6, v5, v0
	s_and_saveexec_b32 s3, vcc_lo
	s_cbranch_execz .LBB175_11
; %bb.10:
	s_lshl_b32 s4, s2, 1
	s_mov_b32 s5, 0
	s_waitcnt lgkmcnt(0)
	v_add_f32_e32 v0, v0, v6
	s_lshl_b64 s[4:5], s[4:5], 2
	v_mov_b32_e32 v6, 0
	s_add_u32 s4, s0, s4
	s_addc_u32 s5, s1, s5
	global_store_dword v6, v0, s[4:5]
.LBB175_11:
	s_or_b32 exec_lo, exec_lo, s3
	ds_bpermute_b32 v0, v1, v7
	s_waitcnt lgkmcnt(0)
	v_add_f32_e32 v0, v7, v0
	ds_bpermute_b32 v1, v2, v0
	s_waitcnt lgkmcnt(0)
	v_add_f32_e32 v0, v0, v1
	;; [unrolled: 3-line block ×4, first 2 shown]
	ds_bpermute_b32 v1, v5, v0
	s_and_b32 exec_lo, exec_lo, vcc_lo
	s_cbranch_execz .LBB175_13
; %bb.12:
	s_mul_i32 s2, s2, 3
	s_mov_b32 s3, 0
	s_waitcnt lgkmcnt(0)
	v_add_f32_e32 v0, v0, v1
	s_lshl_b64 s[2:3], s[2:3], 2
	v_mov_b32_e32 v1, 0
	s_add_u32 s0, s0, s2
	s_addc_u32 s1, s1, s3
	global_store_dword v1, v0, s[0:1]
.LBB175_13:
	s_endpgm
	.section	.rodata,"a",@progbits
	.p2align	6, 0x0
	.amdhsa_kernel _ZL13mul_mat_vec_qIL9ggml_type17ELi4ELb0ELb0EEvPKvS2_PKi31ggml_cuda_mm_fusion_args_devicePfj15HIP_vector_typeIjLj3EEjjjS8_jjjS8_jjjj
		.amdhsa_group_segment_fixed_size 0
		.amdhsa_private_segment_fixed_size 0
		.amdhsa_kernarg_size 144
		.amdhsa_user_sgpr_count 6
		.amdhsa_user_sgpr_private_segment_buffer 1
		.amdhsa_user_sgpr_dispatch_ptr 0
		.amdhsa_user_sgpr_queue_ptr 0
		.amdhsa_user_sgpr_kernarg_segment_ptr 1
		.amdhsa_user_sgpr_dispatch_id 0
		.amdhsa_user_sgpr_flat_scratch_init 0
		.amdhsa_user_sgpr_private_segment_size 0
		.amdhsa_wavefront_size32 1
		.amdhsa_uses_dynamic_stack 0
		.amdhsa_system_sgpr_private_segment_wavefront_offset 0
		.amdhsa_system_sgpr_workgroup_id_x 1
		.amdhsa_system_sgpr_workgroup_id_y 1
		.amdhsa_system_sgpr_workgroup_id_z 1
		.amdhsa_system_sgpr_workgroup_info 0
		.amdhsa_system_vgpr_workitem_id 1
		.amdhsa_next_free_vgpr 63
		.amdhsa_next_free_sgpr 28
		.amdhsa_reserve_vcc 1
		.amdhsa_reserve_flat_scratch 0
		.amdhsa_float_round_mode_32 0
		.amdhsa_float_round_mode_16_64 0
		.amdhsa_float_denorm_mode_32 3
		.amdhsa_float_denorm_mode_16_64 3
		.amdhsa_dx10_clamp 1
		.amdhsa_ieee_mode 1
		.amdhsa_fp16_overflow 0
		.amdhsa_workgroup_processor_mode 1
		.amdhsa_memory_ordered 1
		.amdhsa_forward_progress 1
		.amdhsa_shared_vgpr_count 0
		.amdhsa_exception_fp_ieee_invalid_op 0
		.amdhsa_exception_fp_denorm_src 0
		.amdhsa_exception_fp_ieee_div_zero 0
		.amdhsa_exception_fp_ieee_overflow 0
		.amdhsa_exception_fp_ieee_underflow 0
		.amdhsa_exception_fp_ieee_inexact 0
		.amdhsa_exception_int_div_zero 0
	.end_amdhsa_kernel
	.section	.text._ZL13mul_mat_vec_qIL9ggml_type17ELi4ELb0ELb0EEvPKvS2_PKi31ggml_cuda_mm_fusion_args_devicePfj15HIP_vector_typeIjLj3EEjjjS8_jjjS8_jjjj,"axG",@progbits,_ZL13mul_mat_vec_qIL9ggml_type17ELi4ELb0ELb0EEvPKvS2_PKi31ggml_cuda_mm_fusion_args_devicePfj15HIP_vector_typeIjLj3EEjjjS8_jjjS8_jjjj,comdat
.Lfunc_end175:
	.size	_ZL13mul_mat_vec_qIL9ggml_type17ELi4ELb0ELb0EEvPKvS2_PKi31ggml_cuda_mm_fusion_args_devicePfj15HIP_vector_typeIjLj3EEjjjS8_jjjS8_jjjj, .Lfunc_end175-_ZL13mul_mat_vec_qIL9ggml_type17ELi4ELb0ELb0EEvPKvS2_PKi31ggml_cuda_mm_fusion_args_devicePfj15HIP_vector_typeIjLj3EEjjjS8_jjjS8_jjjj
                                        ; -- End function
	.set _ZL13mul_mat_vec_qIL9ggml_type17ELi4ELb0ELb0EEvPKvS2_PKi31ggml_cuda_mm_fusion_args_devicePfj15HIP_vector_typeIjLj3EEjjjS8_jjjS8_jjjj.num_vgpr, 63
	.set _ZL13mul_mat_vec_qIL9ggml_type17ELi4ELb0ELb0EEvPKvS2_PKi31ggml_cuda_mm_fusion_args_devicePfj15HIP_vector_typeIjLj3EEjjjS8_jjjS8_jjjj.num_agpr, 0
	.set _ZL13mul_mat_vec_qIL9ggml_type17ELi4ELb0ELb0EEvPKvS2_PKi31ggml_cuda_mm_fusion_args_devicePfj15HIP_vector_typeIjLj3EEjjjS8_jjjS8_jjjj.numbered_sgpr, 28
	.set _ZL13mul_mat_vec_qIL9ggml_type17ELi4ELb0ELb0EEvPKvS2_PKi31ggml_cuda_mm_fusion_args_devicePfj15HIP_vector_typeIjLj3EEjjjS8_jjjS8_jjjj.num_named_barrier, 0
	.set _ZL13mul_mat_vec_qIL9ggml_type17ELi4ELb0ELb0EEvPKvS2_PKi31ggml_cuda_mm_fusion_args_devicePfj15HIP_vector_typeIjLj3EEjjjS8_jjjS8_jjjj.private_seg_size, 0
	.set _ZL13mul_mat_vec_qIL9ggml_type17ELi4ELb0ELb0EEvPKvS2_PKi31ggml_cuda_mm_fusion_args_devicePfj15HIP_vector_typeIjLj3EEjjjS8_jjjS8_jjjj.uses_vcc, 1
	.set _ZL13mul_mat_vec_qIL9ggml_type17ELi4ELb0ELb0EEvPKvS2_PKi31ggml_cuda_mm_fusion_args_devicePfj15HIP_vector_typeIjLj3EEjjjS8_jjjS8_jjjj.uses_flat_scratch, 0
	.set _ZL13mul_mat_vec_qIL9ggml_type17ELi4ELb0ELb0EEvPKvS2_PKi31ggml_cuda_mm_fusion_args_devicePfj15HIP_vector_typeIjLj3EEjjjS8_jjjS8_jjjj.has_dyn_sized_stack, 0
	.set _ZL13mul_mat_vec_qIL9ggml_type17ELi4ELb0ELb0EEvPKvS2_PKi31ggml_cuda_mm_fusion_args_devicePfj15HIP_vector_typeIjLj3EEjjjS8_jjjS8_jjjj.has_recursion, 0
	.set _ZL13mul_mat_vec_qIL9ggml_type17ELi4ELb0ELb0EEvPKvS2_PKi31ggml_cuda_mm_fusion_args_devicePfj15HIP_vector_typeIjLj3EEjjjS8_jjjS8_jjjj.has_indirect_call, 0
	.section	.AMDGPU.csdata,"",@progbits
; Kernel info:
; codeLenInByte = 3796
; TotalNumSgprs: 30
; NumVgprs: 63
; ScratchSize: 0
; MemoryBound: 0
; FloatMode: 240
; IeeeMode: 1
; LDSByteSize: 0 bytes/workgroup (compile time only)
; SGPRBlocks: 0
; VGPRBlocks: 7
; NumSGPRsForWavesPerEU: 30
; NumVGPRsForWavesPerEU: 63
; Occupancy: 16
; WaveLimiterHint : 0
; COMPUTE_PGM_RSRC2:SCRATCH_EN: 0
; COMPUTE_PGM_RSRC2:USER_SGPR: 6
; COMPUTE_PGM_RSRC2:TRAP_HANDLER: 0
; COMPUTE_PGM_RSRC2:TGID_X_EN: 1
; COMPUTE_PGM_RSRC2:TGID_Y_EN: 1
; COMPUTE_PGM_RSRC2:TGID_Z_EN: 1
; COMPUTE_PGM_RSRC2:TIDIG_COMP_CNT: 1
	.section	.text._ZL13mul_mat_vec_qIL9ggml_type17ELi5ELb0ELb0EEvPKvS2_PKi31ggml_cuda_mm_fusion_args_devicePfj15HIP_vector_typeIjLj3EEjjjS8_jjjS8_jjjj,"axG",@progbits,_ZL13mul_mat_vec_qIL9ggml_type17ELi5ELb0ELb0EEvPKvS2_PKi31ggml_cuda_mm_fusion_args_devicePfj15HIP_vector_typeIjLj3EEjjjS8_jjjS8_jjjj,comdat
	.globl	_ZL13mul_mat_vec_qIL9ggml_type17ELi5ELb0ELb0EEvPKvS2_PKi31ggml_cuda_mm_fusion_args_devicePfj15HIP_vector_typeIjLj3EEjjjS8_jjjS8_jjjj ; -- Begin function _ZL13mul_mat_vec_qIL9ggml_type17ELi5ELb0ELb0EEvPKvS2_PKi31ggml_cuda_mm_fusion_args_devicePfj15HIP_vector_typeIjLj3EEjjjS8_jjjS8_jjjj
	.p2align	8
	.type	_ZL13mul_mat_vec_qIL9ggml_type17ELi5ELb0ELb0EEvPKvS2_PKi31ggml_cuda_mm_fusion_args_devicePfj15HIP_vector_typeIjLj3EEjjjS8_jjjS8_jjjj,@function
_ZL13mul_mat_vec_qIL9ggml_type17ELi5ELb0ELb0EEvPKvS2_PKi31ggml_cuda_mm_fusion_args_devicePfj15HIP_vector_typeIjLj3EEjjjS8_jjjS8_jjjj: ; @_ZL13mul_mat_vec_qIL9ggml_type17ELi5ELb0ELb0EEvPKvS2_PKi31ggml_cuda_mm_fusion_args_devicePfj15HIP_vector_typeIjLj3EEjjjS8_jjjS8_jjjj
; %bb.0:
	s_clause 0x5
	s_load_dword s9, s[4:5], 0x40
	s_load_dwordx4 s[0:3], s[4:5], 0x50
	s_load_dword s11, s[4:5], 0x60
	s_load_dwordx4 s[12:15], s[4:5], 0x68
	;; [unrolled: 2-line block ×3, first 2 shown]
	v_lshl_or_b32 v2, v1, 5, v0
	v_mov_b32_e32 v7, 0
	v_mov_b32_e32 v8, 0
	;; [unrolled: 1-line block ×4, first 2 shown]
	v_lshrrev_b32_e32 v11, 3, v2
	v_mov_b32_e32 v12, 0
	s_waitcnt lgkmcnt(0)
	s_lshr_b32 s10, s9, 8
	s_mov_b32 s9, exec_lo
	v_cmpx_gt_u32_e64 s10, v11
	s_cbranch_execz .LBB176_4
; %bb.1:
	s_mul_i32 s13, s13, s7
	s_load_dwordx4 s[20:23], s[4:5], 0x0
	s_mul_hi_u32 s27, s13, 36
	s_mul_i32 s26, s13, 36
	s_mul_i32 s17, s17, s8
	v_mad_u64_u32 v[2:3], null, 0x120, v11, s[26:27]
	v_and_b32_e32 v13, 7, v0
	v_lshlrev_b32_e32 v4, 1, v0
	s_mul_hi_u32 s3, s3, s7
	s_mul_hi_u32 s15, s15, s8
	v_lshlrev_b32_e32 v6, 3, v11
	s_add_i32 s3, s7, s3
	v_mad_u64_u32 v[2:3], null, s17, 36, v[2:3]
	v_and_b32_e32 v4, 14, v4
	s_add_i32 s15, s8, s15
	s_mul_i32 s25, s17, 36
	s_lshr_b32 s3, s3, s11
	s_mul_hi_u32 s19, s17, 36
	s_lshr_b32 s11, s15, s24
	v_mad_u64_u32 v[7:8], null, v13, 36, v[2:3]
	s_mul_i32 s3, s3, s12
	s_waitcnt lgkmcnt(0)
	s_add_u32 s12, s22, s25
	v_lshlrev_b32_e32 v9, 1, v4
	s_addc_u32 s13, s23, s19
	s_add_u32 s12, s12, s26
	s_addc_u32 s13, s13, s27
	v_mad_u64_u32 v[4:5], null, s1, 3, v[6:7]
	v_add_co_u32 v5, vcc_lo, s22, v7
	v_add_co_ci_u32_e64 v7, null, s23, v8, vcc_lo
	v_mad_u64_u32 v[2:3], null, v13, 36, s[12:13]
	v_add_co_u32 v5, vcc_lo, v5, 16
	s_mul_i32 s0, s0, s6
	v_mov_b32_e32 v14, 0
	v_add_nc_u32_e32 v15, s1, v6
	v_lshl_add_u32 v16, s1, 2, v6
	v_lshl_add_u32 v17, s1, 1, v6
	v_add_co_ci_u32_e64 v6, null, 0, v7, vcc_lo
	v_lshlrev_b32_e32 v18, 1, v9
	v_mov_b32_e32 v7, 0
	v_mov_b32_e32 v8, 0
	;; [unrolled: 1-line block ×5, first 2 shown]
	s_mul_i32 s11, s11, s16
	s_add_i32 s3, s3, s0
	s_add_i32 s11, s11, s3
	s_mov_b32 s3, 0
.LBB176_2:                              ; =>This Inner Loop Header: Depth=1
	v_add_nc_u32_e32 v19, s11, v11
	s_getpc_b64 s[0:1]
	s_add_u32 s0, s0, _ZL10iq2xs_grid@rel32@lo+4
	s_addc_u32 s1, s1, _ZL10iq2xs_grid@rel32@hi+12
	v_mov_b32_e32 v39, 0
	v_add_nc_u32_e32 v11, 4, v11
	v_mad_i64_i32 v[30:31], null, 0x4a, v19, s[20:21]
	v_add_co_u32 v19, vcc_lo, v30, v18
	v_add_co_ci_u32_e64 v20, null, 0, v31, vcc_lo
	global_load_dwordx2 v[25:26], v[19:20], off offset:2
	v_add_co_u32 v19, vcc_lo, v30, v13
	v_add_co_ci_u32_e64 v20, null, 0, v31, vcc_lo
	global_load_ubyte v21, v[19:20], off offset:66
	s_waitcnt vmcnt(1)
	v_and_b32_e32 v19, 0x1ff, v25
	v_bfe_u32 v22, v25, 9, 7
	v_lshlrev_b32_e32 v19, 3, v19
	v_bcnt_u32_b32 v23, v22, 0
	global_load_dwordx2 v[19:20], v19, s[0:1]
	v_and_b32_e32 v23, 1, v23
	v_lshl_or_b32 v22, v23, 7, v22
	v_mul_lo_u32 v22, 0x1010101, v22
	v_and_b32_e32 v23, 0x8040201, v22
	v_lshrrev_b32_e32 v24, 18, v22
	v_cmp_ne_u16_sdwa s12, v23, v14 src0_sel:BYTE_3 src1_sel:DWORD
	v_cmp_ne_u16_sdwa s13, v23, v14 src0_sel:BYTE_1 src1_sel:DWORD
	v_bfe_i32 v23, v22, 0, 1
	v_bfe_i32 v24, v24, 0, 1
	v_cndmask_b32_e64 v29, 0, -1, s12
	v_cndmask_b32_e64 v27, 0, -1, s13
	v_lshlrev_b16 v29, 8, v29
	v_lshlrev_b16 v27, 8, v27
	v_or_b32_sdwa v32, v24, v29 dst_sel:WORD_1 dst_unused:UNUSED_PAD src0_sel:BYTE_0 src1_sel:DWORD
	v_or_b32_sdwa v28, v23, v27 dst_sel:DWORD dst_unused:UNUSED_PAD src0_sel:BYTE_0 src1_sel:DWORD
	v_lshlrev_b16 v23, 8, v23
	v_lshlrev_b16 v24, 8, v24
	v_or_b32_sdwa v28, v28, v32 dst_sel:DWORD dst_unused:UNUSED_PAD src0_sel:WORD_0 src1_sel:DWORD
	s_waitcnt vmcnt(0)
	v_xor_b32_e32 v19, v19, v28
	v_lshrrev_b32_e32 v28, 16, v19
	v_and_b32_e32 v32, 0xffffff00, v19
	v_lshlrev_b16 v19, 8, v19
	v_sub_nc_i16 v27, v32, v27 clamp
	v_sub_nc_i16 v19, v19, v23 clamp
	v_and_b32_e32 v23, 0xffffff00, v28
	v_perm_b32 v19, v19, v27, 0xc0c0105
	v_lshlrev_b16 v27, 8, v28
	v_sub_nc_i16 v23, v23, v29 clamp
	v_sub_nc_i16 v24, v27, v24 clamp
	v_perm_b32 v23, v24, v23, 0xc0c0105
	v_lshl_or_b32 v19, v23, 16, v19
	v_and_b32_e32 v23, 0x80402010, v22
	v_lshrrev_b32_e32 v22, 22, v22
	v_cmp_ne_u16_sdwa s12, v23, v14 src0_sel:BYTE_3 src1_sel:DWORD
	v_cmp_ne_u16_sdwa s13, v23, v14 src0_sel:BYTE_1 src1_sel:DWORD
	v_lshrrev_b16 v23, 4, v23
	v_bfe_i32 v22, v22, 0, 1
	v_cndmask_b32_e64 v28, 0, -1, s12
	v_cndmask_b32_e64 v24, 0, -1, s13
	v_bfe_i32 v23, v23, 0, 1
	v_lshlrev_b16 v28, 8, v28
	v_lshlrev_b16 v24, 8, v24
	v_or_b32_sdwa v29, v22, v28 dst_sel:WORD_1 dst_unused:UNUSED_PAD src0_sel:BYTE_0 src1_sel:DWORD
	v_or_b32_sdwa v27, v23, v24 dst_sel:DWORD dst_unused:UNUSED_PAD src0_sel:BYTE_0 src1_sel:DWORD
	v_lshlrev_b16 v23, 8, v23
	v_lshlrev_b16 v22, 8, v22
	v_or_b32_sdwa v27, v27, v29 dst_sel:DWORD dst_unused:UNUSED_PAD src0_sel:WORD_0 src1_sel:DWORD
	v_xor_b32_e32 v20, v20, v27
	v_lshrrev_b32_e32 v27, 16, v20
	v_and_b32_e32 v29, 0xffffff00, v20
	v_lshlrev_b16 v20, 8, v20
	v_sub_nc_i16 v24, v29, v24 clamp
	v_sub_nc_i16 v20, v20, v23 clamp
	v_and_b32_e32 v23, 0xffffff00, v27
	v_perm_b32 v20, v20, v24, 0xc0c0105
	v_lshlrev_b16 v24, 8, v27
	v_sub_nc_i16 v23, v23, v28 clamp
	v_sub_nc_i16 v22, v24, v22 clamp
	v_lshrrev_b32_e32 v24, 25, v25
	v_perm_b32 v22, v22, v23, 0xc0c0105
	v_bcnt_u32_b32 v24, v24, 0
	v_lshl_or_b32 v20, v22, 16, v20
	v_lshrrev_b32_e32 v22, 13, v25
	v_and_b32_e32 v24, 1, v24
	v_and_b32_e32 v22, 0xff8, v22
	v_alignbit_b32 v24, v24, v25, 25
	global_load_dwordx2 v[22:23], v22, s[0:1]
	v_mul_lo_u32 v24, 0x1010101, v24
	v_and_b32_e32 v25, 0x8040201, v24
	v_lshrrev_b32_e32 v27, 18, v24
	v_cmp_ne_u16_sdwa s12, v25, v14 src0_sel:BYTE_3 src1_sel:DWORD
	v_cmp_ne_u16_sdwa s13, v25, v14 src0_sel:BYTE_1 src1_sel:DWORD
	v_bfe_i32 v25, v24, 0, 1
	v_bfe_i32 v27, v27, 0, 1
	v_cndmask_b32_e64 v32, 0, -1, s12
	v_cndmask_b32_e64 v28, 0, -1, s13
	v_lshlrev_b16 v32, 8, v32
	v_lshlrev_b16 v28, 8, v28
	v_or_b32_sdwa v33, v27, v32 dst_sel:WORD_1 dst_unused:UNUSED_PAD src0_sel:BYTE_0 src1_sel:DWORD
	v_or_b32_sdwa v29, v25, v28 dst_sel:DWORD dst_unused:UNUSED_PAD src0_sel:BYTE_0 src1_sel:DWORD
	v_lshlrev_b16 v25, 8, v25
	v_lshlrev_b16 v27, 8, v27
	v_or_b32_sdwa v29, v29, v33 dst_sel:DWORD dst_unused:UNUSED_PAD src0_sel:WORD_0 src1_sel:DWORD
	s_waitcnt vmcnt(0)
	v_xor_b32_e32 v22, v22, v29
	v_lshrrev_b32_e32 v29, 16, v22
	v_and_b32_e32 v33, 0xffffff00, v22
	v_lshlrev_b16 v22, 8, v22
	v_sub_nc_i16 v28, v33, v28 clamp
	v_sub_nc_i16 v22, v22, v25 clamp
	v_and_b32_e32 v25, 0xffffff00, v29
	v_perm_b32 v22, v22, v28, 0xc0c0105
	v_lshlrev_b16 v28, 8, v29
	v_sub_nc_i16 v25, v25, v32 clamp
	v_sub_nc_i16 v27, v28, v27 clamp
	v_perm_b32 v25, v27, v25, 0xc0c0105
	v_lshl_or_b32 v22, v25, 16, v22
	v_and_b32_e32 v25, 0x80402010, v24
	v_lshrrev_b32_e32 v24, 22, v24
	v_cmp_ne_u16_sdwa s12, v25, v14 src0_sel:BYTE_3 src1_sel:DWORD
	v_cmp_ne_u16_sdwa s13, v25, v14 src0_sel:BYTE_1 src1_sel:DWORD
	v_lshrrev_b16 v25, 4, v25
	v_bfe_i32 v24, v24, 0, 1
	v_cndmask_b32_e64 v29, 0, -1, s12
	v_cndmask_b32_e64 v27, 0, -1, s13
	v_bfe_i32 v25, v25, 0, 1
	v_lshlrev_b16 v29, 8, v29
	v_lshlrev_b16 v27, 8, v27
	v_or_b32_sdwa v32, v24, v29 dst_sel:WORD_1 dst_unused:UNUSED_PAD src0_sel:BYTE_0 src1_sel:DWORD
	v_or_b32_sdwa v28, v25, v27 dst_sel:DWORD dst_unused:UNUSED_PAD src0_sel:BYTE_0 src1_sel:DWORD
	v_lshlrev_b16 v25, 8, v25
	v_lshlrev_b16 v24, 8, v24
	v_or_b32_sdwa v28, v28, v32 dst_sel:DWORD dst_unused:UNUSED_PAD src0_sel:WORD_0 src1_sel:DWORD
	v_xor_b32_e32 v23, v23, v28
	v_lshrrev_b32_e32 v28, 16, v23
	v_and_b32_e32 v32, 0xffffff00, v23
	v_lshlrev_b16 v23, 8, v23
	v_sub_nc_i16 v27, v32, v27 clamp
	v_sub_nc_i16 v23, v23, v25 clamp
	v_and_b32_e32 v25, 0xffffff00, v28
	v_perm_b32 v23, v23, v27, 0xc0c0105
	v_lshlrev_b16 v27, 8, v28
	v_sub_nc_i16 v25, v25, v29 clamp
	v_sub_nc_i16 v24, v27, v24 clamp
	v_bfe_u32 v27, v26, 9, 7
	v_perm_b32 v24, v24, v25, 0xc0c0105
	v_bcnt_u32_b32 v28, v27, 0
	v_lshl_or_b32 v23, v24, 16, v23
	v_and_b32_e32 v24, 0x1ff, v26
	v_and_b32_e32 v28, 1, v28
	v_lshlrev_b32_e32 v24, 3, v24
	v_lshl_or_b32 v27, v28, 7, v27
	global_load_dwordx2 v[24:25], v24, s[0:1]
	v_mul_lo_u32 v27, 0x1010101, v27
	v_and_b32_e32 v28, 0x8040201, v27
	v_lshrrev_b32_e32 v29, 18, v27
	v_cmp_ne_u16_sdwa s12, v28, v14 src0_sel:BYTE_3 src1_sel:DWORD
	v_cmp_ne_u16_sdwa s13, v28, v14 src0_sel:BYTE_1 src1_sel:DWORD
	v_bfe_i32 v28, v27, 0, 1
	v_bfe_i32 v29, v29, 0, 1
	v_cndmask_b32_e64 v34, 0, -1, s12
	v_cndmask_b32_e64 v32, 0, -1, s13
	v_lshlrev_b16 v34, 8, v34
	v_lshlrev_b16 v32, 8, v32
	v_or_b32_sdwa v35, v29, v34 dst_sel:WORD_1 dst_unused:UNUSED_PAD src0_sel:BYTE_0 src1_sel:DWORD
	v_or_b32_sdwa v33, v28, v32 dst_sel:DWORD dst_unused:UNUSED_PAD src0_sel:BYTE_0 src1_sel:DWORD
	v_lshlrev_b16 v28, 8, v28
	v_lshlrev_b16 v29, 8, v29
	v_or_b32_sdwa v33, v33, v35 dst_sel:DWORD dst_unused:UNUSED_PAD src0_sel:WORD_0 src1_sel:DWORD
	s_waitcnt vmcnt(0)
	v_xor_b32_e32 v24, v24, v33
	v_lshrrev_b32_e32 v33, 16, v24
	v_and_b32_e32 v35, 0xffffff00, v24
	v_lshlrev_b16 v24, 8, v24
	v_sub_nc_i16 v32, v35, v32 clamp
	v_sub_nc_i16 v24, v24, v28 clamp
	v_and_b32_e32 v28, 0xffffff00, v33
	v_perm_b32 v24, v24, v32, 0xc0c0105
	v_lshlrev_b16 v32, 8, v33
	v_sub_nc_i16 v28, v28, v34 clamp
	v_sub_nc_i16 v29, v32, v29 clamp
	v_perm_b32 v28, v29, v28, 0xc0c0105
	v_lshl_or_b32 v24, v28, 16, v24
	v_and_b32_e32 v28, 0x80402010, v27
	v_lshrrev_b32_e32 v27, 22, v27
	v_cmp_ne_u16_sdwa s12, v28, v14 src0_sel:BYTE_3 src1_sel:DWORD
	v_cmp_ne_u16_sdwa s13, v28, v14 src0_sel:BYTE_1 src1_sel:DWORD
	v_lshrrev_b16 v28, 4, v28
	v_bfe_i32 v27, v27, 0, 1
	v_cndmask_b32_e64 v33, 0, -1, s12
	v_cndmask_b32_e64 v29, 0, -1, s13
	v_bfe_i32 v28, v28, 0, 1
	v_lshlrev_b16 v33, 8, v33
	v_lshlrev_b16 v29, 8, v29
	v_or_b32_sdwa v34, v27, v33 dst_sel:WORD_1 dst_unused:UNUSED_PAD src0_sel:BYTE_0 src1_sel:DWORD
	v_or_b32_sdwa v32, v28, v29 dst_sel:DWORD dst_unused:UNUSED_PAD src0_sel:BYTE_0 src1_sel:DWORD
	v_lshlrev_b16 v28, 8, v28
	v_lshlrev_b16 v27, 8, v27
	v_or_b32_sdwa v32, v32, v34 dst_sel:DWORD dst_unused:UNUSED_PAD src0_sel:WORD_0 src1_sel:DWORD
	v_xor_b32_e32 v25, v25, v32
	v_lshrrev_b32_e32 v32, 16, v25
	v_and_b32_e32 v34, 0xffffff00, v25
	v_lshlrev_b16 v25, 8, v25
	v_sub_nc_i16 v29, v34, v29 clamp
	v_sub_nc_i16 v25, v25, v28 clamp
	v_and_b32_e32 v28, 0xffffff00, v32
	v_perm_b32 v25, v25, v29, 0xc0c0105
	v_lshlrev_b16 v29, 8, v32
	v_sub_nc_i16 v28, v28, v33 clamp
	v_sub_nc_i16 v27, v29, v27 clamp
	v_lshrrev_b32_e32 v29, 25, v26
	v_perm_b32 v27, v27, v28, 0xc0c0105
	v_bcnt_u32_b32 v29, v29, 0
	v_lshl_or_b32 v25, v27, 16, v25
	v_lshrrev_b32_e32 v27, 13, v26
	v_and_b32_e32 v29, 1, v29
	v_and_b32_e32 v27, 0xff8, v27
	v_alignbit_b32 v26, v29, v26, 25
	global_load_dwordx2 v[27:28], v27, s[0:1]
	v_mul_lo_u32 v29, 0x1010101, v26
	v_and_b32_e32 v26, 0x8040201, v29
	v_lshrrev_b32_e32 v32, 18, v29
	v_cmp_ne_u16_sdwa s0, v26, v14 src0_sel:BYTE_3 src1_sel:DWORD
	v_cmp_ne_u16_sdwa s1, v26, v14 src0_sel:BYTE_1 src1_sel:DWORD
	v_bfe_i32 v26, v29, 0, 1
	v_bfe_i32 v32, v32, 0, 1
	v_cndmask_b32_e64 v35, 0, -1, s0
	v_cndmask_b32_e64 v33, 0, -1, s1
	v_lshlrev_b16 v35, 8, v35
	v_lshlrev_b16 v33, 8, v33
	v_or_b32_sdwa v36, v32, v35 dst_sel:WORD_1 dst_unused:UNUSED_PAD src0_sel:BYTE_0 src1_sel:DWORD
	v_or_b32_sdwa v34, v26, v33 dst_sel:DWORD dst_unused:UNUSED_PAD src0_sel:BYTE_0 src1_sel:DWORD
	v_lshlrev_b16 v26, 8, v26
	v_lshlrev_b16 v32, 8, v32
	v_or_b32_sdwa v34, v34, v36 dst_sel:DWORD dst_unused:UNUSED_PAD src0_sel:WORD_0 src1_sel:DWORD
	s_waitcnt vmcnt(0)
	v_xor_b32_e32 v27, v27, v34
	v_lshrrev_b32_e32 v34, 16, v27
	v_and_b32_e32 v36, 0xffffff00, v27
	v_lshlrev_b16 v27, 8, v27
	v_sub_nc_i16 v33, v36, v33 clamp
	v_sub_nc_i16 v26, v27, v26 clamp
	v_and_b32_e32 v27, 0xffffff00, v34
	v_perm_b32 v26, v26, v33, 0xc0c0105
	v_lshlrev_b16 v33, 8, v34
	v_sub_nc_i16 v27, v27, v35 clamp
	v_sub_nc_i16 v32, v33, v32 clamp
	v_perm_b32 v27, v32, v27, 0xc0c0105
	v_lshl_or_b32 v26, v27, 16, v26
	v_and_b32_e32 v27, 0x80402010, v29
	v_lshrrev_b32_e32 v29, 22, v29
	v_cmp_ne_u16_sdwa s0, v27, v14 src0_sel:BYTE_3 src1_sel:DWORD
	v_cmp_ne_u16_sdwa s1, v27, v14 src0_sel:BYTE_1 src1_sel:DWORD
	v_lshrrev_b16 v27, 4, v27
	v_bfe_i32 v29, v29, 0, 1
	v_cndmask_b32_e64 v34, 0, -1, s0
	v_cndmask_b32_e64 v32, 0, -1, s1
	v_bfe_i32 v27, v27, 0, 1
	v_lshlrev_b16 v34, 8, v34
	v_lshlrev_b16 v32, 8, v32
	v_or_b32_sdwa v35, v29, v34 dst_sel:WORD_1 dst_unused:UNUSED_PAD src0_sel:BYTE_0 src1_sel:DWORD
	v_or_b32_sdwa v33, v27, v32 dst_sel:DWORD dst_unused:UNUSED_PAD src0_sel:BYTE_0 src1_sel:DWORD
	v_lshlrev_b16 v27, 8, v27
	v_lshlrev_b16 v29, 8, v29
	v_or_b32_sdwa v33, v33, v35 dst_sel:DWORD dst_unused:UNUSED_PAD src0_sel:WORD_0 src1_sel:DWORD
	v_xor_b32_e32 v28, v28, v33
	v_lshrrev_b32_e32 v33, 16, v28
	v_and_b32_e32 v35, 0xffffff00, v28
	v_lshlrev_b16 v28, 8, v28
	v_sub_nc_i16 v32, v35, v32 clamp
	v_sub_nc_i16 v27, v28, v27 clamp
	v_and_b32_e32 v28, 0xffffff00, v33
	v_perm_b32 v27, v27, v32, 0xc0c0105
	v_lshlrev_b16 v32, 8, v33
	v_sub_nc_i16 v28, v28, v34 clamp
	v_sub_nc_i16 v29, v32, v29 clamp
	v_perm_b32 v28, v29, v28, 0xc0c0105
	v_and_b32_e32 v29, 15, v21
	v_lshl_or_b32 v28, v28, 16, v27
	v_lshrrev_b32_e32 v27, 4, v21
	global_load_ushort v21, v[30:31], off
	s_clause 0x2
	global_load_dwordx4 v[30:33], v[5:6], off offset:-16
	global_load_dword v38, v[5:6], off offset:16
	global_load_dwordx4 v[34:37], v[5:6], off
	v_add_co_u32 v5, vcc_lo, 0x480, v5
	v_add_co_ci_u32_e64 v6, null, 0, v6, vcc_lo
	v_cmp_le_u32_e32 vcc_lo, s10, v11
	s_or_b32 s3, vcc_lo, s3
	s_waitcnt vmcnt(2)
	v_dot4c_i32_i8 v39, v19, v31
	v_mov_b32_e32 v31, 0
	v_cvt_f32_f16_e32 v21, v21
	v_cvt_f32_f16_e32 v30, v30
	v_dot4c_i32_i8 v39, v20, v32
	s_waitcnt vmcnt(0)
	v_dot4c_i32_i8 v31, v24, v35
	v_mul_f32_e32 v30, v21, v30
	v_dot4c_i32_i8 v39, v22, v33
	v_dot4c_i32_i8 v31, v25, v36
	v_dot4c_i32_i8 v39, v23, v34
	v_dot4c_i32_i8 v31, v26, v37
	v_mul_lo_u32 v32, v39, v29
	v_dot4c_i32_i8 v31, v28, v38
	v_mul_lo_u32 v33, v31, v27
	v_add_nc_u32_e32 v31, v31, v39
	v_mov_b32_e32 v39, 0
	v_lshrrev_b32_e32 v34, 31, v31
	v_add_nc_u32_e32 v31, v31, v34
	v_mad_u64_u32 v[34:35], null, v15, 36, v[2:3]
	v_add_nc_u32_e32 v15, 32, v15
	v_ashrrev_i32_e32 v31, 1, v31
	v_add3_u32 v31, v33, v32, v31
	v_ashrrev_i32_e32 v32, 31, v31
	v_lshrrev_b32_e32 v32, 30, v32
	v_add_nc_u32_e32 v31, v31, v32
	v_ashrrev_i32_e32 v31, 2, v31
	v_cvt_f32_i32_e32 v31, v31
	v_fmac_f32_e32 v12, v30, v31
	s_clause 0x2
	global_load_dwordx4 v[30:33], v[34:35], off
	global_load_dword v38, v[34:35], off offset:32
	global_load_dwordx4 v[34:37], v[34:35], off offset:16
	s_waitcnt vmcnt(2)
	v_dot4c_i32_i8 v39, v19, v31
	v_mov_b32_e32 v31, 0
	v_cvt_f32_f16_e32 v30, v30
	v_dot4c_i32_i8 v39, v20, v32
	s_waitcnt vmcnt(0)
	v_dot4c_i32_i8 v31, v24, v35
	v_mul_f32_e32 v30, v21, v30
	v_dot4c_i32_i8 v39, v22, v33
	v_dot4c_i32_i8 v31, v25, v36
	v_dot4c_i32_i8 v39, v23, v34
	v_dot4c_i32_i8 v31, v26, v37
	v_mul_lo_u32 v32, v39, v29
	v_dot4c_i32_i8 v31, v28, v38
	v_mul_lo_u32 v33, v31, v27
	v_add_nc_u32_e32 v31, v31, v39
	v_mov_b32_e32 v39, 0
	v_lshrrev_b32_e32 v34, 31, v31
	v_add_nc_u32_e32 v31, v31, v34
	v_mad_u64_u32 v[34:35], null, v17, 36, v[2:3]
	v_add_nc_u32_e32 v17, 32, v17
	v_ashrrev_i32_e32 v31, 1, v31
	v_add3_u32 v31, v33, v32, v31
	v_ashrrev_i32_e32 v32, 31, v31
	v_lshrrev_b32_e32 v32, 30, v32
	v_add_nc_u32_e32 v31, v31, v32
	v_ashrrev_i32_e32 v31, 2, v31
	v_cvt_f32_i32_e32 v31, v31
	v_fmac_f32_e32 v10, v30, v31
	s_clause 0x2
	global_load_dwordx4 v[30:33], v[34:35], off
	global_load_dword v38, v[34:35], off offset:32
	global_load_dwordx4 v[34:37], v[34:35], off offset:16
	s_waitcnt vmcnt(2)
	v_dot4c_i32_i8 v39, v19, v31
	v_mov_b32_e32 v31, 0
	v_cvt_f32_f16_e32 v30, v30
	v_dot4c_i32_i8 v39, v20, v32
	s_waitcnt vmcnt(0)
	v_dot4c_i32_i8 v31, v24, v35
	v_mul_f32_e32 v30, v21, v30
	v_dot4c_i32_i8 v39, v22, v33
	v_dot4c_i32_i8 v31, v25, v36
	v_dot4c_i32_i8 v39, v23, v34
	v_dot4c_i32_i8 v31, v26, v37
	v_mul_lo_u32 v32, v39, v29
	v_dot4c_i32_i8 v31, v28, v38
	v_mul_lo_u32 v33, v31, v27
	v_add_nc_u32_e32 v31, v31, v39
	v_mov_b32_e32 v39, 0
	v_lshrrev_b32_e32 v34, 31, v31
	v_add_nc_u32_e32 v31, v31, v34
	v_mad_u64_u32 v[34:35], null, v4, 36, v[2:3]
	v_add_nc_u32_e32 v4, 32, v4
	v_ashrrev_i32_e32 v31, 1, v31
	v_add3_u32 v31, v33, v32, v31
	v_ashrrev_i32_e32 v32, 31, v31
	v_lshrrev_b32_e32 v32, 30, v32
	v_add_nc_u32_e32 v31, v31, v32
	v_ashrrev_i32_e32 v31, 2, v31
	v_cvt_f32_i32_e32 v31, v31
	v_fmac_f32_e32 v9, v30, v31
	s_clause 0x2
	global_load_dwordx4 v[30:33], v[34:35], off
	global_load_dword v38, v[34:35], off offset:32
	global_load_dwordx4 v[34:37], v[34:35], off offset:16
	s_waitcnt vmcnt(2)
	v_dot4c_i32_i8 v39, v19, v31
	v_mov_b32_e32 v31, 0
	v_cvt_f32_f16_e32 v30, v30
	v_dot4c_i32_i8 v39, v20, v32
	s_waitcnt vmcnt(0)
	v_dot4c_i32_i8 v31, v24, v35
	v_mul_f32_e32 v30, v21, v30
	v_dot4c_i32_i8 v39, v22, v33
	v_dot4c_i32_i8 v31, v25, v36
	v_dot4c_i32_i8 v39, v23, v34
	v_dot4c_i32_i8 v31, v26, v37
	v_mul_lo_u32 v32, v39, v29
	v_dot4c_i32_i8 v31, v28, v38
	v_mul_lo_u32 v33, v31, v27
	v_add_nc_u32_e32 v31, v31, v39
	v_mov_b32_e32 v39, 0
	v_lshrrev_b32_e32 v34, 31, v31
	v_add_nc_u32_e32 v31, v31, v34
	v_mad_u64_u32 v[34:35], null, v16, 36, v[2:3]
	v_add_nc_u32_e32 v16, 32, v16
	v_ashrrev_i32_e32 v31, 1, v31
	v_add3_u32 v31, v33, v32, v31
	v_ashrrev_i32_e32 v32, 31, v31
	v_lshrrev_b32_e32 v32, 30, v32
	v_add_nc_u32_e32 v31, v31, v32
	v_ashrrev_i32_e32 v31, 2, v31
	v_cvt_f32_i32_e32 v31, v31
	v_fmac_f32_e32 v8, v30, v31
	s_clause 0x2
	global_load_dwordx4 v[30:33], v[34:35], off
	global_load_dword v38, v[34:35], off offset:32
	global_load_dwordx4 v[34:37], v[34:35], off offset:16
	s_waitcnt vmcnt(2)
	v_dot4c_i32_i8 v39, v19, v31
	v_mov_b32_e32 v19, 0
	v_dot4c_i32_i8 v39, v20, v32
	s_waitcnt vmcnt(0)
	v_dot4c_i32_i8 v19, v24, v35
	v_dot4c_i32_i8 v39, v22, v33
	v_dot4c_i32_i8 v19, v25, v36
	v_dot4c_i32_i8 v39, v23, v34
	v_dot4c_i32_i8 v19, v26, v37
	v_mul_lo_u32 v20, v39, v29
	v_dot4c_i32_i8 v19, v28, v38
	v_mul_lo_u32 v22, v19, v27
	v_add_nc_u32_e32 v19, v19, v39
	v_lshrrev_b32_e32 v23, 31, v19
	v_add_nc_u32_e32 v19, v19, v23
	v_ashrrev_i32_e32 v19, 1, v19
	v_add3_u32 v19, v22, v20, v19
	v_ashrrev_i32_e32 v20, 31, v19
	v_lshrrev_b32_e32 v20, 30, v20
	v_add_nc_u32_e32 v19, v19, v20
	v_cvt_f32_f16_e32 v20, v30
	v_ashrrev_i32_e32 v19, 2, v19
	v_mul_f32_e32 v20, v21, v20
	v_cvt_f32_i32_e32 v19, v19
	v_fmac_f32_e32 v7, v20, v19
	s_andn2_b32 exec_lo, exec_lo, s3
	s_cbranch_execnz .LBB176_2
; %bb.3:
	s_or_b32 exec_lo, exec_lo, s3
.LBB176_4:
	s_or_b32 exec_lo, exec_lo, s9
	s_mov_b32 s1, 0
	; wave barrier
	buffer_gl0_inv
	s_mov_b32 s0, exec_lo
	v_cmpx_eq_u32_e32 0, v1
	s_cbranch_execz .LBB176_15
; %bb.5:
	v_mbcnt_lo_u32_b32 v5, -1, 0
	s_load_dwordx2 s[4:5], s[4:5], 0x38
	s_mul_i32 s0, s14, s7
	s_mul_i32 s3, s18, s8
	s_add_i32 s0, s0, s6
	v_xor_b32_e32 v1, 16, v5
	v_xor_b32_e32 v2, 8, v5
	s_add_i32 s0, s0, s3
	s_lshl_b64 s[0:1], s[0:1], 2
	v_cmp_gt_i32_e32 vcc_lo, 32, v1
	v_cndmask_b32_e32 v1, v5, v1, vcc_lo
	v_cmp_gt_i32_e32 vcc_lo, 32, v2
	v_lshlrev_b32_e32 v1, 2, v1
	v_cndmask_b32_e32 v2, v5, v2, vcc_lo
	s_waitcnt lgkmcnt(0)
	s_add_u32 s0, s4, s0
	s_addc_u32 s1, s5, s1
	ds_bpermute_b32 v3, v1, v12
	v_lshlrev_b32_e32 v2, 2, v2
	s_waitcnt lgkmcnt(0)
	v_add_f32_e32 v4, v12, v3
	v_xor_b32_e32 v3, 4, v5
	v_xor_b32_e32 v12, 1, v5
	ds_bpermute_b32 v6, v2, v4
	v_cmp_gt_i32_e32 vcc_lo, 32, v3
	v_cndmask_b32_e32 v3, v5, v3, vcc_lo
	v_lshlrev_b32_e32 v3, 2, v3
	s_waitcnt lgkmcnt(0)
	v_add_f32_e32 v6, v4, v6
	v_xor_b32_e32 v4, 2, v5
	ds_bpermute_b32 v11, v3, v6
	v_cmp_gt_i32_e32 vcc_lo, 32, v4
	v_cndmask_b32_e32 v4, v5, v4, vcc_lo
	v_cmp_gt_i32_e32 vcc_lo, 32, v12
	v_lshlrev_b32_e32 v4, 2, v4
	v_cndmask_b32_e32 v5, v5, v12, vcc_lo
	v_cmp_eq_u32_e32 vcc_lo, 0, v0
	v_lshlrev_b32_e32 v5, 2, v5
	s_waitcnt lgkmcnt(0)
	v_add_f32_e32 v6, v6, v11
	ds_bpermute_b32 v11, v4, v6
	s_waitcnt lgkmcnt(0)
	v_add_f32_e32 v6, v6, v11
	ds_bpermute_b32 v11, v5, v6
	s_and_saveexec_b32 s3, vcc_lo
	s_cbranch_execz .LBB176_7
; %bb.6:
	s_waitcnt lgkmcnt(0)
	v_add_f32_e32 v0, v6, v11
	v_mov_b32_e32 v6, 0
	global_store_dword v6, v0, s[0:1]
.LBB176_7:
	s_or_b32 exec_lo, exec_lo, s3
	ds_bpermute_b32 v0, v1, v10
	s_waitcnt lgkmcnt(0)
	v_add_f32_e32 v0, v10, v0
	ds_bpermute_b32 v6, v2, v0
	s_waitcnt lgkmcnt(0)
	v_add_f32_e32 v0, v0, v6
	;; [unrolled: 3-line block ×4, first 2 shown]
	ds_bpermute_b32 v6, v5, v0
	s_and_saveexec_b32 s4, vcc_lo
	s_cbranch_execz .LBB176_9
; %bb.8:
	s_mov_b32 s3, 0
	s_waitcnt lgkmcnt(0)
	v_add_f32_e32 v0, v0, v6
	s_lshl_b64 s[6:7], s[2:3], 2
	v_mov_b32_e32 v6, 0
	s_add_u32 s6, s0, s6
	s_addc_u32 s7, s1, s7
	global_store_dword v6, v0, s[6:7]
.LBB176_9:
	s_or_b32 exec_lo, exec_lo, s4
	ds_bpermute_b32 v0, v1, v9
	s_waitcnt lgkmcnt(0)
	v_add_f32_e32 v0, v9, v0
	ds_bpermute_b32 v6, v2, v0
	s_waitcnt lgkmcnt(0)
	v_add_f32_e32 v0, v0, v6
	;; [unrolled: 3-line block ×4, first 2 shown]
	ds_bpermute_b32 v6, v5, v0
	s_and_saveexec_b32 s3, vcc_lo
	s_cbranch_execz .LBB176_11
; %bb.10:
	s_lshl_b32 s4, s2, 1
	s_mov_b32 s5, 0
	s_waitcnt lgkmcnt(0)
	v_add_f32_e32 v0, v0, v6
	s_lshl_b64 s[4:5], s[4:5], 2
	v_mov_b32_e32 v6, 0
	s_add_u32 s4, s0, s4
	s_addc_u32 s5, s1, s5
	global_store_dword v6, v0, s[4:5]
.LBB176_11:
	s_or_b32 exec_lo, exec_lo, s3
	ds_bpermute_b32 v0, v1, v8
	s_waitcnt lgkmcnt(0)
	v_add_f32_e32 v0, v8, v0
	ds_bpermute_b32 v6, v2, v0
	s_waitcnt lgkmcnt(0)
	v_add_f32_e32 v0, v0, v6
	;; [unrolled: 3-line block ×4, first 2 shown]
	ds_bpermute_b32 v6, v5, v0
	s_and_saveexec_b32 s3, vcc_lo
	s_cbranch_execz .LBB176_13
; %bb.12:
	s_mul_i32 s4, s2, 3
	s_mov_b32 s5, 0
	s_waitcnt lgkmcnt(0)
	v_add_f32_e32 v0, v0, v6
	s_lshl_b64 s[4:5], s[4:5], 2
	v_mov_b32_e32 v6, 0
	s_add_u32 s4, s0, s4
	s_addc_u32 s5, s1, s5
	global_store_dword v6, v0, s[4:5]
.LBB176_13:
	s_or_b32 exec_lo, exec_lo, s3
	ds_bpermute_b32 v0, v1, v7
	s_waitcnt lgkmcnt(0)
	v_add_f32_e32 v0, v7, v0
	ds_bpermute_b32 v1, v2, v0
	s_waitcnt lgkmcnt(0)
	v_add_f32_e32 v0, v0, v1
	;; [unrolled: 3-line block ×4, first 2 shown]
	ds_bpermute_b32 v1, v5, v0
	s_and_b32 exec_lo, exec_lo, vcc_lo
	s_cbranch_execz .LBB176_15
; %bb.14:
	s_lshl_b32 s2, s2, 2
	s_mov_b32 s3, 0
	s_waitcnt lgkmcnt(0)
	v_add_f32_e32 v0, v0, v1
	s_lshl_b64 s[2:3], s[2:3], 2
	v_mov_b32_e32 v1, 0
	s_add_u32 s0, s0, s2
	s_addc_u32 s1, s1, s3
	global_store_dword v1, v0, s[0:1]
.LBB176_15:
	s_endpgm
	.section	.rodata,"a",@progbits
	.p2align	6, 0x0
	.amdhsa_kernel _ZL13mul_mat_vec_qIL9ggml_type17ELi5ELb0ELb0EEvPKvS2_PKi31ggml_cuda_mm_fusion_args_devicePfj15HIP_vector_typeIjLj3EEjjjS8_jjjS8_jjjj
		.amdhsa_group_segment_fixed_size 0
		.amdhsa_private_segment_fixed_size 0
		.amdhsa_kernarg_size 144
		.amdhsa_user_sgpr_count 6
		.amdhsa_user_sgpr_private_segment_buffer 1
		.amdhsa_user_sgpr_dispatch_ptr 0
		.amdhsa_user_sgpr_queue_ptr 0
		.amdhsa_user_sgpr_kernarg_segment_ptr 1
		.amdhsa_user_sgpr_dispatch_id 0
		.amdhsa_user_sgpr_flat_scratch_init 0
		.amdhsa_user_sgpr_private_segment_size 0
		.amdhsa_wavefront_size32 1
		.amdhsa_uses_dynamic_stack 0
		.amdhsa_system_sgpr_private_segment_wavefront_offset 0
		.amdhsa_system_sgpr_workgroup_id_x 1
		.amdhsa_system_sgpr_workgroup_id_y 1
		.amdhsa_system_sgpr_workgroup_id_z 1
		.amdhsa_system_sgpr_workgroup_info 0
		.amdhsa_system_vgpr_workitem_id 1
		.amdhsa_next_free_vgpr 40
		.amdhsa_next_free_sgpr 28
		.amdhsa_reserve_vcc 1
		.amdhsa_reserve_flat_scratch 0
		.amdhsa_float_round_mode_32 0
		.amdhsa_float_round_mode_16_64 0
		.amdhsa_float_denorm_mode_32 3
		.amdhsa_float_denorm_mode_16_64 3
		.amdhsa_dx10_clamp 1
		.amdhsa_ieee_mode 1
		.amdhsa_fp16_overflow 0
		.amdhsa_workgroup_processor_mode 1
		.amdhsa_memory_ordered 1
		.amdhsa_forward_progress 1
		.amdhsa_shared_vgpr_count 0
		.amdhsa_exception_fp_ieee_invalid_op 0
		.amdhsa_exception_fp_denorm_src 0
		.amdhsa_exception_fp_ieee_div_zero 0
		.amdhsa_exception_fp_ieee_overflow 0
		.amdhsa_exception_fp_ieee_underflow 0
		.amdhsa_exception_fp_ieee_inexact 0
		.amdhsa_exception_int_div_zero 0
	.end_amdhsa_kernel
	.section	.text._ZL13mul_mat_vec_qIL9ggml_type17ELi5ELb0ELb0EEvPKvS2_PKi31ggml_cuda_mm_fusion_args_devicePfj15HIP_vector_typeIjLj3EEjjjS8_jjjS8_jjjj,"axG",@progbits,_ZL13mul_mat_vec_qIL9ggml_type17ELi5ELb0ELb0EEvPKvS2_PKi31ggml_cuda_mm_fusion_args_devicePfj15HIP_vector_typeIjLj3EEjjjS8_jjjS8_jjjj,comdat
.Lfunc_end176:
	.size	_ZL13mul_mat_vec_qIL9ggml_type17ELi5ELb0ELb0EEvPKvS2_PKi31ggml_cuda_mm_fusion_args_devicePfj15HIP_vector_typeIjLj3EEjjjS8_jjjS8_jjjj, .Lfunc_end176-_ZL13mul_mat_vec_qIL9ggml_type17ELi5ELb0ELb0EEvPKvS2_PKi31ggml_cuda_mm_fusion_args_devicePfj15HIP_vector_typeIjLj3EEjjjS8_jjjS8_jjjj
                                        ; -- End function
	.set _ZL13mul_mat_vec_qIL9ggml_type17ELi5ELb0ELb0EEvPKvS2_PKi31ggml_cuda_mm_fusion_args_devicePfj15HIP_vector_typeIjLj3EEjjjS8_jjjS8_jjjj.num_vgpr, 40
	.set _ZL13mul_mat_vec_qIL9ggml_type17ELi5ELb0ELb0EEvPKvS2_PKi31ggml_cuda_mm_fusion_args_devicePfj15HIP_vector_typeIjLj3EEjjjS8_jjjS8_jjjj.num_agpr, 0
	.set _ZL13mul_mat_vec_qIL9ggml_type17ELi5ELb0ELb0EEvPKvS2_PKi31ggml_cuda_mm_fusion_args_devicePfj15HIP_vector_typeIjLj3EEjjjS8_jjjS8_jjjj.numbered_sgpr, 28
	.set _ZL13mul_mat_vec_qIL9ggml_type17ELi5ELb0ELb0EEvPKvS2_PKi31ggml_cuda_mm_fusion_args_devicePfj15HIP_vector_typeIjLj3EEjjjS8_jjjS8_jjjj.num_named_barrier, 0
	.set _ZL13mul_mat_vec_qIL9ggml_type17ELi5ELb0ELb0EEvPKvS2_PKi31ggml_cuda_mm_fusion_args_devicePfj15HIP_vector_typeIjLj3EEjjjS8_jjjS8_jjjj.private_seg_size, 0
	.set _ZL13mul_mat_vec_qIL9ggml_type17ELi5ELb0ELb0EEvPKvS2_PKi31ggml_cuda_mm_fusion_args_devicePfj15HIP_vector_typeIjLj3EEjjjS8_jjjS8_jjjj.uses_vcc, 1
	.set _ZL13mul_mat_vec_qIL9ggml_type17ELi5ELb0ELb0EEvPKvS2_PKi31ggml_cuda_mm_fusion_args_devicePfj15HIP_vector_typeIjLj3EEjjjS8_jjjS8_jjjj.uses_flat_scratch, 0
	.set _ZL13mul_mat_vec_qIL9ggml_type17ELi5ELb0ELb0EEvPKvS2_PKi31ggml_cuda_mm_fusion_args_devicePfj15HIP_vector_typeIjLj3EEjjjS8_jjjS8_jjjj.has_dyn_sized_stack, 0
	.set _ZL13mul_mat_vec_qIL9ggml_type17ELi5ELb0ELb0EEvPKvS2_PKi31ggml_cuda_mm_fusion_args_devicePfj15HIP_vector_typeIjLj3EEjjjS8_jjjS8_jjjj.has_recursion, 0
	.set _ZL13mul_mat_vec_qIL9ggml_type17ELi5ELb0ELb0EEvPKvS2_PKi31ggml_cuda_mm_fusion_args_devicePfj15HIP_vector_typeIjLj3EEjjjS8_jjjS8_jjjj.has_indirect_call, 0
	.section	.AMDGPU.csdata,"",@progbits
; Kernel info:
; codeLenInByte = 4088
; TotalNumSgprs: 30
; NumVgprs: 40
; ScratchSize: 0
; MemoryBound: 0
; FloatMode: 240
; IeeeMode: 1
; LDSByteSize: 0 bytes/workgroup (compile time only)
; SGPRBlocks: 0
; VGPRBlocks: 4
; NumSGPRsForWavesPerEU: 30
; NumVGPRsForWavesPerEU: 40
; Occupancy: 16
; WaveLimiterHint : 0
; COMPUTE_PGM_RSRC2:SCRATCH_EN: 0
; COMPUTE_PGM_RSRC2:USER_SGPR: 6
; COMPUTE_PGM_RSRC2:TRAP_HANDLER: 0
; COMPUTE_PGM_RSRC2:TGID_X_EN: 1
; COMPUTE_PGM_RSRC2:TGID_Y_EN: 1
; COMPUTE_PGM_RSRC2:TGID_Z_EN: 1
; COMPUTE_PGM_RSRC2:TIDIG_COMP_CNT: 1
	.section	.text._ZL13mul_mat_vec_qIL9ggml_type17ELi6ELb0ELb0EEvPKvS2_PKi31ggml_cuda_mm_fusion_args_devicePfj15HIP_vector_typeIjLj3EEjjjS8_jjjS8_jjjj,"axG",@progbits,_ZL13mul_mat_vec_qIL9ggml_type17ELi6ELb0ELb0EEvPKvS2_PKi31ggml_cuda_mm_fusion_args_devicePfj15HIP_vector_typeIjLj3EEjjjS8_jjjS8_jjjj,comdat
	.globl	_ZL13mul_mat_vec_qIL9ggml_type17ELi6ELb0ELb0EEvPKvS2_PKi31ggml_cuda_mm_fusion_args_devicePfj15HIP_vector_typeIjLj3EEjjjS8_jjjS8_jjjj ; -- Begin function _ZL13mul_mat_vec_qIL9ggml_type17ELi6ELb0ELb0EEvPKvS2_PKi31ggml_cuda_mm_fusion_args_devicePfj15HIP_vector_typeIjLj3EEjjjS8_jjjS8_jjjj
	.p2align	8
	.type	_ZL13mul_mat_vec_qIL9ggml_type17ELi6ELb0ELb0EEvPKvS2_PKi31ggml_cuda_mm_fusion_args_devicePfj15HIP_vector_typeIjLj3EEjjjS8_jjjS8_jjjj,@function
_ZL13mul_mat_vec_qIL9ggml_type17ELi6ELb0ELb0EEvPKvS2_PKi31ggml_cuda_mm_fusion_args_devicePfj15HIP_vector_typeIjLj3EEjjjS8_jjjS8_jjjj: ; @_ZL13mul_mat_vec_qIL9ggml_type17ELi6ELb0ELb0EEvPKvS2_PKi31ggml_cuda_mm_fusion_args_devicePfj15HIP_vector_typeIjLj3EEjjjS8_jjjS8_jjjj
; %bb.0:
	s_clause 0x5
	s_load_dword s9, s[4:5], 0x40
	s_load_dwordx4 s[0:3], s[4:5], 0x50
	s_load_dword s11, s[4:5], 0x60
	s_load_dwordx4 s[12:15], s[4:5], 0x68
	s_load_dword s24, s[4:5], 0x78
	s_load_dwordx4 s[16:19], s[4:5], 0x80
	v_lshl_or_b32 v2, v1, 5, v0
	v_mov_b32_e32 v8, 0
	v_mov_b32_e32 v9, 0
	v_mov_b32_e32 v10, 0
	v_mov_b32_e32 v11, 0
	v_lshrrev_b32_e32 v13, 3, v2
	v_mov_b32_e32 v12, 0
	v_mov_b32_e32 v14, 0
	s_waitcnt lgkmcnt(0)
	s_lshr_b32 s10, s9, 8
	s_mov_b32 s9, exec_lo
	v_cmpx_gt_u32_e64 s10, v13
	s_cbranch_execz .LBB177_4
; %bb.1:
	s_mul_i32 s13, s13, s7
	v_lshlrev_b32_e32 v4, 1, v0
	s_mul_hi_u32 s27, s13, 36
	s_mul_i32 s26, s13, 36
	s_load_dwordx4 s[20:23], s[4:5], 0x0
	v_mad_u64_u32 v[2:3], null, 0x120, v13, s[26:27]
	s_mul_i32 s17, s17, s8
	v_and_b32_e32 v6, 14, v4
	v_and_b32_e32 v15, 7, v0
	s_mul_hi_u32 s3, s3, s7
	v_lshlrev_b32_e32 v7, 3, v13
	s_mul_hi_u32 s15, s15, s8
	v_mad_u64_u32 v[4:5], null, s17, 36, v[2:3]
	s_add_i32 s3, s7, s3
	s_add_i32 s15, s8, s15
	s_mul_i32 s25, s17, 36
	s_lshr_b32 s3, s3, s11
	s_mul_hi_u32 s19, s17, 36
	s_lshr_b32 s11, s15, s24
	v_mad_u64_u32 v[8:9], null, v15, 36, v[4:5]
	s_mul_i32 s3, s3, s12
	s_waitcnt lgkmcnt(0)
	s_add_u32 s12, s22, s25
	v_lshlrev_b32_e32 v10, 1, v6
	s_addc_u32 s13, s23, s19
	s_add_u32 s12, s12, s26
	s_addc_u32 s13, s13, s27
	v_mad_u64_u32 v[4:5], null, s1, 5, v[7:8]
	v_mad_u64_u32 v[5:6], null, s1, 3, v[7:8]
	v_add_co_u32 v6, vcc_lo, s22, v8
	v_add_co_ci_u32_e64 v8, null, s23, v9, vcc_lo
	v_mad_u64_u32 v[2:3], null, v15, 36, s[12:13]
	v_add_co_u32 v6, vcc_lo, v6, 16
	s_mul_i32 s0, s0, s6
	v_mov_b32_e32 v16, 0
	v_add_nc_u32_e32 v17, s1, v7
	v_lshl_add_u32 v18, s1, 2, v7
	v_lshl_add_u32 v19, s1, 1, v7
	v_add_co_ci_u32_e64 v7, null, 0, v8, vcc_lo
	v_lshlrev_b32_e32 v20, 1, v10
	v_mov_b32_e32 v8, 0
	v_mov_b32_e32 v9, 0
	;; [unrolled: 1-line block ×6, first 2 shown]
	s_mul_i32 s11, s11, s16
	s_add_i32 s3, s3, s0
	s_add_i32 s11, s11, s3
	s_mov_b32 s3, 0
.LBB177_2:                              ; =>This Inner Loop Header: Depth=1
	v_add_nc_u32_e32 v21, s11, v13
	s_getpc_b64 s[0:1]
	s_add_u32 s0, s0, _ZL10iq2xs_grid@rel32@lo+4
	s_addc_u32 s1, s1, _ZL10iq2xs_grid@rel32@hi+12
	v_mov_b32_e32 v41, 0
	v_add_nc_u32_e32 v13, 4, v13
	v_mad_i64_i32 v[32:33], null, 0x4a, v21, s[20:21]
	v_add_co_u32 v21, vcc_lo, v32, v20
	v_add_co_ci_u32_e64 v22, null, 0, v33, vcc_lo
	global_load_dwordx2 v[26:27], v[21:22], off offset:2
	v_add_co_u32 v21, vcc_lo, v32, v15
	v_add_co_ci_u32_e64 v22, null, 0, v33, vcc_lo
	global_load_ubyte v31, v[21:22], off offset:66
	s_waitcnt vmcnt(1)
	v_and_b32_e32 v21, 0x1ff, v26
	v_bfe_u32 v23, v26, 9, 7
	v_lshlrev_b32_e32 v21, 3, v21
	v_bcnt_u32_b32 v24, v23, 0
	global_load_dwordx2 v[21:22], v21, s[0:1]
	v_and_b32_e32 v24, 1, v24
	v_lshl_or_b32 v23, v24, 7, v23
	v_mul_lo_u32 v23, 0x1010101, v23
	v_and_b32_e32 v24, 0x8040201, v23
	v_lshrrev_b32_e32 v25, 18, v23
	v_cmp_ne_u16_sdwa s12, v24, v16 src0_sel:BYTE_3 src1_sel:DWORD
	v_cmp_ne_u16_sdwa s13, v24, v16 src0_sel:BYTE_1 src1_sel:DWORD
	v_bfe_i32 v24, v23, 0, 1
	v_bfe_i32 v25, v25, 0, 1
	v_cndmask_b32_e64 v30, 0, -1, s12
	v_cndmask_b32_e64 v28, 0, -1, s13
	v_lshlrev_b16 v30, 8, v30
	v_lshlrev_b16 v28, 8, v28
	v_or_b32_sdwa v34, v25, v30 dst_sel:WORD_1 dst_unused:UNUSED_PAD src0_sel:BYTE_0 src1_sel:DWORD
	v_or_b32_sdwa v29, v24, v28 dst_sel:DWORD dst_unused:UNUSED_PAD src0_sel:BYTE_0 src1_sel:DWORD
	v_lshlrev_b16 v24, 8, v24
	v_lshlrev_b16 v25, 8, v25
	v_or_b32_sdwa v29, v29, v34 dst_sel:DWORD dst_unused:UNUSED_PAD src0_sel:WORD_0 src1_sel:DWORD
	s_waitcnt vmcnt(0)
	v_xor_b32_e32 v21, v21, v29
	v_lshrrev_b32_e32 v29, 16, v21
	v_and_b32_e32 v34, 0xffffff00, v21
	v_lshlrev_b16 v21, 8, v21
	v_sub_nc_i16 v28, v34, v28 clamp
	v_sub_nc_i16 v21, v21, v24 clamp
	v_and_b32_e32 v24, 0xffffff00, v29
	v_perm_b32 v21, v21, v28, 0xc0c0105
	v_lshlrev_b16 v28, 8, v29
	v_sub_nc_i16 v24, v24, v30 clamp
	v_sub_nc_i16 v25, v28, v25 clamp
	v_perm_b32 v24, v25, v24, 0xc0c0105
	v_lshl_or_b32 v21, v24, 16, v21
	v_and_b32_e32 v24, 0x80402010, v23
	v_lshrrev_b32_e32 v23, 22, v23
	v_cmp_ne_u16_sdwa s12, v24, v16 src0_sel:BYTE_3 src1_sel:DWORD
	v_cmp_ne_u16_sdwa s13, v24, v16 src0_sel:BYTE_1 src1_sel:DWORD
	v_lshrrev_b16 v24, 4, v24
	v_bfe_i32 v23, v23, 0, 1
	v_cndmask_b32_e64 v29, 0, -1, s12
	v_cndmask_b32_e64 v25, 0, -1, s13
	v_bfe_i32 v24, v24, 0, 1
	v_lshlrev_b16 v29, 8, v29
	v_lshlrev_b16 v25, 8, v25
	v_or_b32_sdwa v30, v23, v29 dst_sel:WORD_1 dst_unused:UNUSED_PAD src0_sel:BYTE_0 src1_sel:DWORD
	v_or_b32_sdwa v28, v24, v25 dst_sel:DWORD dst_unused:UNUSED_PAD src0_sel:BYTE_0 src1_sel:DWORD
	v_lshlrev_b16 v24, 8, v24
	v_lshlrev_b16 v23, 8, v23
	v_or_b32_sdwa v28, v28, v30 dst_sel:DWORD dst_unused:UNUSED_PAD src0_sel:WORD_0 src1_sel:DWORD
	v_xor_b32_e32 v22, v22, v28
	v_lshrrev_b32_e32 v28, 16, v22
	v_and_b32_e32 v30, 0xffffff00, v22
	v_lshlrev_b16 v22, 8, v22
	v_sub_nc_i16 v25, v30, v25 clamp
	v_sub_nc_i16 v22, v22, v24 clamp
	v_and_b32_e32 v24, 0xffffff00, v28
	v_perm_b32 v22, v22, v25, 0xc0c0105
	v_lshlrev_b16 v25, 8, v28
	v_sub_nc_i16 v24, v24, v29 clamp
	v_sub_nc_i16 v23, v25, v23 clamp
	v_lshrrev_b32_e32 v25, 25, v26
	v_perm_b32 v23, v23, v24, 0xc0c0105
	v_bcnt_u32_b32 v25, v25, 0
	v_lshl_or_b32 v22, v23, 16, v22
	v_lshrrev_b32_e32 v23, 13, v26
	v_and_b32_e32 v25, 1, v25
	v_and_b32_e32 v23, 0xff8, v23
	v_alignbit_b32 v25, v25, v26, 25
	global_load_dwordx2 v[23:24], v23, s[0:1]
	v_mul_lo_u32 v25, 0x1010101, v25
	v_and_b32_e32 v26, 0x8040201, v25
	v_lshrrev_b32_e32 v28, 18, v25
	v_cmp_ne_u16_sdwa s12, v26, v16 src0_sel:BYTE_3 src1_sel:DWORD
	v_cmp_ne_u16_sdwa s13, v26, v16 src0_sel:BYTE_1 src1_sel:DWORD
	v_bfe_i32 v26, v25, 0, 1
	v_bfe_i32 v28, v28, 0, 1
	v_cndmask_b32_e64 v34, 0, -1, s12
	v_cndmask_b32_e64 v29, 0, -1, s13
	v_lshlrev_b16 v34, 8, v34
	v_lshlrev_b16 v29, 8, v29
	v_or_b32_sdwa v35, v28, v34 dst_sel:WORD_1 dst_unused:UNUSED_PAD src0_sel:BYTE_0 src1_sel:DWORD
	v_or_b32_sdwa v30, v26, v29 dst_sel:DWORD dst_unused:UNUSED_PAD src0_sel:BYTE_0 src1_sel:DWORD
	v_lshlrev_b16 v26, 8, v26
	v_lshlrev_b16 v28, 8, v28
	v_or_b32_sdwa v30, v30, v35 dst_sel:DWORD dst_unused:UNUSED_PAD src0_sel:WORD_0 src1_sel:DWORD
	s_waitcnt vmcnt(0)
	v_xor_b32_e32 v23, v23, v30
	v_lshrrev_b32_e32 v30, 16, v23
	v_and_b32_e32 v35, 0xffffff00, v23
	v_lshlrev_b16 v23, 8, v23
	v_sub_nc_i16 v29, v35, v29 clamp
	v_sub_nc_i16 v23, v23, v26 clamp
	v_and_b32_e32 v26, 0xffffff00, v30
	v_perm_b32 v23, v23, v29, 0xc0c0105
	v_lshlrev_b16 v29, 8, v30
	v_sub_nc_i16 v26, v26, v34 clamp
	v_sub_nc_i16 v28, v29, v28 clamp
	v_perm_b32 v26, v28, v26, 0xc0c0105
	v_lshl_or_b32 v23, v26, 16, v23
	v_and_b32_e32 v26, 0x80402010, v25
	v_lshrrev_b32_e32 v25, 22, v25
	v_cmp_ne_u16_sdwa s12, v26, v16 src0_sel:BYTE_3 src1_sel:DWORD
	v_cmp_ne_u16_sdwa s13, v26, v16 src0_sel:BYTE_1 src1_sel:DWORD
	v_lshrrev_b16 v26, 4, v26
	v_bfe_i32 v25, v25, 0, 1
	v_cndmask_b32_e64 v30, 0, -1, s12
	v_cndmask_b32_e64 v28, 0, -1, s13
	v_bfe_i32 v26, v26, 0, 1
	v_lshlrev_b16 v30, 8, v30
	v_lshlrev_b16 v28, 8, v28
	v_or_b32_sdwa v34, v25, v30 dst_sel:WORD_1 dst_unused:UNUSED_PAD src0_sel:BYTE_0 src1_sel:DWORD
	v_or_b32_sdwa v29, v26, v28 dst_sel:DWORD dst_unused:UNUSED_PAD src0_sel:BYTE_0 src1_sel:DWORD
	v_lshlrev_b16 v26, 8, v26
	v_lshlrev_b16 v25, 8, v25
	v_or_b32_sdwa v29, v29, v34 dst_sel:DWORD dst_unused:UNUSED_PAD src0_sel:WORD_0 src1_sel:DWORD
	v_xor_b32_e32 v24, v24, v29
	v_lshrrev_b32_e32 v29, 16, v24
	v_and_b32_e32 v34, 0xffffff00, v24
	v_lshlrev_b16 v24, 8, v24
	v_sub_nc_i16 v28, v34, v28 clamp
	v_sub_nc_i16 v24, v24, v26 clamp
	v_and_b32_e32 v26, 0xffffff00, v29
	v_perm_b32 v24, v24, v28, 0xc0c0105
	v_lshlrev_b16 v28, 8, v29
	v_sub_nc_i16 v26, v26, v30 clamp
	v_sub_nc_i16 v25, v28, v25 clamp
	v_bfe_u32 v28, v27, 9, 7
	v_perm_b32 v25, v25, v26, 0xc0c0105
	v_bcnt_u32_b32 v29, v28, 0
	v_lshl_or_b32 v24, v25, 16, v24
	v_and_b32_e32 v25, 0x1ff, v27
	v_and_b32_e32 v29, 1, v29
	v_lshlrev_b32_e32 v25, 3, v25
	v_lshl_or_b32 v28, v29, 7, v28
	global_load_dwordx2 v[25:26], v25, s[0:1]
	v_mul_lo_u32 v28, 0x1010101, v28
	v_and_b32_e32 v29, 0x8040201, v28
	v_lshrrev_b32_e32 v30, 18, v28
	v_cmp_ne_u16_sdwa s12, v29, v16 src0_sel:BYTE_3 src1_sel:DWORD
	v_cmp_ne_u16_sdwa s13, v29, v16 src0_sel:BYTE_1 src1_sel:DWORD
	v_bfe_i32 v29, v28, 0, 1
	v_bfe_i32 v30, v30, 0, 1
	v_cndmask_b32_e64 v36, 0, -1, s12
	v_cndmask_b32_e64 v34, 0, -1, s13
	v_lshlrev_b16 v36, 8, v36
	v_lshlrev_b16 v34, 8, v34
	v_or_b32_sdwa v37, v30, v36 dst_sel:WORD_1 dst_unused:UNUSED_PAD src0_sel:BYTE_0 src1_sel:DWORD
	v_or_b32_sdwa v35, v29, v34 dst_sel:DWORD dst_unused:UNUSED_PAD src0_sel:BYTE_0 src1_sel:DWORD
	v_lshlrev_b16 v29, 8, v29
	v_lshlrev_b16 v30, 8, v30
	v_or_b32_sdwa v35, v35, v37 dst_sel:DWORD dst_unused:UNUSED_PAD src0_sel:WORD_0 src1_sel:DWORD
	s_waitcnt vmcnt(0)
	v_xor_b32_e32 v25, v25, v35
	v_lshrrev_b32_e32 v35, 16, v25
	v_and_b32_e32 v37, 0xffffff00, v25
	v_lshlrev_b16 v25, 8, v25
	v_sub_nc_i16 v34, v37, v34 clamp
	v_sub_nc_i16 v25, v25, v29 clamp
	v_and_b32_e32 v29, 0xffffff00, v35
	v_perm_b32 v25, v25, v34, 0xc0c0105
	v_lshlrev_b16 v34, 8, v35
	v_sub_nc_i16 v29, v29, v36 clamp
	v_sub_nc_i16 v30, v34, v30 clamp
	v_perm_b32 v29, v30, v29, 0xc0c0105
	v_lshl_or_b32 v25, v29, 16, v25
	v_and_b32_e32 v29, 0x80402010, v28
	v_lshrrev_b32_e32 v28, 22, v28
	v_cmp_ne_u16_sdwa s12, v29, v16 src0_sel:BYTE_3 src1_sel:DWORD
	v_cmp_ne_u16_sdwa s13, v29, v16 src0_sel:BYTE_1 src1_sel:DWORD
	v_lshrrev_b16 v29, 4, v29
	v_bfe_i32 v28, v28, 0, 1
	v_cndmask_b32_e64 v35, 0, -1, s12
	v_cndmask_b32_e64 v30, 0, -1, s13
	v_bfe_i32 v29, v29, 0, 1
	v_lshlrev_b16 v35, 8, v35
	v_lshlrev_b16 v30, 8, v30
	v_or_b32_sdwa v36, v28, v35 dst_sel:WORD_1 dst_unused:UNUSED_PAD src0_sel:BYTE_0 src1_sel:DWORD
	v_or_b32_sdwa v34, v29, v30 dst_sel:DWORD dst_unused:UNUSED_PAD src0_sel:BYTE_0 src1_sel:DWORD
	v_lshlrev_b16 v29, 8, v29
	v_lshlrev_b16 v28, 8, v28
	v_or_b32_sdwa v34, v34, v36 dst_sel:DWORD dst_unused:UNUSED_PAD src0_sel:WORD_0 src1_sel:DWORD
	v_xor_b32_e32 v26, v26, v34
	v_lshrrev_b32_e32 v34, 16, v26
	v_and_b32_e32 v36, 0xffffff00, v26
	v_lshlrev_b16 v26, 8, v26
	v_sub_nc_i16 v30, v36, v30 clamp
	v_sub_nc_i16 v26, v26, v29 clamp
	v_and_b32_e32 v29, 0xffffff00, v34
	v_perm_b32 v26, v26, v30, 0xc0c0105
	v_lshlrev_b16 v30, 8, v34
	v_sub_nc_i16 v29, v29, v35 clamp
	v_sub_nc_i16 v28, v30, v28 clamp
	v_lshrrev_b32_e32 v30, 25, v27
	v_perm_b32 v28, v28, v29, 0xc0c0105
	v_bcnt_u32_b32 v30, v30, 0
	v_lshl_or_b32 v26, v28, 16, v26
	v_lshrrev_b32_e32 v28, 13, v27
	v_and_b32_e32 v30, 1, v30
	v_and_b32_e32 v28, 0xff8, v28
	v_alignbit_b32 v27, v30, v27, 25
	global_load_dwordx2 v[28:29], v28, s[0:1]
	v_mul_lo_u32 v27, 0x1010101, v27
	v_and_b32_e32 v30, 0x8040201, v27
	v_lshrrev_b32_e32 v34, 18, v27
	v_cmp_ne_u16_sdwa s0, v30, v16 src0_sel:BYTE_3 src1_sel:DWORD
	v_cmp_ne_u16_sdwa s1, v30, v16 src0_sel:BYTE_1 src1_sel:DWORD
	v_bfe_i32 v30, v27, 0, 1
	v_bfe_i32 v34, v34, 0, 1
	v_cndmask_b32_e64 v37, 0, -1, s0
	v_cndmask_b32_e64 v35, 0, -1, s1
	v_lshlrev_b16 v37, 8, v37
	v_lshlrev_b16 v35, 8, v35
	v_or_b32_sdwa v38, v34, v37 dst_sel:WORD_1 dst_unused:UNUSED_PAD src0_sel:BYTE_0 src1_sel:DWORD
	v_or_b32_sdwa v36, v30, v35 dst_sel:DWORD dst_unused:UNUSED_PAD src0_sel:BYTE_0 src1_sel:DWORD
	v_lshlrev_b16 v30, 8, v30
	v_lshlrev_b16 v34, 8, v34
	v_or_b32_sdwa v36, v36, v38 dst_sel:DWORD dst_unused:UNUSED_PAD src0_sel:WORD_0 src1_sel:DWORD
	s_waitcnt vmcnt(0)
	v_xor_b32_e32 v28, v28, v36
	v_lshrrev_b32_e32 v36, 16, v28
	v_and_b32_e32 v38, 0xffffff00, v28
	v_lshlrev_b16 v28, 8, v28
	v_sub_nc_i16 v35, v38, v35 clamp
	v_sub_nc_i16 v28, v28, v30 clamp
	v_and_b32_e32 v30, 0xffffff00, v36
	v_perm_b32 v28, v28, v35, 0xc0c0105
	v_lshlrev_b16 v35, 8, v36
	v_sub_nc_i16 v30, v30, v37 clamp
	v_sub_nc_i16 v34, v35, v34 clamp
	v_perm_b32 v30, v34, v30, 0xc0c0105
	v_lshl_or_b32 v28, v30, 16, v28
	v_and_b32_e32 v30, 0x80402010, v27
	v_lshrrev_b32_e32 v27, 22, v27
	v_cmp_ne_u16_sdwa s0, v30, v16 src0_sel:BYTE_3 src1_sel:DWORD
	v_cmp_ne_u16_sdwa s1, v30, v16 src0_sel:BYTE_1 src1_sel:DWORD
	v_lshrrev_b16 v30, 4, v30
	v_bfe_i32 v27, v27, 0, 1
	v_cndmask_b32_e64 v36, 0, -1, s0
	v_cndmask_b32_e64 v34, 0, -1, s1
	v_bfe_i32 v30, v30, 0, 1
	v_lshlrev_b16 v36, 8, v36
	v_lshlrev_b16 v34, 8, v34
	v_or_b32_sdwa v37, v27, v36 dst_sel:WORD_1 dst_unused:UNUSED_PAD src0_sel:BYTE_0 src1_sel:DWORD
	v_or_b32_sdwa v35, v30, v34 dst_sel:DWORD dst_unused:UNUSED_PAD src0_sel:BYTE_0 src1_sel:DWORD
	v_lshlrev_b16 v30, 8, v30
	v_lshlrev_b16 v27, 8, v27
	v_or_b32_sdwa v35, v35, v37 dst_sel:DWORD dst_unused:UNUSED_PAD src0_sel:WORD_0 src1_sel:DWORD
	v_xor_b32_e32 v29, v29, v35
	v_lshrrev_b32_e32 v35, 16, v29
	v_and_b32_e32 v37, 0xffffff00, v29
	v_lshlrev_b16 v29, 8, v29
	v_sub_nc_i16 v34, v37, v34 clamp
	v_sub_nc_i16 v29, v29, v30 clamp
	v_and_b32_e32 v30, 0xffffff00, v35
	v_perm_b32 v29, v29, v34, 0xc0c0105
	v_lshlrev_b16 v34, 8, v35
	v_sub_nc_i16 v30, v30, v36 clamp
	v_sub_nc_i16 v27, v34, v27 clamp
	v_perm_b32 v27, v27, v30, 0xc0c0105
	v_lshl_or_b32 v30, v27, 16, v29
	global_load_ushort v27, v[32:33], off
	s_clause 0x2
	global_load_dwordx4 v[32:35], v[6:7], off offset:-16
	global_load_dword v40, v[6:7], off offset:16
	global_load_dwordx4 v[36:39], v[6:7], off
	v_lshrrev_b32_e32 v29, 4, v31
	v_and_b32_e32 v31, 15, v31
	v_add_co_u32 v6, vcc_lo, 0x480, v6
	v_add_co_ci_u32_e64 v7, null, 0, v7, vcc_lo
	v_cmp_le_u32_e32 vcc_lo, s10, v13
	s_or_b32 s3, vcc_lo, s3
	s_waitcnt vmcnt(2)
	v_dot4c_i32_i8 v41, v21, v33
	v_mov_b32_e32 v33, 0
	v_cvt_f32_f16_e32 v27, v27
	v_cvt_f32_f16_e32 v32, v32
	v_dot4c_i32_i8 v41, v22, v34
	s_waitcnt vmcnt(0)
	v_dot4c_i32_i8 v33, v25, v37
	v_mul_f32_e32 v32, v27, v32
	v_dot4c_i32_i8 v41, v23, v35
	v_dot4c_i32_i8 v33, v26, v38
	v_dot4c_i32_i8 v41, v24, v36
	v_dot4c_i32_i8 v33, v28, v39
	v_mul_lo_u32 v34, v41, v31
	v_dot4c_i32_i8 v33, v30, v40
	v_mul_lo_u32 v35, v33, v29
	v_add_nc_u32_e32 v33, v33, v41
	v_mov_b32_e32 v41, 0
	v_lshrrev_b32_e32 v36, 31, v33
	v_add_nc_u32_e32 v33, v33, v36
	v_mad_u64_u32 v[36:37], null, v17, 36, v[2:3]
	v_add_nc_u32_e32 v17, 32, v17
	v_ashrrev_i32_e32 v33, 1, v33
	v_add3_u32 v33, v35, v34, v33
	v_ashrrev_i32_e32 v34, 31, v33
	v_lshrrev_b32_e32 v34, 30, v34
	v_add_nc_u32_e32 v33, v33, v34
	v_ashrrev_i32_e32 v33, 2, v33
	v_cvt_f32_i32_e32 v33, v33
	v_fmac_f32_e32 v14, v32, v33
	s_clause 0x2
	global_load_dwordx4 v[32:35], v[36:37], off
	global_load_dword v40, v[36:37], off offset:32
	global_load_dwordx4 v[36:39], v[36:37], off offset:16
	s_waitcnt vmcnt(2)
	v_dot4c_i32_i8 v41, v21, v33
	v_mov_b32_e32 v33, 0
	v_cvt_f32_f16_e32 v32, v32
	v_dot4c_i32_i8 v41, v22, v34
	s_waitcnt vmcnt(0)
	v_dot4c_i32_i8 v33, v25, v37
	v_mul_f32_e32 v32, v27, v32
	v_dot4c_i32_i8 v41, v23, v35
	v_dot4c_i32_i8 v33, v26, v38
	v_dot4c_i32_i8 v41, v24, v36
	v_dot4c_i32_i8 v33, v28, v39
	v_mul_lo_u32 v34, v41, v31
	v_dot4c_i32_i8 v33, v30, v40
	v_mul_lo_u32 v35, v33, v29
	v_add_nc_u32_e32 v33, v33, v41
	v_mov_b32_e32 v41, 0
	v_lshrrev_b32_e32 v36, 31, v33
	v_add_nc_u32_e32 v33, v33, v36
	v_mad_u64_u32 v[36:37], null, v19, 36, v[2:3]
	v_add_nc_u32_e32 v19, 32, v19
	v_ashrrev_i32_e32 v33, 1, v33
	v_add3_u32 v33, v35, v34, v33
	v_ashrrev_i32_e32 v34, 31, v33
	v_lshrrev_b32_e32 v34, 30, v34
	v_add_nc_u32_e32 v33, v33, v34
	v_ashrrev_i32_e32 v33, 2, v33
	v_cvt_f32_i32_e32 v33, v33
	v_fmac_f32_e32 v12, v32, v33
	s_clause 0x2
	global_load_dwordx4 v[32:35], v[36:37], off
	global_load_dword v40, v[36:37], off offset:32
	global_load_dwordx4 v[36:39], v[36:37], off offset:16
	s_waitcnt vmcnt(2)
	v_dot4c_i32_i8 v41, v21, v33
	v_mov_b32_e32 v33, 0
	;; [unrolled: 33-line block ×5, first 2 shown]
	v_dot4c_i32_i8 v41, v22, v34
	s_waitcnt vmcnt(0)
	v_dot4c_i32_i8 v21, v25, v37
	v_dot4c_i32_i8 v41, v23, v35
	;; [unrolled: 1-line block ×5, first 2 shown]
	v_mul_lo_u32 v22, v41, v31
	v_dot4c_i32_i8 v21, v30, v40
	v_mul_lo_u32 v23, v21, v29
	v_add_nc_u32_e32 v21, v21, v41
	v_lshrrev_b32_e32 v24, 31, v21
	v_add_nc_u32_e32 v21, v21, v24
	v_ashrrev_i32_e32 v21, 1, v21
	v_add3_u32 v21, v23, v22, v21
	v_ashrrev_i32_e32 v22, 31, v21
	v_lshrrev_b32_e32 v22, 30, v22
	v_add_nc_u32_e32 v21, v21, v22
	v_cvt_f32_f16_e32 v22, v32
	v_ashrrev_i32_e32 v21, 2, v21
	v_mul_f32_e32 v22, v27, v22
	v_cvt_f32_i32_e32 v21, v21
	v_fmac_f32_e32 v8, v22, v21
	s_andn2_b32 exec_lo, exec_lo, s3
	s_cbranch_execnz .LBB177_2
; %bb.3:
	s_or_b32 exec_lo, exec_lo, s3
.LBB177_4:
	s_or_b32 exec_lo, exec_lo, s9
	s_mov_b32 s1, 0
	; wave barrier
	buffer_gl0_inv
	s_mov_b32 s0, exec_lo
	v_cmpx_eq_u32_e32 0, v1
	s_cbranch_execz .LBB177_17
; %bb.5:
	v_mbcnt_lo_u32_b32 v5, -1, 0
	s_load_dwordx2 s[4:5], s[4:5], 0x38
	s_mul_i32 s0, s14, s7
	s_mul_i32 s3, s18, s8
	s_add_i32 s0, s0, s6
	v_xor_b32_e32 v1, 16, v5
	v_xor_b32_e32 v2, 8, v5
	v_xor_b32_e32 v13, 1, v5
	s_add_i32 s0, s0, s3
	s_lshl_b64 s[0:1], s[0:1], 2
	v_cmp_gt_i32_e32 vcc_lo, 32, v1
	v_cndmask_b32_e32 v1, v5, v1, vcc_lo
	v_cmp_gt_i32_e32 vcc_lo, 32, v2
	v_lshlrev_b32_e32 v1, 2, v1
	v_cndmask_b32_e32 v2, v5, v2, vcc_lo
	s_waitcnt lgkmcnt(0)
	s_add_u32 s0, s4, s0
	s_addc_u32 s1, s5, s1
	ds_bpermute_b32 v3, v1, v14
	v_lshlrev_b32_e32 v2, 2, v2
	s_waitcnt lgkmcnt(0)
	v_add_f32_e32 v4, v14, v3
	v_xor_b32_e32 v3, 4, v5
	ds_bpermute_b32 v6, v2, v4
	v_cmp_gt_i32_e32 vcc_lo, 32, v3
	v_cndmask_b32_e32 v3, v5, v3, vcc_lo
	v_lshlrev_b32_e32 v3, 2, v3
	s_waitcnt lgkmcnt(0)
	v_add_f32_e32 v6, v4, v6
	v_xor_b32_e32 v4, 2, v5
	ds_bpermute_b32 v7, v3, v6
	v_cmp_gt_i32_e32 vcc_lo, 32, v4
	v_cndmask_b32_e32 v4, v5, v4, vcc_lo
	v_cmp_gt_i32_e32 vcc_lo, 32, v13
	v_lshlrev_b32_e32 v4, 2, v4
	v_cndmask_b32_e32 v5, v5, v13, vcc_lo
	v_cmp_eq_u32_e32 vcc_lo, 0, v0
	v_lshlrev_b32_e32 v5, 2, v5
	s_waitcnt lgkmcnt(0)
	v_add_f32_e32 v6, v6, v7
	ds_bpermute_b32 v7, v4, v6
	s_waitcnt lgkmcnt(0)
	v_add_f32_e32 v6, v6, v7
	ds_bpermute_b32 v7, v5, v6
	s_and_saveexec_b32 s3, vcc_lo
	s_cbranch_execz .LBB177_7
; %bb.6:
	s_waitcnt lgkmcnt(0)
	v_add_f32_e32 v0, v6, v7
	v_mov_b32_e32 v6, 0
	global_store_dword v6, v0, s[0:1]
.LBB177_7:
	s_or_b32 exec_lo, exec_lo, s3
	ds_bpermute_b32 v0, v1, v12
	s_waitcnt lgkmcnt(0)
	v_add_f32_e32 v0, v12, v0
	ds_bpermute_b32 v6, v2, v0
	s_waitcnt lgkmcnt(0)
	v_add_f32_e32 v0, v0, v6
	;; [unrolled: 3-line block ×4, first 2 shown]
	ds_bpermute_b32 v6, v5, v0
	s_and_saveexec_b32 s4, vcc_lo
	s_cbranch_execz .LBB177_9
; %bb.8:
	s_mov_b32 s3, 0
	s_waitcnt lgkmcnt(0)
	v_add_f32_e32 v0, v0, v6
	s_lshl_b64 s[6:7], s[2:3], 2
	v_mov_b32_e32 v6, 0
	s_add_u32 s6, s0, s6
	s_addc_u32 s7, s1, s7
	global_store_dword v6, v0, s[6:7]
.LBB177_9:
	s_or_b32 exec_lo, exec_lo, s4
	ds_bpermute_b32 v0, v1, v11
	s_waitcnt lgkmcnt(0)
	v_add_f32_e32 v0, v11, v0
	ds_bpermute_b32 v6, v2, v0
	s_waitcnt lgkmcnt(0)
	v_add_f32_e32 v0, v0, v6
	;; [unrolled: 3-line block ×4, first 2 shown]
	ds_bpermute_b32 v6, v5, v0
	s_and_saveexec_b32 s3, vcc_lo
	s_cbranch_execz .LBB177_11
; %bb.10:
	s_lshl_b32 s4, s2, 1
	s_mov_b32 s5, 0
	s_waitcnt lgkmcnt(0)
	v_add_f32_e32 v0, v0, v6
	s_lshl_b64 s[4:5], s[4:5], 2
	v_mov_b32_e32 v6, 0
	s_add_u32 s4, s0, s4
	s_addc_u32 s5, s1, s5
	global_store_dword v6, v0, s[4:5]
.LBB177_11:
	s_or_b32 exec_lo, exec_lo, s3
	ds_bpermute_b32 v0, v1, v10
	s_waitcnt lgkmcnt(0)
	v_add_f32_e32 v0, v10, v0
	ds_bpermute_b32 v6, v2, v0
	s_waitcnt lgkmcnt(0)
	v_add_f32_e32 v0, v0, v6
	;; [unrolled: 3-line block ×4, first 2 shown]
	ds_bpermute_b32 v6, v5, v0
	s_and_saveexec_b32 s3, vcc_lo
	s_cbranch_execz .LBB177_13
; %bb.12:
	s_mul_i32 s4, s2, 3
	s_mov_b32 s5, 0
	s_waitcnt lgkmcnt(0)
	v_add_f32_e32 v0, v0, v6
	s_lshl_b64 s[4:5], s[4:5], 2
	v_mov_b32_e32 v6, 0
	s_add_u32 s4, s0, s4
	s_addc_u32 s5, s1, s5
	global_store_dword v6, v0, s[4:5]
.LBB177_13:
	s_or_b32 exec_lo, exec_lo, s3
	ds_bpermute_b32 v0, v1, v9
	s_waitcnt lgkmcnt(0)
	v_add_f32_e32 v0, v9, v0
	ds_bpermute_b32 v6, v2, v0
	s_waitcnt lgkmcnt(0)
	v_add_f32_e32 v0, v0, v6
	ds_bpermute_b32 v6, v3, v0
	s_waitcnt lgkmcnt(0)
	v_add_f32_e32 v0, v0, v6
	ds_bpermute_b32 v6, v4, v0
	s_waitcnt lgkmcnt(0)
	v_add_f32_e32 v0, v0, v6
	ds_bpermute_b32 v6, v5, v0
	s_and_saveexec_b32 s3, vcc_lo
	s_cbranch_execz .LBB177_15
; %bb.14:
	s_lshl_b32 s4, s2, 2
	s_mov_b32 s5, 0
	s_waitcnt lgkmcnt(0)
	v_add_f32_e32 v0, v0, v6
	s_lshl_b64 s[4:5], s[4:5], 2
	v_mov_b32_e32 v6, 0
	s_add_u32 s4, s0, s4
	s_addc_u32 s5, s1, s5
	global_store_dword v6, v0, s[4:5]
.LBB177_15:
	s_or_b32 exec_lo, exec_lo, s3
	ds_bpermute_b32 v0, v1, v8
	s_waitcnt lgkmcnt(0)
	v_add_f32_e32 v0, v8, v0
	ds_bpermute_b32 v1, v2, v0
	s_waitcnt lgkmcnt(0)
	v_add_f32_e32 v0, v0, v1
	;; [unrolled: 3-line block ×4, first 2 shown]
	ds_bpermute_b32 v1, v5, v0
	s_and_b32 exec_lo, exec_lo, vcc_lo
	s_cbranch_execz .LBB177_17
; %bb.16:
	s_mul_i32 s2, s2, 5
	s_mov_b32 s3, 0
	s_waitcnt lgkmcnt(0)
	v_add_f32_e32 v0, v0, v1
	s_lshl_b64 s[2:3], s[2:3], 2
	v_mov_b32_e32 v1, 0
	s_add_u32 s0, s0, s2
	s_addc_u32 s1, s1, s3
	global_store_dword v1, v0, s[0:1]
.LBB177_17:
	s_endpgm
	.section	.rodata,"a",@progbits
	.p2align	6, 0x0
	.amdhsa_kernel _ZL13mul_mat_vec_qIL9ggml_type17ELi6ELb0ELb0EEvPKvS2_PKi31ggml_cuda_mm_fusion_args_devicePfj15HIP_vector_typeIjLj3EEjjjS8_jjjS8_jjjj
		.amdhsa_group_segment_fixed_size 0
		.amdhsa_private_segment_fixed_size 0
		.amdhsa_kernarg_size 144
		.amdhsa_user_sgpr_count 6
		.amdhsa_user_sgpr_private_segment_buffer 1
		.amdhsa_user_sgpr_dispatch_ptr 0
		.amdhsa_user_sgpr_queue_ptr 0
		.amdhsa_user_sgpr_kernarg_segment_ptr 1
		.amdhsa_user_sgpr_dispatch_id 0
		.amdhsa_user_sgpr_flat_scratch_init 0
		.amdhsa_user_sgpr_private_segment_size 0
		.amdhsa_wavefront_size32 1
		.amdhsa_uses_dynamic_stack 0
		.amdhsa_system_sgpr_private_segment_wavefront_offset 0
		.amdhsa_system_sgpr_workgroup_id_x 1
		.amdhsa_system_sgpr_workgroup_id_y 1
		.amdhsa_system_sgpr_workgroup_id_z 1
		.amdhsa_system_sgpr_workgroup_info 0
		.amdhsa_system_vgpr_workitem_id 1
		.amdhsa_next_free_vgpr 42
		.amdhsa_next_free_sgpr 28
		.amdhsa_reserve_vcc 1
		.amdhsa_reserve_flat_scratch 0
		.amdhsa_float_round_mode_32 0
		.amdhsa_float_round_mode_16_64 0
		.amdhsa_float_denorm_mode_32 3
		.amdhsa_float_denorm_mode_16_64 3
		.amdhsa_dx10_clamp 1
		.amdhsa_ieee_mode 1
		.amdhsa_fp16_overflow 0
		.amdhsa_workgroup_processor_mode 1
		.amdhsa_memory_ordered 1
		.amdhsa_forward_progress 1
		.amdhsa_shared_vgpr_count 0
		.amdhsa_exception_fp_ieee_invalid_op 0
		.amdhsa_exception_fp_denorm_src 0
		.amdhsa_exception_fp_ieee_div_zero 0
		.amdhsa_exception_fp_ieee_overflow 0
		.amdhsa_exception_fp_ieee_underflow 0
		.amdhsa_exception_fp_ieee_inexact 0
		.amdhsa_exception_int_div_zero 0
	.end_amdhsa_kernel
	.section	.text._ZL13mul_mat_vec_qIL9ggml_type17ELi6ELb0ELb0EEvPKvS2_PKi31ggml_cuda_mm_fusion_args_devicePfj15HIP_vector_typeIjLj3EEjjjS8_jjjS8_jjjj,"axG",@progbits,_ZL13mul_mat_vec_qIL9ggml_type17ELi6ELb0ELb0EEvPKvS2_PKi31ggml_cuda_mm_fusion_args_devicePfj15HIP_vector_typeIjLj3EEjjjS8_jjjS8_jjjj,comdat
.Lfunc_end177:
	.size	_ZL13mul_mat_vec_qIL9ggml_type17ELi6ELb0ELb0EEvPKvS2_PKi31ggml_cuda_mm_fusion_args_devicePfj15HIP_vector_typeIjLj3EEjjjS8_jjjS8_jjjj, .Lfunc_end177-_ZL13mul_mat_vec_qIL9ggml_type17ELi6ELb0ELb0EEvPKvS2_PKi31ggml_cuda_mm_fusion_args_devicePfj15HIP_vector_typeIjLj3EEjjjS8_jjjS8_jjjj
                                        ; -- End function
	.set _ZL13mul_mat_vec_qIL9ggml_type17ELi6ELb0ELb0EEvPKvS2_PKi31ggml_cuda_mm_fusion_args_devicePfj15HIP_vector_typeIjLj3EEjjjS8_jjjS8_jjjj.num_vgpr, 42
	.set _ZL13mul_mat_vec_qIL9ggml_type17ELi6ELb0ELb0EEvPKvS2_PKi31ggml_cuda_mm_fusion_args_devicePfj15HIP_vector_typeIjLj3EEjjjS8_jjjS8_jjjj.num_agpr, 0
	.set _ZL13mul_mat_vec_qIL9ggml_type17ELi6ELb0ELb0EEvPKvS2_PKi31ggml_cuda_mm_fusion_args_devicePfj15HIP_vector_typeIjLj3EEjjjS8_jjjS8_jjjj.numbered_sgpr, 28
	.set _ZL13mul_mat_vec_qIL9ggml_type17ELi6ELb0ELb0EEvPKvS2_PKi31ggml_cuda_mm_fusion_args_devicePfj15HIP_vector_typeIjLj3EEjjjS8_jjjS8_jjjj.num_named_barrier, 0
	.set _ZL13mul_mat_vec_qIL9ggml_type17ELi6ELb0ELb0EEvPKvS2_PKi31ggml_cuda_mm_fusion_args_devicePfj15HIP_vector_typeIjLj3EEjjjS8_jjjS8_jjjj.private_seg_size, 0
	.set _ZL13mul_mat_vec_qIL9ggml_type17ELi6ELb0ELb0EEvPKvS2_PKi31ggml_cuda_mm_fusion_args_devicePfj15HIP_vector_typeIjLj3EEjjjS8_jjjS8_jjjj.uses_vcc, 1
	.set _ZL13mul_mat_vec_qIL9ggml_type17ELi6ELb0ELb0EEvPKvS2_PKi31ggml_cuda_mm_fusion_args_devicePfj15HIP_vector_typeIjLj3EEjjjS8_jjjS8_jjjj.uses_flat_scratch, 0
	.set _ZL13mul_mat_vec_qIL9ggml_type17ELi6ELb0ELb0EEvPKvS2_PKi31ggml_cuda_mm_fusion_args_devicePfj15HIP_vector_typeIjLj3EEjjjS8_jjjS8_jjjj.has_dyn_sized_stack, 0
	.set _ZL13mul_mat_vec_qIL9ggml_type17ELi6ELb0ELb0EEvPKvS2_PKi31ggml_cuda_mm_fusion_args_devicePfj15HIP_vector_typeIjLj3EEjjjS8_jjjS8_jjjj.has_recursion, 0
	.set _ZL13mul_mat_vec_qIL9ggml_type17ELi6ELb0ELb0EEvPKvS2_PKi31ggml_cuda_mm_fusion_args_devicePfj15HIP_vector_typeIjLj3EEjjjS8_jjjS8_jjjj.has_indirect_call, 0
	.section	.AMDGPU.csdata,"",@progbits
; Kernel info:
; codeLenInByte = 4388
; TotalNumSgprs: 30
; NumVgprs: 42
; ScratchSize: 0
; MemoryBound: 0
; FloatMode: 240
; IeeeMode: 1
; LDSByteSize: 0 bytes/workgroup (compile time only)
; SGPRBlocks: 0
; VGPRBlocks: 5
; NumSGPRsForWavesPerEU: 30
; NumVGPRsForWavesPerEU: 42
; Occupancy: 16
; WaveLimiterHint : 0
; COMPUTE_PGM_RSRC2:SCRATCH_EN: 0
; COMPUTE_PGM_RSRC2:USER_SGPR: 6
; COMPUTE_PGM_RSRC2:TRAP_HANDLER: 0
; COMPUTE_PGM_RSRC2:TGID_X_EN: 1
; COMPUTE_PGM_RSRC2:TGID_Y_EN: 1
; COMPUTE_PGM_RSRC2:TGID_Z_EN: 1
; COMPUTE_PGM_RSRC2:TIDIG_COMP_CNT: 1
	.section	.text._ZL13mul_mat_vec_qIL9ggml_type17ELi7ELb0ELb0EEvPKvS2_PKi31ggml_cuda_mm_fusion_args_devicePfj15HIP_vector_typeIjLj3EEjjjS8_jjjS8_jjjj,"axG",@progbits,_ZL13mul_mat_vec_qIL9ggml_type17ELi7ELb0ELb0EEvPKvS2_PKi31ggml_cuda_mm_fusion_args_devicePfj15HIP_vector_typeIjLj3EEjjjS8_jjjS8_jjjj,comdat
	.globl	_ZL13mul_mat_vec_qIL9ggml_type17ELi7ELb0ELb0EEvPKvS2_PKi31ggml_cuda_mm_fusion_args_devicePfj15HIP_vector_typeIjLj3EEjjjS8_jjjS8_jjjj ; -- Begin function _ZL13mul_mat_vec_qIL9ggml_type17ELi7ELb0ELb0EEvPKvS2_PKi31ggml_cuda_mm_fusion_args_devicePfj15HIP_vector_typeIjLj3EEjjjS8_jjjS8_jjjj
	.p2align	8
	.type	_ZL13mul_mat_vec_qIL9ggml_type17ELi7ELb0ELb0EEvPKvS2_PKi31ggml_cuda_mm_fusion_args_devicePfj15HIP_vector_typeIjLj3EEjjjS8_jjjS8_jjjj,@function
_ZL13mul_mat_vec_qIL9ggml_type17ELi7ELb0ELb0EEvPKvS2_PKi31ggml_cuda_mm_fusion_args_devicePfj15HIP_vector_typeIjLj3EEjjjS8_jjjS8_jjjj: ; @_ZL13mul_mat_vec_qIL9ggml_type17ELi7ELb0ELb0EEvPKvS2_PKi31ggml_cuda_mm_fusion_args_devicePfj15HIP_vector_typeIjLj3EEjjjS8_jjjS8_jjjj
; %bb.0:
	s_clause 0x5
	s_load_dword s9, s[4:5], 0x40
	s_load_dwordx4 s[0:3], s[4:5], 0x50
	s_load_dword s11, s[4:5], 0x60
	s_load_dwordx4 s[12:15], s[4:5], 0x68
	;; [unrolled: 2-line block ×3, first 2 shown]
	v_lshl_or_b32 v2, v1, 5, v0
	v_mov_b32_e32 v11, 0
	v_mov_b32_e32 v12, 0
	;; [unrolled: 1-line block ×4, first 2 shown]
	v_lshrrev_b32_e32 v17, 3, v2
	v_mov_b32_e32 v15, 0
	v_mov_b32_e32 v16, 0
	;; [unrolled: 1-line block ×3, first 2 shown]
	s_waitcnt lgkmcnt(0)
	s_lshr_b32 s10, s9, 8
	s_mov_b32 s9, exec_lo
	v_cmpx_gt_u32_e64 s10, v17
	s_cbranch_execz .LBB178_4
; %bb.1:
	s_mul_i32 s13, s13, s7
	v_lshlrev_b32_e32 v4, 1, v0
	s_mul_hi_u32 s27, s13, 36
	s_mul_i32 s26, s13, 36
	s_load_dwordx4 s[20:23], s[4:5], 0x0
	v_mad_u64_u32 v[2:3], null, 0x120, v17, s[26:27]
	s_mul_i32 s17, s17, s8
	v_and_b32_e32 v6, 14, v4
	v_and_b32_e32 v19, 7, v0
	v_lshlrev_b32_e32 v8, 3, v17
	s_mul_hi_u32 s3, s3, s7
	s_mul_hi_u32 s15, s15, s8
	v_mad_u64_u32 v[4:5], null, s17, 36, v[2:3]
	s_add_i32 s3, s7, s3
	s_add_i32 s15, s8, s15
	s_mul_i32 s25, s17, 36
	s_lshr_b32 s3, s3, s11
	s_mul_hi_u32 s19, s17, 36
	s_lshr_b32 s11, s15, s24
	v_mad_u64_u32 v[9:10], null, v19, 36, v[4:5]
	v_lshlrev_b32_e32 v11, 1, v6
	s_mul_i32 s3, s3, s12
	s_waitcnt lgkmcnt(0)
	s_add_u32 s12, s22, s25
	s_addc_u32 s13, s23, s19
	s_add_u32 s12, s12, s26
	s_addc_u32 s13, s13, s27
	v_mad_u64_u32 v[4:5], null, s1, 6, v[8:9]
	v_mad_u64_u32 v[5:6], null, s1, 5, v[8:9]
	v_mad_u64_u32 v[6:7], null, s1, 3, v[8:9]
	v_add_co_u32 v7, vcc_lo, s22, v9
	v_add_co_ci_u32_e64 v9, null, s23, v10, vcc_lo
	v_mad_u64_u32 v[2:3], null, v19, 36, s[12:13]
	v_add_co_u32 v7, vcc_lo, v7, 16
	s_mul_i32 s0, s0, s6
	v_mov_b32_e32 v20, 0
	v_add_nc_u32_e32 v21, s1, v8
	v_lshl_add_u32 v22, s1, 2, v8
	v_lshl_add_u32 v23, s1, 1, v8
	v_add_co_ci_u32_e64 v8, null, 0, v9, vcc_lo
	v_lshlrev_b32_e32 v24, 1, v11
	v_mov_b32_e32 v11, 0
	v_mov_b32_e32 v12, 0
	;; [unrolled: 1-line block ×7, first 2 shown]
	s_mul_i32 s11, s11, s16
	s_add_i32 s3, s3, s0
	s_add_i32 s11, s11, s3
	s_mov_b32 s3, 0
.LBB178_2:                              ; =>This Inner Loop Header: Depth=1
	v_add_nc_u32_e32 v9, s11, v17
	s_getpc_b64 s[0:1]
	s_add_u32 s0, s0, _ZL10iq2xs_grid@rel32@lo+4
	s_addc_u32 s1, s1, _ZL10iq2xs_grid@rel32@hi+12
	v_mov_b32_e32 v43, 0
	v_add_nc_u32_e32 v17, 4, v17
	v_mad_i64_i32 v[9:10], null, 0x4a, v9, s[20:21]
	v_add_co_u32 v25, vcc_lo, v9, v24
	v_add_co_ci_u32_e64 v26, null, 0, v10, vcc_lo
	global_load_dwordx2 v[30:31], v[25:26], off offset:2
	v_add_co_u32 v25, vcc_lo, v9, v19
	v_add_co_ci_u32_e64 v26, null, 0, v10, vcc_lo
	s_clause 0x1
	global_load_ushort v9, v[9:10], off
	global_load_ubyte v34, v[25:26], off offset:66
	s_waitcnt vmcnt(2)
	v_and_b32_e32 v25, 0x1ff, v30
	v_bfe_u32 v27, v30, 9, 7
	v_lshlrev_b32_e32 v25, 3, v25
	v_bcnt_u32_b32 v28, v27, 0
	s_waitcnt vmcnt(1)
	v_cvt_f32_f16_e32 v9, v9
	global_load_dwordx2 v[25:26], v25, s[0:1]
	v_and_b32_e32 v28, 1, v28
	v_lshl_or_b32 v27, v28, 7, v27
	v_mul_lo_u32 v27, 0x1010101, v27
	v_and_b32_e32 v28, 0x8040201, v27
	v_lshrrev_b32_e32 v29, 18, v27
	v_cmp_ne_u16_sdwa s12, v28, v20 src0_sel:BYTE_3 src1_sel:DWORD
	v_cmp_ne_u16_sdwa s13, v28, v20 src0_sel:BYTE_1 src1_sel:DWORD
	v_bfe_i32 v28, v27, 0, 1
	v_bfe_i32 v29, v29, 0, 1
	v_cndmask_b32_e64 v35, 0, -1, s12
	v_cndmask_b32_e64 v32, 0, -1, s13
	v_lshlrev_b16 v35, 8, v35
	v_lshlrev_b16 v32, 8, v32
	v_or_b32_sdwa v36, v29, v35 dst_sel:WORD_1 dst_unused:UNUSED_PAD src0_sel:BYTE_0 src1_sel:DWORD
	v_or_b32_sdwa v33, v28, v32 dst_sel:DWORD dst_unused:UNUSED_PAD src0_sel:BYTE_0 src1_sel:DWORD
	v_lshlrev_b16 v28, 8, v28
	v_lshlrev_b16 v29, 8, v29
	v_or_b32_sdwa v33, v33, v36 dst_sel:DWORD dst_unused:UNUSED_PAD src0_sel:WORD_0 src1_sel:DWORD
	s_waitcnt vmcnt(0)
	v_xor_b32_e32 v25, v25, v33
	v_lshrrev_b32_e32 v33, 16, v25
	v_and_b32_e32 v36, 0xffffff00, v25
	v_lshlrev_b16 v25, 8, v25
	v_sub_nc_i16 v32, v36, v32 clamp
	v_sub_nc_i16 v25, v25, v28 clamp
	v_and_b32_e32 v28, 0xffffff00, v33
	v_perm_b32 v25, v25, v32, 0xc0c0105
	v_lshlrev_b16 v32, 8, v33
	v_sub_nc_i16 v28, v28, v35 clamp
	v_sub_nc_i16 v29, v32, v29 clamp
	v_perm_b32 v28, v29, v28, 0xc0c0105
	v_lshl_or_b32 v25, v28, 16, v25
	v_and_b32_e32 v28, 0x80402010, v27
	v_lshrrev_b32_e32 v27, 22, v27
	v_cmp_ne_u16_sdwa s12, v28, v20 src0_sel:BYTE_3 src1_sel:DWORD
	v_cmp_ne_u16_sdwa s13, v28, v20 src0_sel:BYTE_1 src1_sel:DWORD
	v_lshrrev_b16 v28, 4, v28
	v_bfe_i32 v27, v27, 0, 1
	v_cndmask_b32_e64 v33, 0, -1, s12
	v_cndmask_b32_e64 v29, 0, -1, s13
	v_bfe_i32 v28, v28, 0, 1
	v_lshlrev_b16 v33, 8, v33
	v_lshlrev_b16 v29, 8, v29
	v_or_b32_sdwa v35, v27, v33 dst_sel:WORD_1 dst_unused:UNUSED_PAD src0_sel:BYTE_0 src1_sel:DWORD
	v_or_b32_sdwa v32, v28, v29 dst_sel:DWORD dst_unused:UNUSED_PAD src0_sel:BYTE_0 src1_sel:DWORD
	v_lshlrev_b16 v28, 8, v28
	v_lshlrev_b16 v27, 8, v27
	v_or_b32_sdwa v32, v32, v35 dst_sel:DWORD dst_unused:UNUSED_PAD src0_sel:WORD_0 src1_sel:DWORD
	v_xor_b32_e32 v26, v26, v32
	v_lshrrev_b32_e32 v32, 16, v26
	v_and_b32_e32 v35, 0xffffff00, v26
	v_lshlrev_b16 v26, 8, v26
	v_sub_nc_i16 v29, v35, v29 clamp
	v_sub_nc_i16 v26, v26, v28 clamp
	v_and_b32_e32 v28, 0xffffff00, v32
	v_perm_b32 v26, v26, v29, 0xc0c0105
	v_lshlrev_b16 v29, 8, v32
	v_sub_nc_i16 v28, v28, v33 clamp
	v_sub_nc_i16 v27, v29, v27 clamp
	v_lshrrev_b32_e32 v29, 25, v30
	v_perm_b32 v27, v27, v28, 0xc0c0105
	v_bcnt_u32_b32 v29, v29, 0
	v_lshl_or_b32 v26, v27, 16, v26
	v_lshrrev_b32_e32 v27, 13, v30
	v_and_b32_e32 v29, 1, v29
	v_and_b32_e32 v27, 0xff8, v27
	v_alignbit_b32 v29, v29, v30, 25
	global_load_dwordx2 v[27:28], v27, s[0:1]
	v_mul_lo_u32 v29, 0x1010101, v29
	v_and_b32_e32 v30, 0x8040201, v29
	v_lshrrev_b32_e32 v32, 18, v29
	v_cmp_ne_u16_sdwa s12, v30, v20 src0_sel:BYTE_3 src1_sel:DWORD
	v_cmp_ne_u16_sdwa s13, v30, v20 src0_sel:BYTE_1 src1_sel:DWORD
	v_bfe_i32 v30, v29, 0, 1
	v_bfe_i32 v32, v32, 0, 1
	v_cndmask_b32_e64 v36, 0, -1, s12
	v_cndmask_b32_e64 v33, 0, -1, s13
	v_lshlrev_b16 v36, 8, v36
	v_lshlrev_b16 v33, 8, v33
	v_or_b32_sdwa v37, v32, v36 dst_sel:WORD_1 dst_unused:UNUSED_PAD src0_sel:BYTE_0 src1_sel:DWORD
	v_or_b32_sdwa v35, v30, v33 dst_sel:DWORD dst_unused:UNUSED_PAD src0_sel:BYTE_0 src1_sel:DWORD
	v_lshlrev_b16 v30, 8, v30
	v_lshlrev_b16 v32, 8, v32
	v_or_b32_sdwa v35, v35, v37 dst_sel:DWORD dst_unused:UNUSED_PAD src0_sel:WORD_0 src1_sel:DWORD
	s_waitcnt vmcnt(0)
	v_xor_b32_e32 v27, v27, v35
	v_lshrrev_b32_e32 v35, 16, v27
	v_and_b32_e32 v37, 0xffffff00, v27
	v_lshlrev_b16 v27, 8, v27
	v_sub_nc_i16 v33, v37, v33 clamp
	v_sub_nc_i16 v27, v27, v30 clamp
	v_and_b32_e32 v30, 0xffffff00, v35
	v_perm_b32 v27, v27, v33, 0xc0c0105
	v_lshlrev_b16 v33, 8, v35
	v_sub_nc_i16 v30, v30, v36 clamp
	v_sub_nc_i16 v32, v33, v32 clamp
	v_perm_b32 v30, v32, v30, 0xc0c0105
	v_lshl_or_b32 v27, v30, 16, v27
	v_and_b32_e32 v30, 0x80402010, v29
	v_lshrrev_b32_e32 v29, 22, v29
	v_cmp_ne_u16_sdwa s12, v30, v20 src0_sel:BYTE_3 src1_sel:DWORD
	v_cmp_ne_u16_sdwa s13, v30, v20 src0_sel:BYTE_1 src1_sel:DWORD
	v_lshrrev_b16 v30, 4, v30
	v_bfe_i32 v29, v29, 0, 1
	v_cndmask_b32_e64 v35, 0, -1, s12
	v_cndmask_b32_e64 v32, 0, -1, s13
	v_bfe_i32 v30, v30, 0, 1
	v_lshlrev_b16 v35, 8, v35
	v_lshlrev_b16 v32, 8, v32
	v_or_b32_sdwa v36, v29, v35 dst_sel:WORD_1 dst_unused:UNUSED_PAD src0_sel:BYTE_0 src1_sel:DWORD
	v_or_b32_sdwa v33, v30, v32 dst_sel:DWORD dst_unused:UNUSED_PAD src0_sel:BYTE_0 src1_sel:DWORD
	v_lshlrev_b16 v30, 8, v30
	v_lshlrev_b16 v29, 8, v29
	v_or_b32_sdwa v33, v33, v36 dst_sel:DWORD dst_unused:UNUSED_PAD src0_sel:WORD_0 src1_sel:DWORD
	v_xor_b32_e32 v28, v28, v33
	v_lshrrev_b32_e32 v33, 16, v28
	v_and_b32_e32 v36, 0xffffff00, v28
	v_lshlrev_b16 v28, 8, v28
	v_sub_nc_i16 v32, v36, v32 clamp
	v_sub_nc_i16 v28, v28, v30 clamp
	v_and_b32_e32 v30, 0xffffff00, v33
	v_perm_b32 v28, v28, v32, 0xc0c0105
	v_lshlrev_b16 v32, 8, v33
	v_sub_nc_i16 v30, v30, v35 clamp
	v_sub_nc_i16 v29, v32, v29 clamp
	v_bfe_u32 v32, v31, 9, 7
	v_perm_b32 v29, v29, v30, 0xc0c0105
	v_bcnt_u32_b32 v33, v32, 0
	v_lshl_or_b32 v28, v29, 16, v28
	v_and_b32_e32 v29, 0x1ff, v31
	v_and_b32_e32 v33, 1, v33
	v_lshlrev_b32_e32 v29, 3, v29
	v_lshl_or_b32 v32, v33, 7, v32
	global_load_dwordx2 v[29:30], v29, s[0:1]
	v_mul_lo_u32 v32, 0x1010101, v32
	v_and_b32_e32 v33, 0x8040201, v32
	v_lshrrev_b32_e32 v35, 18, v32
	v_cmp_ne_u16_sdwa s12, v33, v20 src0_sel:BYTE_3 src1_sel:DWORD
	v_cmp_ne_u16_sdwa s13, v33, v20 src0_sel:BYTE_1 src1_sel:DWORD
	v_bfe_i32 v33, v32, 0, 1
	v_bfe_i32 v35, v35, 0, 1
	v_cndmask_b32_e64 v38, 0, -1, s12
	v_cndmask_b32_e64 v36, 0, -1, s13
	v_lshlrev_b16 v38, 8, v38
	v_lshlrev_b16 v36, 8, v36
	v_or_b32_sdwa v39, v35, v38 dst_sel:WORD_1 dst_unused:UNUSED_PAD src0_sel:BYTE_0 src1_sel:DWORD
	v_or_b32_sdwa v37, v33, v36 dst_sel:DWORD dst_unused:UNUSED_PAD src0_sel:BYTE_0 src1_sel:DWORD
	v_lshlrev_b16 v33, 8, v33
	v_lshlrev_b16 v35, 8, v35
	v_or_b32_sdwa v37, v37, v39 dst_sel:DWORD dst_unused:UNUSED_PAD src0_sel:WORD_0 src1_sel:DWORD
	s_waitcnt vmcnt(0)
	v_xor_b32_e32 v29, v29, v37
	v_lshrrev_b32_e32 v37, 16, v29
	v_and_b32_e32 v39, 0xffffff00, v29
	v_lshlrev_b16 v29, 8, v29
	v_sub_nc_i16 v36, v39, v36 clamp
	v_sub_nc_i16 v29, v29, v33 clamp
	v_and_b32_e32 v33, 0xffffff00, v37
	v_perm_b32 v29, v29, v36, 0xc0c0105
	v_lshlrev_b16 v36, 8, v37
	v_sub_nc_i16 v33, v33, v38 clamp
	v_sub_nc_i16 v35, v36, v35 clamp
	v_perm_b32 v33, v35, v33, 0xc0c0105
	v_lshl_or_b32 v29, v33, 16, v29
	v_and_b32_e32 v33, 0x80402010, v32
	v_lshrrev_b32_e32 v32, 22, v32
	v_cmp_ne_u16_sdwa s12, v33, v20 src0_sel:BYTE_3 src1_sel:DWORD
	v_cmp_ne_u16_sdwa s13, v33, v20 src0_sel:BYTE_1 src1_sel:DWORD
	v_lshrrev_b16 v33, 4, v33
	v_bfe_i32 v32, v32, 0, 1
	v_cndmask_b32_e64 v37, 0, -1, s12
	v_cndmask_b32_e64 v35, 0, -1, s13
	v_bfe_i32 v33, v33, 0, 1
	v_lshlrev_b16 v37, 8, v37
	v_lshlrev_b16 v35, 8, v35
	v_or_b32_sdwa v38, v32, v37 dst_sel:WORD_1 dst_unused:UNUSED_PAD src0_sel:BYTE_0 src1_sel:DWORD
	v_or_b32_sdwa v36, v33, v35 dst_sel:DWORD dst_unused:UNUSED_PAD src0_sel:BYTE_0 src1_sel:DWORD
	v_lshlrev_b16 v33, 8, v33
	v_lshlrev_b16 v32, 8, v32
	v_or_b32_sdwa v36, v36, v38 dst_sel:DWORD dst_unused:UNUSED_PAD src0_sel:WORD_0 src1_sel:DWORD
	v_xor_b32_e32 v30, v30, v36
	v_lshrrev_b32_e32 v36, 16, v30
	v_and_b32_e32 v38, 0xffffff00, v30
	v_lshlrev_b16 v30, 8, v30
	v_sub_nc_i16 v35, v38, v35 clamp
	v_sub_nc_i16 v30, v30, v33 clamp
	v_and_b32_e32 v33, 0xffffff00, v36
	v_perm_b32 v30, v30, v35, 0xc0c0105
	v_lshlrev_b16 v35, 8, v36
	v_sub_nc_i16 v33, v33, v37 clamp
	v_sub_nc_i16 v32, v35, v32 clamp
	v_lshrrev_b32_e32 v35, 25, v31
	v_perm_b32 v32, v32, v33, 0xc0c0105
	v_bcnt_u32_b32 v35, v35, 0
	v_lshl_or_b32 v30, v32, 16, v30
	v_lshrrev_b32_e32 v32, 13, v31
	v_and_b32_e32 v35, 1, v35
	v_and_b32_e32 v32, 0xff8, v32
	v_alignbit_b32 v31, v35, v31, 25
	global_load_dwordx2 v[32:33], v32, s[0:1]
	v_mul_lo_u32 v35, 0x1010101, v31
	v_and_b32_e32 v31, 0x8040201, v35
	v_lshrrev_b32_e32 v36, 18, v35
	v_cmp_ne_u16_sdwa s0, v31, v20 src0_sel:BYTE_3 src1_sel:DWORD
	v_cmp_ne_u16_sdwa s1, v31, v20 src0_sel:BYTE_1 src1_sel:DWORD
	v_bfe_i32 v31, v35, 0, 1
	v_bfe_i32 v36, v36, 0, 1
	v_cndmask_b32_e64 v39, 0, -1, s0
	v_cndmask_b32_e64 v37, 0, -1, s1
	v_lshlrev_b16 v39, 8, v39
	v_lshlrev_b16 v37, 8, v37
	v_or_b32_sdwa v40, v36, v39 dst_sel:WORD_1 dst_unused:UNUSED_PAD src0_sel:BYTE_0 src1_sel:DWORD
	v_or_b32_sdwa v38, v31, v37 dst_sel:DWORD dst_unused:UNUSED_PAD src0_sel:BYTE_0 src1_sel:DWORD
	v_lshlrev_b16 v31, 8, v31
	v_lshlrev_b16 v36, 8, v36
	v_or_b32_sdwa v38, v38, v40 dst_sel:DWORD dst_unused:UNUSED_PAD src0_sel:WORD_0 src1_sel:DWORD
	s_waitcnt vmcnt(0)
	v_xor_b32_e32 v32, v32, v38
	v_lshrrev_b32_e32 v38, 16, v32
	v_and_b32_e32 v40, 0xffffff00, v32
	v_lshlrev_b16 v32, 8, v32
	v_sub_nc_i16 v37, v40, v37 clamp
	v_sub_nc_i16 v31, v32, v31 clamp
	v_and_b32_e32 v32, 0xffffff00, v38
	v_perm_b32 v31, v31, v37, 0xc0c0105
	v_lshlrev_b16 v37, 8, v38
	v_sub_nc_i16 v32, v32, v39 clamp
	v_sub_nc_i16 v36, v37, v36 clamp
	v_perm_b32 v32, v36, v32, 0xc0c0105
	v_lshl_or_b32 v31, v32, 16, v31
	v_and_b32_e32 v32, 0x80402010, v35
	v_lshrrev_b32_e32 v35, 22, v35
	v_cmp_ne_u16_sdwa s0, v32, v20 src0_sel:BYTE_3 src1_sel:DWORD
	v_cmp_ne_u16_sdwa s1, v32, v20 src0_sel:BYTE_1 src1_sel:DWORD
	v_lshrrev_b16 v32, 4, v32
	v_bfe_i32 v35, v35, 0, 1
	v_cndmask_b32_e64 v38, 0, -1, s0
	v_cndmask_b32_e64 v36, 0, -1, s1
	v_bfe_i32 v32, v32, 0, 1
	v_lshlrev_b16 v38, 8, v38
	v_lshlrev_b16 v36, 8, v36
	v_or_b32_sdwa v39, v35, v38 dst_sel:WORD_1 dst_unused:UNUSED_PAD src0_sel:BYTE_0 src1_sel:DWORD
	v_or_b32_sdwa v37, v32, v36 dst_sel:DWORD dst_unused:UNUSED_PAD src0_sel:BYTE_0 src1_sel:DWORD
	v_lshlrev_b16 v32, 8, v32
	v_lshlrev_b16 v35, 8, v35
	v_or_b32_sdwa v37, v37, v39 dst_sel:DWORD dst_unused:UNUSED_PAD src0_sel:WORD_0 src1_sel:DWORD
	v_xor_b32_e32 v33, v33, v37
	v_lshrrev_b32_e32 v37, 16, v33
	v_and_b32_e32 v39, 0xffffff00, v33
	v_lshlrev_b16 v33, 8, v33
	v_sub_nc_i16 v36, v39, v36 clamp
	v_sub_nc_i16 v32, v33, v32 clamp
	v_and_b32_e32 v33, 0xffffff00, v37
	v_perm_b32 v32, v32, v36, 0xc0c0105
	v_lshlrev_b16 v36, 8, v37
	v_sub_nc_i16 v33, v33, v38 clamp
	v_sub_nc_i16 v35, v36, v35 clamp
	v_perm_b32 v33, v35, v33, 0xc0c0105
	s_clause 0x2
	global_load_dwordx4 v[35:38], v[7:8], off offset:-16
	global_load_dword v10, v[7:8], off offset:16
	global_load_dwordx4 v[39:42], v[7:8], off
	v_add_co_u32 v7, vcc_lo, 0x480, v7
	v_add_co_ci_u32_e64 v8, null, 0, v8, vcc_lo
	v_lshl_or_b32 v33, v33, 16, v32
	v_lshrrev_b32_e32 v32, 4, v34
	v_and_b32_e32 v34, 15, v34
	v_cmp_le_u32_e32 vcc_lo, s10, v17
	s_or_b32 s3, vcc_lo, s3
	s_waitcnt vmcnt(2)
	v_dot4c_i32_i8 v43, v25, v36
	v_mov_b32_e32 v36, 0
	v_cvt_f32_f16_e32 v35, v35
	v_dot4c_i32_i8 v43, v26, v37
	s_waitcnt vmcnt(0)
	v_dot4c_i32_i8 v36, v29, v40
	v_mul_f32_e32 v35, v9, v35
	v_dot4c_i32_i8 v43, v27, v38
	v_dot4c_i32_i8 v36, v30, v41
	v_dot4c_i32_i8 v43, v28, v39
	v_dot4c_i32_i8 v36, v31, v42
	v_mad_u64_u32 v[39:40], null, v21, 36, v[2:3]
	v_add_nc_u32_e32 v21, 32, v21
	v_dot4c_i32_i8 v36, v33, v10
	v_mul_lo_u32 v10, v43, v34
	v_mul_lo_u32 v37, v36, v32
	v_add_nc_u32_e32 v36, v36, v43
	v_mov_b32_e32 v43, 0
	v_lshrrev_b32_e32 v38, 31, v36
	v_add_nc_u32_e32 v36, v36, v38
	v_ashrrev_i32_e32 v36, 1, v36
	v_add3_u32 v10, v37, v10, v36
	v_ashrrev_i32_e32 v36, 31, v10
	v_lshrrev_b32_e32 v36, 30, v36
	v_add_nc_u32_e32 v10, v10, v36
	v_ashrrev_i32_e32 v10, 2, v10
	v_cvt_f32_i32_e32 v10, v10
	v_fmac_f32_e32 v18, v35, v10
	s_clause 0x2
	global_load_dwordx4 v[35:38], v[39:40], off
	global_load_dword v10, v[39:40], off offset:32
	global_load_dwordx4 v[39:42], v[39:40], off offset:16
	s_waitcnt vmcnt(2)
	v_dot4c_i32_i8 v43, v25, v36
	v_mov_b32_e32 v36, 0
	v_cvt_f32_f16_e32 v35, v35
	v_dot4c_i32_i8 v43, v26, v37
	s_waitcnt vmcnt(0)
	v_dot4c_i32_i8 v36, v29, v40
	v_mul_f32_e32 v35, v9, v35
	v_dot4c_i32_i8 v43, v27, v38
	v_dot4c_i32_i8 v36, v30, v41
	v_dot4c_i32_i8 v43, v28, v39
	v_dot4c_i32_i8 v36, v31, v42
	v_mad_u64_u32 v[39:40], null, v23, 36, v[2:3]
	v_add_nc_u32_e32 v23, 32, v23
	v_dot4c_i32_i8 v36, v33, v10
	v_mul_lo_u32 v10, v43, v34
	v_mul_lo_u32 v37, v36, v32
	v_add_nc_u32_e32 v36, v36, v43
	v_mov_b32_e32 v43, 0
	v_lshrrev_b32_e32 v38, 31, v36
	v_add_nc_u32_e32 v36, v36, v38
	v_ashrrev_i32_e32 v36, 1, v36
	v_add3_u32 v10, v37, v10, v36
	v_ashrrev_i32_e32 v36, 31, v10
	v_lshrrev_b32_e32 v36, 30, v36
	v_add_nc_u32_e32 v10, v10, v36
	v_ashrrev_i32_e32 v10, 2, v10
	v_cvt_f32_i32_e32 v10, v10
	v_fmac_f32_e32 v16, v35, v10
	s_clause 0x2
	global_load_dwordx4 v[35:38], v[39:40], off
	global_load_dword v10, v[39:40], off offset:32
	global_load_dwordx4 v[39:42], v[39:40], off offset:16
	;; [unrolled: 33-line block ×6, first 2 shown]
	s_waitcnt vmcnt(2)
	v_dot4c_i32_i8 v43, v25, v36
	v_mov_b32_e32 v25, 0
	v_dot4c_i32_i8 v43, v26, v37
	s_waitcnt vmcnt(0)
	v_dot4c_i32_i8 v25, v29, v40
	v_dot4c_i32_i8 v43, v27, v38
	;; [unrolled: 1-line block ×6, first 2 shown]
	v_mul_lo_u32 v10, v43, v34
	v_mul_lo_u32 v26, v25, v32
	v_add_nc_u32_e32 v25, v25, v43
	v_lshrrev_b32_e32 v27, 31, v25
	v_add_nc_u32_e32 v25, v25, v27
	v_ashrrev_i32_e32 v25, 1, v25
	v_add3_u32 v10, v26, v10, v25
	v_ashrrev_i32_e32 v25, 31, v10
	v_lshrrev_b32_e32 v25, 30, v25
	v_add_nc_u32_e32 v10, v10, v25
	v_cvt_f32_f16_e32 v25, v35
	v_ashrrev_i32_e32 v10, 2, v10
	v_mul_f32_e32 v9, v9, v25
	v_cvt_f32_i32_e32 v10, v10
	v_fmac_f32_e32 v11, v9, v10
	s_andn2_b32 exec_lo, exec_lo, s3
	s_cbranch_execnz .LBB178_2
; %bb.3:
	s_or_b32 exec_lo, exec_lo, s3
.LBB178_4:
	s_or_b32 exec_lo, exec_lo, s9
	s_mov_b32 s1, 0
	; wave barrier
	buffer_gl0_inv
	s_mov_b32 s0, exec_lo
	v_cmpx_eq_u32_e32 0, v1
	s_cbranch_execz .LBB178_19
; %bb.5:
	v_mbcnt_lo_u32_b32 v5, -1, 0
	s_load_dwordx2 s[4:5], s[4:5], 0x38
	s_mul_i32 s0, s14, s7
	s_mul_i32 s3, s18, s8
	s_add_i32 s0, s0, s6
	v_xor_b32_e32 v1, 16, v5
	v_xor_b32_e32 v2, 8, v5
	;; [unrolled: 1-line block ×3, first 2 shown]
	s_add_i32 s0, s0, s3
	s_lshl_b64 s[0:1], s[0:1], 2
	v_cmp_gt_i32_e32 vcc_lo, 32, v1
	v_cndmask_b32_e32 v1, v5, v1, vcc_lo
	v_cmp_gt_i32_e32 vcc_lo, 32, v2
	v_lshlrev_b32_e32 v1, 2, v1
	v_cndmask_b32_e32 v2, v5, v2, vcc_lo
	s_waitcnt lgkmcnt(0)
	s_add_u32 s0, s4, s0
	s_addc_u32 s1, s5, s1
	ds_bpermute_b32 v3, v1, v18
	v_lshlrev_b32_e32 v2, 2, v2
	s_waitcnt lgkmcnt(0)
	v_add_f32_e32 v4, v18, v3
	v_xor_b32_e32 v3, 4, v5
	ds_bpermute_b32 v6, v2, v4
	v_cmp_gt_i32_e32 vcc_lo, 32, v3
	v_cndmask_b32_e32 v3, v5, v3, vcc_lo
	v_lshlrev_b32_e32 v3, 2, v3
	s_waitcnt lgkmcnt(0)
	v_add_f32_e32 v6, v4, v6
	v_xor_b32_e32 v4, 2, v5
	ds_bpermute_b32 v7, v3, v6
	v_cmp_gt_i32_e32 vcc_lo, 32, v4
	v_cndmask_b32_e32 v4, v5, v4, vcc_lo
	v_cmp_gt_i32_e32 vcc_lo, 32, v8
	v_lshlrev_b32_e32 v4, 2, v4
	v_cndmask_b32_e32 v5, v5, v8, vcc_lo
	v_cmp_eq_u32_e32 vcc_lo, 0, v0
	v_lshlrev_b32_e32 v5, 2, v5
	s_waitcnt lgkmcnt(0)
	v_add_f32_e32 v6, v6, v7
	ds_bpermute_b32 v7, v4, v6
	s_waitcnt lgkmcnt(0)
	v_add_f32_e32 v6, v6, v7
	ds_bpermute_b32 v7, v5, v6
	s_and_saveexec_b32 s3, vcc_lo
	s_cbranch_execz .LBB178_7
; %bb.6:
	s_waitcnt lgkmcnt(0)
	v_add_f32_e32 v0, v6, v7
	v_mov_b32_e32 v6, 0
	global_store_dword v6, v0, s[0:1]
.LBB178_7:
	s_or_b32 exec_lo, exec_lo, s3
	ds_bpermute_b32 v0, v1, v16
	s_waitcnt lgkmcnt(0)
	v_add_f32_e32 v0, v16, v0
	ds_bpermute_b32 v6, v2, v0
	s_waitcnt lgkmcnt(0)
	v_add_f32_e32 v0, v0, v6
	;; [unrolled: 3-line block ×4, first 2 shown]
	ds_bpermute_b32 v6, v5, v0
	s_and_saveexec_b32 s4, vcc_lo
	s_cbranch_execz .LBB178_9
; %bb.8:
	s_mov_b32 s3, 0
	s_waitcnt lgkmcnt(0)
	v_add_f32_e32 v0, v0, v6
	s_lshl_b64 s[6:7], s[2:3], 2
	v_mov_b32_e32 v6, 0
	s_add_u32 s6, s0, s6
	s_addc_u32 s7, s1, s7
	global_store_dword v6, v0, s[6:7]
.LBB178_9:
	s_or_b32 exec_lo, exec_lo, s4
	ds_bpermute_b32 v0, v1, v15
	s_waitcnt lgkmcnt(0)
	v_add_f32_e32 v0, v15, v0
	ds_bpermute_b32 v6, v2, v0
	s_waitcnt lgkmcnt(0)
	v_add_f32_e32 v0, v0, v6
	;; [unrolled: 3-line block ×4, first 2 shown]
	ds_bpermute_b32 v6, v5, v0
	s_and_saveexec_b32 s3, vcc_lo
	s_cbranch_execz .LBB178_11
; %bb.10:
	s_lshl_b32 s4, s2, 1
	s_mov_b32 s5, 0
	s_waitcnt lgkmcnt(0)
	v_add_f32_e32 v0, v0, v6
	s_lshl_b64 s[4:5], s[4:5], 2
	v_mov_b32_e32 v6, 0
	s_add_u32 s4, s0, s4
	s_addc_u32 s5, s1, s5
	global_store_dword v6, v0, s[4:5]
.LBB178_11:
	s_or_b32 exec_lo, exec_lo, s3
	ds_bpermute_b32 v0, v1, v14
	s_waitcnt lgkmcnt(0)
	v_add_f32_e32 v0, v14, v0
	ds_bpermute_b32 v6, v2, v0
	s_waitcnt lgkmcnt(0)
	v_add_f32_e32 v0, v0, v6
	;; [unrolled: 3-line block ×4, first 2 shown]
	ds_bpermute_b32 v6, v5, v0
	s_and_saveexec_b32 s3, vcc_lo
	s_cbranch_execz .LBB178_13
; %bb.12:
	s_mul_i32 s4, s2, 3
	s_mov_b32 s5, 0
	s_waitcnt lgkmcnt(0)
	v_add_f32_e32 v0, v0, v6
	s_lshl_b64 s[4:5], s[4:5], 2
	v_mov_b32_e32 v6, 0
	s_add_u32 s4, s0, s4
	s_addc_u32 s5, s1, s5
	global_store_dword v6, v0, s[4:5]
.LBB178_13:
	s_or_b32 exec_lo, exec_lo, s3
	ds_bpermute_b32 v0, v1, v13
	s_waitcnt lgkmcnt(0)
	v_add_f32_e32 v0, v13, v0
	ds_bpermute_b32 v6, v2, v0
	s_waitcnt lgkmcnt(0)
	v_add_f32_e32 v0, v0, v6
	;; [unrolled: 3-line block ×4, first 2 shown]
	ds_bpermute_b32 v6, v5, v0
	s_and_saveexec_b32 s3, vcc_lo
	s_cbranch_execz .LBB178_15
; %bb.14:
	s_lshl_b32 s4, s2, 2
	s_mov_b32 s5, 0
	s_waitcnt lgkmcnt(0)
	v_add_f32_e32 v0, v0, v6
	s_lshl_b64 s[4:5], s[4:5], 2
	v_mov_b32_e32 v6, 0
	s_add_u32 s4, s0, s4
	s_addc_u32 s5, s1, s5
	global_store_dword v6, v0, s[4:5]
.LBB178_15:
	s_or_b32 exec_lo, exec_lo, s3
	ds_bpermute_b32 v0, v1, v12
	s_waitcnt lgkmcnt(0)
	v_add_f32_e32 v0, v12, v0
	ds_bpermute_b32 v6, v2, v0
	s_waitcnt lgkmcnt(0)
	v_add_f32_e32 v0, v0, v6
	;; [unrolled: 3-line block ×4, first 2 shown]
	ds_bpermute_b32 v6, v5, v0
	s_and_saveexec_b32 s3, vcc_lo
	s_cbranch_execz .LBB178_17
; %bb.16:
	s_mul_i32 s4, s2, 5
	s_mov_b32 s5, 0
	s_waitcnt lgkmcnt(0)
	v_add_f32_e32 v0, v0, v6
	s_lshl_b64 s[4:5], s[4:5], 2
	v_mov_b32_e32 v6, 0
	s_add_u32 s4, s0, s4
	s_addc_u32 s5, s1, s5
	global_store_dword v6, v0, s[4:5]
.LBB178_17:
	s_or_b32 exec_lo, exec_lo, s3
	ds_bpermute_b32 v0, v1, v11
	s_waitcnt lgkmcnt(0)
	v_add_f32_e32 v0, v11, v0
	ds_bpermute_b32 v1, v2, v0
	s_waitcnt lgkmcnt(0)
	v_add_f32_e32 v0, v0, v1
	;; [unrolled: 3-line block ×4, first 2 shown]
	ds_bpermute_b32 v1, v5, v0
	s_and_b32 exec_lo, exec_lo, vcc_lo
	s_cbranch_execz .LBB178_19
; %bb.18:
	s_mul_i32 s2, s2, 6
	s_mov_b32 s3, 0
	s_waitcnt lgkmcnt(0)
	v_add_f32_e32 v0, v0, v1
	s_lshl_b64 s[2:3], s[2:3], 2
	v_mov_b32_e32 v1, 0
	s_add_u32 s0, s0, s2
	s_addc_u32 s1, s1, s3
	global_store_dword v1, v0, s[0:1]
.LBB178_19:
	s_endpgm
	.section	.rodata,"a",@progbits
	.p2align	6, 0x0
	.amdhsa_kernel _ZL13mul_mat_vec_qIL9ggml_type17ELi7ELb0ELb0EEvPKvS2_PKi31ggml_cuda_mm_fusion_args_devicePfj15HIP_vector_typeIjLj3EEjjjS8_jjjS8_jjjj
		.amdhsa_group_segment_fixed_size 0
		.amdhsa_private_segment_fixed_size 0
		.amdhsa_kernarg_size 144
		.amdhsa_user_sgpr_count 6
		.amdhsa_user_sgpr_private_segment_buffer 1
		.amdhsa_user_sgpr_dispatch_ptr 0
		.amdhsa_user_sgpr_queue_ptr 0
		.amdhsa_user_sgpr_kernarg_segment_ptr 1
		.amdhsa_user_sgpr_dispatch_id 0
		.amdhsa_user_sgpr_flat_scratch_init 0
		.amdhsa_user_sgpr_private_segment_size 0
		.amdhsa_wavefront_size32 1
		.amdhsa_uses_dynamic_stack 0
		.amdhsa_system_sgpr_private_segment_wavefront_offset 0
		.amdhsa_system_sgpr_workgroup_id_x 1
		.amdhsa_system_sgpr_workgroup_id_y 1
		.amdhsa_system_sgpr_workgroup_id_z 1
		.amdhsa_system_sgpr_workgroup_info 0
		.amdhsa_system_vgpr_workitem_id 1
		.amdhsa_next_free_vgpr 44
		.amdhsa_next_free_sgpr 28
		.amdhsa_reserve_vcc 1
		.amdhsa_reserve_flat_scratch 0
		.amdhsa_float_round_mode_32 0
		.amdhsa_float_round_mode_16_64 0
		.amdhsa_float_denorm_mode_32 3
		.amdhsa_float_denorm_mode_16_64 3
		.amdhsa_dx10_clamp 1
		.amdhsa_ieee_mode 1
		.amdhsa_fp16_overflow 0
		.amdhsa_workgroup_processor_mode 1
		.amdhsa_memory_ordered 1
		.amdhsa_forward_progress 1
		.amdhsa_shared_vgpr_count 0
		.amdhsa_exception_fp_ieee_invalid_op 0
		.amdhsa_exception_fp_denorm_src 0
		.amdhsa_exception_fp_ieee_div_zero 0
		.amdhsa_exception_fp_ieee_overflow 0
		.amdhsa_exception_fp_ieee_underflow 0
		.amdhsa_exception_fp_ieee_inexact 0
		.amdhsa_exception_int_div_zero 0
	.end_amdhsa_kernel
	.section	.text._ZL13mul_mat_vec_qIL9ggml_type17ELi7ELb0ELb0EEvPKvS2_PKi31ggml_cuda_mm_fusion_args_devicePfj15HIP_vector_typeIjLj3EEjjjS8_jjjS8_jjjj,"axG",@progbits,_ZL13mul_mat_vec_qIL9ggml_type17ELi7ELb0ELb0EEvPKvS2_PKi31ggml_cuda_mm_fusion_args_devicePfj15HIP_vector_typeIjLj3EEjjjS8_jjjS8_jjjj,comdat
.Lfunc_end178:
	.size	_ZL13mul_mat_vec_qIL9ggml_type17ELi7ELb0ELb0EEvPKvS2_PKi31ggml_cuda_mm_fusion_args_devicePfj15HIP_vector_typeIjLj3EEjjjS8_jjjS8_jjjj, .Lfunc_end178-_ZL13mul_mat_vec_qIL9ggml_type17ELi7ELb0ELb0EEvPKvS2_PKi31ggml_cuda_mm_fusion_args_devicePfj15HIP_vector_typeIjLj3EEjjjS8_jjjS8_jjjj
                                        ; -- End function
	.set _ZL13mul_mat_vec_qIL9ggml_type17ELi7ELb0ELb0EEvPKvS2_PKi31ggml_cuda_mm_fusion_args_devicePfj15HIP_vector_typeIjLj3EEjjjS8_jjjS8_jjjj.num_vgpr, 44
	.set _ZL13mul_mat_vec_qIL9ggml_type17ELi7ELb0ELb0EEvPKvS2_PKi31ggml_cuda_mm_fusion_args_devicePfj15HIP_vector_typeIjLj3EEjjjS8_jjjS8_jjjj.num_agpr, 0
	.set _ZL13mul_mat_vec_qIL9ggml_type17ELi7ELb0ELb0EEvPKvS2_PKi31ggml_cuda_mm_fusion_args_devicePfj15HIP_vector_typeIjLj3EEjjjS8_jjjS8_jjjj.numbered_sgpr, 28
	.set _ZL13mul_mat_vec_qIL9ggml_type17ELi7ELb0ELb0EEvPKvS2_PKi31ggml_cuda_mm_fusion_args_devicePfj15HIP_vector_typeIjLj3EEjjjS8_jjjS8_jjjj.num_named_barrier, 0
	.set _ZL13mul_mat_vec_qIL9ggml_type17ELi7ELb0ELb0EEvPKvS2_PKi31ggml_cuda_mm_fusion_args_devicePfj15HIP_vector_typeIjLj3EEjjjS8_jjjS8_jjjj.private_seg_size, 0
	.set _ZL13mul_mat_vec_qIL9ggml_type17ELi7ELb0ELb0EEvPKvS2_PKi31ggml_cuda_mm_fusion_args_devicePfj15HIP_vector_typeIjLj3EEjjjS8_jjjS8_jjjj.uses_vcc, 1
	.set _ZL13mul_mat_vec_qIL9ggml_type17ELi7ELb0ELb0EEvPKvS2_PKi31ggml_cuda_mm_fusion_args_devicePfj15HIP_vector_typeIjLj3EEjjjS8_jjjS8_jjjj.uses_flat_scratch, 0
	.set _ZL13mul_mat_vec_qIL9ggml_type17ELi7ELb0ELb0EEvPKvS2_PKi31ggml_cuda_mm_fusion_args_devicePfj15HIP_vector_typeIjLj3EEjjjS8_jjjS8_jjjj.has_dyn_sized_stack, 0
	.set _ZL13mul_mat_vec_qIL9ggml_type17ELi7ELb0ELb0EEvPKvS2_PKi31ggml_cuda_mm_fusion_args_devicePfj15HIP_vector_typeIjLj3EEjjjS8_jjjS8_jjjj.has_recursion, 0
	.set _ZL13mul_mat_vec_qIL9ggml_type17ELi7ELb0ELb0EEvPKvS2_PKi31ggml_cuda_mm_fusion_args_devicePfj15HIP_vector_typeIjLj3EEjjjS8_jjjS8_jjjj.has_indirect_call, 0
	.section	.AMDGPU.csdata,"",@progbits
; Kernel info:
; codeLenInByte = 4696
; TotalNumSgprs: 30
; NumVgprs: 44
; ScratchSize: 0
; MemoryBound: 0
; FloatMode: 240
; IeeeMode: 1
; LDSByteSize: 0 bytes/workgroup (compile time only)
; SGPRBlocks: 0
; VGPRBlocks: 5
; NumSGPRsForWavesPerEU: 30
; NumVGPRsForWavesPerEU: 44
; Occupancy: 16
; WaveLimiterHint : 0
; COMPUTE_PGM_RSRC2:SCRATCH_EN: 0
; COMPUTE_PGM_RSRC2:USER_SGPR: 6
; COMPUTE_PGM_RSRC2:TRAP_HANDLER: 0
; COMPUTE_PGM_RSRC2:TGID_X_EN: 1
; COMPUTE_PGM_RSRC2:TGID_Y_EN: 1
; COMPUTE_PGM_RSRC2:TGID_Z_EN: 1
; COMPUTE_PGM_RSRC2:TIDIG_COMP_CNT: 1
	.section	.text._ZL13mul_mat_vec_qIL9ggml_type17ELi8ELb0ELb0EEvPKvS2_PKi31ggml_cuda_mm_fusion_args_devicePfj15HIP_vector_typeIjLj3EEjjjS8_jjjS8_jjjj,"axG",@progbits,_ZL13mul_mat_vec_qIL9ggml_type17ELi8ELb0ELb0EEvPKvS2_PKi31ggml_cuda_mm_fusion_args_devicePfj15HIP_vector_typeIjLj3EEjjjS8_jjjS8_jjjj,comdat
	.globl	_ZL13mul_mat_vec_qIL9ggml_type17ELi8ELb0ELb0EEvPKvS2_PKi31ggml_cuda_mm_fusion_args_devicePfj15HIP_vector_typeIjLj3EEjjjS8_jjjS8_jjjj ; -- Begin function _ZL13mul_mat_vec_qIL9ggml_type17ELi8ELb0ELb0EEvPKvS2_PKi31ggml_cuda_mm_fusion_args_devicePfj15HIP_vector_typeIjLj3EEjjjS8_jjjS8_jjjj
	.p2align	8
	.type	_ZL13mul_mat_vec_qIL9ggml_type17ELi8ELb0ELb0EEvPKvS2_PKi31ggml_cuda_mm_fusion_args_devicePfj15HIP_vector_typeIjLj3EEjjjS8_jjjS8_jjjj,@function
_ZL13mul_mat_vec_qIL9ggml_type17ELi8ELb0ELb0EEvPKvS2_PKi31ggml_cuda_mm_fusion_args_devicePfj15HIP_vector_typeIjLj3EEjjjS8_jjjS8_jjjj: ; @_ZL13mul_mat_vec_qIL9ggml_type17ELi8ELb0ELb0EEvPKvS2_PKi31ggml_cuda_mm_fusion_args_devicePfj15HIP_vector_typeIjLj3EEjjjS8_jjjS8_jjjj
; %bb.0:
	s_clause 0x5
	s_load_dword s9, s[4:5], 0x40
	s_load_dwordx4 s[0:3], s[4:5], 0x50
	s_load_dword s10, s[4:5], 0x60
	s_load_dwordx4 s[12:15], s[4:5], 0x68
	;; [unrolled: 2-line block ×3, first 2 shown]
	v_lshl_or_b32 v2, v1, 5, v0
	v_mov_b32_e32 v8, 0
	v_mov_b32_e32 v9, 0
	;; [unrolled: 1-line block ×4, first 2 shown]
	v_lshrrev_b32_e32 v15, 3, v2
	v_mov_b32_e32 v12, 0
	v_mov_b32_e32 v13, 0
	v_mov_b32_e32 v14, 0
	v_mov_b32_e32 v16, 0
	s_waitcnt lgkmcnt(0)
	s_lshr_b32 s19, s9, 8
	s_mov_b32 s9, exec_lo
	v_cmpx_gt_u32_e64 s19, v15
	s_cbranch_execz .LBB179_4
; %bb.1:
	s_mul_i32 s13, s13, s7
	s_load_dwordx4 s[20:23], s[4:5], 0x0
	s_mul_hi_u32 s25, s13, 36
	s_mul_i32 s24, s13, 36
	s_mul_i32 s17, s17, s8
	v_mad_u64_u32 v[2:3], null, 0x120, v15, s[24:25]
	v_lshlrev_b32_e32 v4, 1, v0
	v_and_b32_e32 v17, 7, v0
	s_mul_hi_u32 s3, s3, s7
	s_mul_hi_u32 s15, s15, s8
	s_add_i32 s3, s7, s3
	v_and_b32_e32 v4, 14, v4
	v_mad_u64_u32 v[2:3], null, s17, 36, v[2:3]
	s_add_i32 s15, s8, s15
	s_mul_i32 s27, s17, 36
	v_lshlrev_b32_e32 v6, 1, v4
	s_lshr_b32 s3, s3, s10
	s_lshr_b32 s10, s15, s11
	s_mul_hi_u32 s26, s17, 36
	v_mad_u64_u32 v[4:5], null, v17, 36, v[2:3]
	s_mul_i32 s3, s3, s12
	s_mul_i32 s12, s10, s16
	s_waitcnt lgkmcnt(0)
	s_add_u32 s10, s22, s27
	s_addc_u32 s11, s23, s26
	s_add_u32 s10, s10, s24
	s_addc_u32 s11, s11, s25
	v_add_co_u32 v4, vcc_lo, s22, v4
	v_add_co_ci_u32_e64 v5, null, s23, v5, vcc_lo
	v_mad_u64_u32 v[2:3], null, v17, 36, s[10:11]
	v_add_co_u32 v4, vcc_lo, v4, 16
	s_mul_i32 s0, s0, s6
	v_mov_b32_e32 v18, 0
	v_lshlrev_b32_e32 v19, 3, v15
	v_add_co_ci_u32_e64 v5, null, 0, v5, vcc_lo
	v_lshlrev_b32_e32 v20, 1, v6
	v_mov_b32_e32 v8, 0
	v_mov_b32_e32 v9, 0
	;; [unrolled: 1-line block ×8, first 2 shown]
	s_add_i32 s3, s3, s0
	s_mul_i32 s13, s1, 5
	s_add_i32 s0, s12, s3
	s_mul_i32 s3, s1, 7
	s_mul_i32 s12, s1, 6
	s_lshl_b32 s15, s1, 2
	s_mul_i32 s16, s1, 3
	s_lshl_b32 s22, s1, 1
	s_mov_b32 s17, 0
.LBB179_2:                              ; =>This Inner Loop Header: Depth=1
	v_add_nc_u32_e32 v6, s0, v15
	s_getpc_b64 s[10:11]
	s_add_u32 s10, s10, _ZL10iq2xs_grid@rel32@lo+4
	s_addc_u32 s11, s11, _ZL10iq2xs_grid@rel32@hi+12
	v_mov_b32_e32 v39, 0
	v_add_nc_u32_e32 v15, 4, v15
	v_mad_i64_i32 v[6:7], null, 0x4a, v6, s[20:21]
	v_add_co_u32 v21, vcc_lo, v6, v20
	v_add_co_ci_u32_e64 v22, null, 0, v7, vcc_lo
	global_load_dwordx2 v[26:27], v[21:22], off offset:2
	v_add_co_u32 v21, vcc_lo, v6, v17
	v_add_co_ci_u32_e64 v22, null, 0, v7, vcc_lo
	s_clause 0x1
	global_load_ushort v6, v[6:7], off
	global_load_ubyte v30, v[21:22], off offset:66
	s_waitcnt vmcnt(2)
	v_and_b32_e32 v21, 0x1ff, v26
	v_bfe_u32 v23, v26, 9, 7
	v_lshlrev_b32_e32 v21, 3, v21
	v_bcnt_u32_b32 v24, v23, 0
	s_waitcnt vmcnt(1)
	v_cvt_f32_f16_e32 v6, v6
	global_load_dwordx2 v[21:22], v21, s[10:11]
	v_and_b32_e32 v24, 1, v24
	v_lshl_or_b32 v23, v24, 7, v23
	v_mul_lo_u32 v23, 0x1010101, v23
	v_and_b32_e32 v24, 0x8040201, v23
	v_lshrrev_b32_e32 v25, 18, v23
	v_cmp_ne_u16_sdwa s23, v24, v18 src0_sel:BYTE_3 src1_sel:DWORD
	v_cmp_ne_u16_sdwa s24, v24, v18 src0_sel:BYTE_1 src1_sel:DWORD
	v_bfe_i32 v24, v23, 0, 1
	v_bfe_i32 v25, v25, 0, 1
	v_cndmask_b32_e64 v31, 0, -1, s23
	v_cndmask_b32_e64 v28, 0, -1, s24
	v_lshlrev_b16 v31, 8, v31
	v_lshlrev_b16 v28, 8, v28
	v_or_b32_sdwa v32, v25, v31 dst_sel:WORD_1 dst_unused:UNUSED_PAD src0_sel:BYTE_0 src1_sel:DWORD
	v_or_b32_sdwa v29, v24, v28 dst_sel:DWORD dst_unused:UNUSED_PAD src0_sel:BYTE_0 src1_sel:DWORD
	v_lshlrev_b16 v24, 8, v24
	v_lshlrev_b16 v25, 8, v25
	v_or_b32_sdwa v29, v29, v32 dst_sel:DWORD dst_unused:UNUSED_PAD src0_sel:WORD_0 src1_sel:DWORD
	s_waitcnt vmcnt(0)
	v_xor_b32_e32 v21, v21, v29
	v_lshrrev_b32_e32 v29, 16, v21
	v_and_b32_e32 v32, 0xffffff00, v21
	v_lshlrev_b16 v21, 8, v21
	v_sub_nc_i16 v28, v32, v28 clamp
	v_sub_nc_i16 v21, v21, v24 clamp
	v_and_b32_e32 v24, 0xffffff00, v29
	v_perm_b32 v21, v21, v28, 0xc0c0105
	v_lshlrev_b16 v28, 8, v29
	v_sub_nc_i16 v24, v24, v31 clamp
	v_sub_nc_i16 v25, v28, v25 clamp
	v_perm_b32 v24, v25, v24, 0xc0c0105
	v_lshl_or_b32 v21, v24, 16, v21
	v_and_b32_e32 v24, 0x80402010, v23
	v_lshrrev_b32_e32 v23, 22, v23
	v_cmp_ne_u16_sdwa s23, v24, v18 src0_sel:BYTE_3 src1_sel:DWORD
	v_cmp_ne_u16_sdwa s24, v24, v18 src0_sel:BYTE_1 src1_sel:DWORD
	v_lshrrev_b16 v24, 4, v24
	v_bfe_i32 v23, v23, 0, 1
	v_cndmask_b32_e64 v29, 0, -1, s23
	v_cndmask_b32_e64 v25, 0, -1, s24
	v_bfe_i32 v24, v24, 0, 1
	v_lshlrev_b16 v29, 8, v29
	v_lshlrev_b16 v25, 8, v25
	v_or_b32_sdwa v31, v23, v29 dst_sel:WORD_1 dst_unused:UNUSED_PAD src0_sel:BYTE_0 src1_sel:DWORD
	v_or_b32_sdwa v28, v24, v25 dst_sel:DWORD dst_unused:UNUSED_PAD src0_sel:BYTE_0 src1_sel:DWORD
	v_lshlrev_b16 v24, 8, v24
	v_lshlrev_b16 v23, 8, v23
	v_or_b32_sdwa v28, v28, v31 dst_sel:DWORD dst_unused:UNUSED_PAD src0_sel:WORD_0 src1_sel:DWORD
	v_xor_b32_e32 v22, v22, v28
	v_lshrrev_b32_e32 v28, 16, v22
	v_and_b32_e32 v31, 0xffffff00, v22
	v_lshlrev_b16 v22, 8, v22
	v_sub_nc_i16 v25, v31, v25 clamp
	v_sub_nc_i16 v22, v22, v24 clamp
	v_and_b32_e32 v24, 0xffffff00, v28
	v_perm_b32 v22, v22, v25, 0xc0c0105
	v_lshlrev_b16 v25, 8, v28
	v_sub_nc_i16 v24, v24, v29 clamp
	v_sub_nc_i16 v23, v25, v23 clamp
	v_lshrrev_b32_e32 v25, 25, v26
	v_perm_b32 v23, v23, v24, 0xc0c0105
	v_bcnt_u32_b32 v25, v25, 0
	v_lshl_or_b32 v22, v23, 16, v22
	v_lshrrev_b32_e32 v23, 13, v26
	v_and_b32_e32 v25, 1, v25
	v_and_b32_e32 v23, 0xff8, v23
	v_alignbit_b32 v25, v25, v26, 25
	global_load_dwordx2 v[23:24], v23, s[10:11]
	v_mul_lo_u32 v25, 0x1010101, v25
	v_and_b32_e32 v26, 0x8040201, v25
	v_lshrrev_b32_e32 v28, 18, v25
	v_cmp_ne_u16_sdwa s23, v26, v18 src0_sel:BYTE_3 src1_sel:DWORD
	v_cmp_ne_u16_sdwa s24, v26, v18 src0_sel:BYTE_1 src1_sel:DWORD
	v_bfe_i32 v26, v25, 0, 1
	v_bfe_i32 v28, v28, 0, 1
	v_cndmask_b32_e64 v32, 0, -1, s23
	v_cndmask_b32_e64 v29, 0, -1, s24
	v_lshlrev_b16 v32, 8, v32
	v_lshlrev_b16 v29, 8, v29
	v_or_b32_sdwa v33, v28, v32 dst_sel:WORD_1 dst_unused:UNUSED_PAD src0_sel:BYTE_0 src1_sel:DWORD
	v_or_b32_sdwa v31, v26, v29 dst_sel:DWORD dst_unused:UNUSED_PAD src0_sel:BYTE_0 src1_sel:DWORD
	v_lshlrev_b16 v26, 8, v26
	v_lshlrev_b16 v28, 8, v28
	v_or_b32_sdwa v31, v31, v33 dst_sel:DWORD dst_unused:UNUSED_PAD src0_sel:WORD_0 src1_sel:DWORD
	s_waitcnt vmcnt(0)
	v_xor_b32_e32 v23, v23, v31
	v_lshrrev_b32_e32 v31, 16, v23
	v_and_b32_e32 v33, 0xffffff00, v23
	v_lshlrev_b16 v23, 8, v23
	v_sub_nc_i16 v29, v33, v29 clamp
	v_sub_nc_i16 v23, v23, v26 clamp
	v_and_b32_e32 v26, 0xffffff00, v31
	v_perm_b32 v23, v23, v29, 0xc0c0105
	v_lshlrev_b16 v29, 8, v31
	v_sub_nc_i16 v26, v26, v32 clamp
	v_sub_nc_i16 v28, v29, v28 clamp
	v_perm_b32 v26, v28, v26, 0xc0c0105
	v_lshl_or_b32 v23, v26, 16, v23
	v_and_b32_e32 v26, 0x80402010, v25
	v_lshrrev_b32_e32 v25, 22, v25
	v_cmp_ne_u16_sdwa s23, v26, v18 src0_sel:BYTE_3 src1_sel:DWORD
	v_cmp_ne_u16_sdwa s24, v26, v18 src0_sel:BYTE_1 src1_sel:DWORD
	v_lshrrev_b16 v26, 4, v26
	v_bfe_i32 v25, v25, 0, 1
	v_cndmask_b32_e64 v31, 0, -1, s23
	v_cndmask_b32_e64 v28, 0, -1, s24
	v_bfe_i32 v26, v26, 0, 1
	v_lshlrev_b16 v31, 8, v31
	v_lshlrev_b16 v28, 8, v28
	v_or_b32_sdwa v32, v25, v31 dst_sel:WORD_1 dst_unused:UNUSED_PAD src0_sel:BYTE_0 src1_sel:DWORD
	v_or_b32_sdwa v29, v26, v28 dst_sel:DWORD dst_unused:UNUSED_PAD src0_sel:BYTE_0 src1_sel:DWORD
	v_lshlrev_b16 v26, 8, v26
	v_lshlrev_b16 v25, 8, v25
	v_or_b32_sdwa v29, v29, v32 dst_sel:DWORD dst_unused:UNUSED_PAD src0_sel:WORD_0 src1_sel:DWORD
	v_xor_b32_e32 v24, v24, v29
	v_lshrrev_b32_e32 v29, 16, v24
	v_and_b32_e32 v32, 0xffffff00, v24
	v_lshlrev_b16 v24, 8, v24
	v_sub_nc_i16 v28, v32, v28 clamp
	v_sub_nc_i16 v24, v24, v26 clamp
	v_and_b32_e32 v26, 0xffffff00, v29
	v_perm_b32 v24, v24, v28, 0xc0c0105
	v_lshlrev_b16 v28, 8, v29
	v_sub_nc_i16 v26, v26, v31 clamp
	v_sub_nc_i16 v25, v28, v25 clamp
	v_bfe_u32 v28, v27, 9, 7
	v_perm_b32 v25, v25, v26, 0xc0c0105
	v_bcnt_u32_b32 v29, v28, 0
	v_lshl_or_b32 v24, v25, 16, v24
	v_and_b32_e32 v25, 0x1ff, v27
	v_and_b32_e32 v29, 1, v29
	v_lshlrev_b32_e32 v25, 3, v25
	v_lshl_or_b32 v28, v29, 7, v28
	global_load_dwordx2 v[25:26], v25, s[10:11]
	v_mul_lo_u32 v28, 0x1010101, v28
	v_and_b32_e32 v29, 0x8040201, v28
	v_lshrrev_b32_e32 v31, 18, v28
	v_cmp_ne_u16_sdwa s23, v29, v18 src0_sel:BYTE_3 src1_sel:DWORD
	v_cmp_ne_u16_sdwa s24, v29, v18 src0_sel:BYTE_1 src1_sel:DWORD
	v_bfe_i32 v29, v28, 0, 1
	v_bfe_i32 v31, v31, 0, 1
	v_cndmask_b32_e64 v34, 0, -1, s23
	v_cndmask_b32_e64 v32, 0, -1, s24
	v_lshlrev_b16 v34, 8, v34
	v_lshlrev_b16 v32, 8, v32
	v_or_b32_sdwa v35, v31, v34 dst_sel:WORD_1 dst_unused:UNUSED_PAD src0_sel:BYTE_0 src1_sel:DWORD
	v_or_b32_sdwa v33, v29, v32 dst_sel:DWORD dst_unused:UNUSED_PAD src0_sel:BYTE_0 src1_sel:DWORD
	v_lshlrev_b16 v29, 8, v29
	v_lshlrev_b16 v31, 8, v31
	v_or_b32_sdwa v33, v33, v35 dst_sel:DWORD dst_unused:UNUSED_PAD src0_sel:WORD_0 src1_sel:DWORD
	s_waitcnt vmcnt(0)
	v_xor_b32_e32 v25, v25, v33
	v_lshrrev_b32_e32 v33, 16, v25
	v_and_b32_e32 v35, 0xffffff00, v25
	v_lshlrev_b16 v25, 8, v25
	v_sub_nc_i16 v32, v35, v32 clamp
	v_sub_nc_i16 v25, v25, v29 clamp
	v_and_b32_e32 v29, 0xffffff00, v33
	v_perm_b32 v25, v25, v32, 0xc0c0105
	v_lshlrev_b16 v32, 8, v33
	v_sub_nc_i16 v29, v29, v34 clamp
	v_sub_nc_i16 v31, v32, v31 clamp
	v_perm_b32 v29, v31, v29, 0xc0c0105
	v_lshl_or_b32 v25, v29, 16, v25
	v_and_b32_e32 v29, 0x80402010, v28
	v_lshrrev_b32_e32 v28, 22, v28
	v_cmp_ne_u16_sdwa s23, v29, v18 src0_sel:BYTE_3 src1_sel:DWORD
	v_cmp_ne_u16_sdwa s24, v29, v18 src0_sel:BYTE_1 src1_sel:DWORD
	v_lshrrev_b16 v29, 4, v29
	v_bfe_i32 v28, v28, 0, 1
	v_cndmask_b32_e64 v33, 0, -1, s23
	v_cndmask_b32_e64 v31, 0, -1, s24
	v_bfe_i32 v29, v29, 0, 1
	v_lshlrev_b16 v33, 8, v33
	v_lshlrev_b16 v31, 8, v31
	v_or_b32_sdwa v34, v28, v33 dst_sel:WORD_1 dst_unused:UNUSED_PAD src0_sel:BYTE_0 src1_sel:DWORD
	v_or_b32_sdwa v32, v29, v31 dst_sel:DWORD dst_unused:UNUSED_PAD src0_sel:BYTE_0 src1_sel:DWORD
	v_lshlrev_b16 v29, 8, v29
	v_lshlrev_b16 v28, 8, v28
	v_or_b32_sdwa v32, v32, v34 dst_sel:DWORD dst_unused:UNUSED_PAD src0_sel:WORD_0 src1_sel:DWORD
	v_xor_b32_e32 v26, v26, v32
	v_lshrrev_b32_e32 v32, 16, v26
	v_and_b32_e32 v34, 0xffffff00, v26
	v_lshlrev_b16 v26, 8, v26
	v_sub_nc_i16 v31, v34, v31 clamp
	v_sub_nc_i16 v26, v26, v29 clamp
	v_and_b32_e32 v29, 0xffffff00, v32
	v_perm_b32 v26, v26, v31, 0xc0c0105
	v_lshlrev_b16 v31, 8, v32
	v_sub_nc_i16 v29, v29, v33 clamp
	v_sub_nc_i16 v28, v31, v28 clamp
	v_lshrrev_b32_e32 v31, 25, v27
	v_perm_b32 v28, v28, v29, 0xc0c0105
	v_bcnt_u32_b32 v31, v31, 0
	v_lshl_or_b32 v26, v28, 16, v26
	v_lshrrev_b32_e32 v28, 13, v27
	v_and_b32_e32 v31, 1, v31
	v_and_b32_e32 v28, 0xff8, v28
	v_alignbit_b32 v27, v31, v27, 25
	global_load_dwordx2 v[28:29], v28, s[10:11]
	v_mul_lo_u32 v31, 0x1010101, v27
	v_and_b32_e32 v27, 0x8040201, v31
	v_lshrrev_b32_e32 v32, 18, v31
	v_cmp_ne_u16_sdwa s10, v27, v18 src0_sel:BYTE_3 src1_sel:DWORD
	v_cmp_ne_u16_sdwa s11, v27, v18 src0_sel:BYTE_1 src1_sel:DWORD
	v_bfe_i32 v27, v31, 0, 1
	v_bfe_i32 v32, v32, 0, 1
	v_cndmask_b32_e64 v35, 0, -1, s10
	v_cndmask_b32_e64 v33, 0, -1, s11
	v_lshlrev_b16 v35, 8, v35
	v_lshlrev_b16 v33, 8, v33
	v_or_b32_sdwa v36, v32, v35 dst_sel:WORD_1 dst_unused:UNUSED_PAD src0_sel:BYTE_0 src1_sel:DWORD
	v_or_b32_sdwa v34, v27, v33 dst_sel:DWORD dst_unused:UNUSED_PAD src0_sel:BYTE_0 src1_sel:DWORD
	v_lshlrev_b16 v27, 8, v27
	v_lshlrev_b16 v32, 8, v32
	v_or_b32_sdwa v34, v34, v36 dst_sel:DWORD dst_unused:UNUSED_PAD src0_sel:WORD_0 src1_sel:DWORD
	s_waitcnt vmcnt(0)
	v_xor_b32_e32 v28, v28, v34
	v_lshrrev_b32_e32 v34, 16, v28
	v_and_b32_e32 v36, 0xffffff00, v28
	v_lshlrev_b16 v28, 8, v28
	v_sub_nc_i16 v33, v36, v33 clamp
	v_sub_nc_i16 v27, v28, v27 clamp
	v_and_b32_e32 v28, 0xffffff00, v34
	v_perm_b32 v27, v27, v33, 0xc0c0105
	v_lshlrev_b16 v33, 8, v34
	v_sub_nc_i16 v28, v28, v35 clamp
	v_sub_nc_i16 v32, v33, v32 clamp
	v_perm_b32 v28, v32, v28, 0xc0c0105
	v_lshl_or_b32 v27, v28, 16, v27
	v_and_b32_e32 v28, 0x80402010, v31
	v_lshrrev_b32_e32 v31, 22, v31
	v_cmp_ne_u16_sdwa s10, v28, v18 src0_sel:BYTE_3 src1_sel:DWORD
	v_cmp_ne_u16_sdwa s11, v28, v18 src0_sel:BYTE_1 src1_sel:DWORD
	v_lshrrev_b16 v28, 4, v28
	v_bfe_i32 v31, v31, 0, 1
	v_cndmask_b32_e64 v34, 0, -1, s10
	v_cndmask_b32_e64 v32, 0, -1, s11
	v_bfe_i32 v28, v28, 0, 1
	v_lshlrev_b16 v34, 8, v34
	v_lshlrev_b16 v32, 8, v32
	v_or_b32_sdwa v35, v31, v34 dst_sel:WORD_1 dst_unused:UNUSED_PAD src0_sel:BYTE_0 src1_sel:DWORD
	v_or_b32_sdwa v33, v28, v32 dst_sel:DWORD dst_unused:UNUSED_PAD src0_sel:BYTE_0 src1_sel:DWORD
	v_lshlrev_b16 v28, 8, v28
	v_lshlrev_b16 v31, 8, v31
	v_or_b32_sdwa v33, v33, v35 dst_sel:DWORD dst_unused:UNUSED_PAD src0_sel:WORD_0 src1_sel:DWORD
	v_xor_b32_e32 v29, v29, v33
	v_lshrrev_b32_e32 v33, 16, v29
	v_and_b32_e32 v35, 0xffffff00, v29
	v_lshlrev_b16 v29, 8, v29
	v_sub_nc_i16 v32, v35, v32 clamp
	v_sub_nc_i16 v28, v29, v28 clamp
	v_and_b32_e32 v29, 0xffffff00, v33
	v_perm_b32 v28, v28, v32, 0xc0c0105
	v_lshlrev_b16 v32, 8, v33
	v_sub_nc_i16 v29, v29, v34 clamp
	v_sub_nc_i16 v31, v32, v31 clamp
	v_perm_b32 v29, v31, v29, 0xc0c0105
	s_clause 0x2
	global_load_dwordx4 v[31:34], v[4:5], off offset:-16
	global_load_dword v7, v[4:5], off offset:16
	global_load_dwordx4 v[35:38], v[4:5], off
	v_add_co_u32 v4, vcc_lo, 0x480, v4
	v_add_co_ci_u32_e64 v5, null, 0, v5, vcc_lo
	v_lshl_or_b32 v29, v29, 16, v28
	v_lshrrev_b32_e32 v28, 4, v30
	v_and_b32_e32 v30, 15, v30
	v_cmp_le_u32_e32 vcc_lo, s19, v15
	s_or_b32 s17, vcc_lo, s17
	s_waitcnt vmcnt(2)
	v_dot4c_i32_i8 v39, v21, v32
	v_mov_b32_e32 v32, 0
	v_cvt_f32_f16_e32 v31, v31
	v_dot4c_i32_i8 v39, v22, v33
	s_waitcnt vmcnt(0)
	v_dot4c_i32_i8 v32, v25, v36
	v_mul_f32_e32 v31, v6, v31
	v_dot4c_i32_i8 v39, v23, v34
	v_dot4c_i32_i8 v32, v26, v37
	v_dot4c_i32_i8 v39, v24, v35
	v_dot4c_i32_i8 v32, v27, v38
	v_dot4c_i32_i8 v32, v29, v7
	v_mul_lo_u32 v7, v39, v30
	v_mul_lo_u32 v33, v32, v28
	v_add_nc_u32_e32 v32, v32, v39
	v_mov_b32_e32 v39, 0
	v_lshrrev_b32_e32 v34, 31, v32
	v_add_nc_u32_e32 v32, v32, v34
	v_ashrrev_i32_e32 v32, 1, v32
	v_add3_u32 v7, v33, v7, v32
	v_ashrrev_i32_e32 v32, 31, v7
	v_lshrrev_b32_e32 v32, 30, v32
	v_add_nc_u32_e32 v7, v7, v32
	v_ashrrev_i32_e32 v7, 2, v7
	v_cvt_f32_i32_e32 v7, v7
	v_fmac_f32_e32 v16, v31, v7
	v_add_nc_u32_e32 v7, s1, v19
	v_mad_u64_u32 v[35:36], null, v7, 36, v[2:3]
	s_clause 0x2
	global_load_dwordx4 v[31:34], v[35:36], off
	global_load_dword v7, v[35:36], off offset:32
	global_load_dwordx4 v[35:38], v[35:36], off offset:16
	s_waitcnt vmcnt(2)
	v_dot4c_i32_i8 v39, v21, v32
	v_mov_b32_e32 v32, 0
	v_cvt_f32_f16_e32 v31, v31
	v_dot4c_i32_i8 v39, v22, v33
	s_waitcnt vmcnt(0)
	v_dot4c_i32_i8 v32, v25, v36
	v_mul_f32_e32 v31, v6, v31
	v_dot4c_i32_i8 v39, v23, v34
	v_dot4c_i32_i8 v32, v26, v37
	v_dot4c_i32_i8 v39, v24, v35
	v_dot4c_i32_i8 v32, v27, v38
	v_dot4c_i32_i8 v32, v29, v7
	v_mul_lo_u32 v7, v39, v30
	v_mul_lo_u32 v33, v32, v28
	v_add_nc_u32_e32 v32, v32, v39
	v_mov_b32_e32 v39, 0
	v_lshrrev_b32_e32 v34, 31, v32
	v_add_nc_u32_e32 v32, v32, v34
	v_ashrrev_i32_e32 v32, 1, v32
	v_add3_u32 v7, v33, v7, v32
	v_ashrrev_i32_e32 v32, 31, v7
	v_lshrrev_b32_e32 v32, 30, v32
	v_add_nc_u32_e32 v7, v7, v32
	v_ashrrev_i32_e32 v7, 2, v7
	v_cvt_f32_i32_e32 v7, v7
	v_fmac_f32_e32 v14, v31, v7
	v_add_nc_u32_e32 v7, s22, v19
	v_mad_u64_u32 v[35:36], null, v7, 36, v[2:3]
	s_clause 0x2
	global_load_dwordx4 v[31:34], v[35:36], off
	global_load_dword v7, v[35:36], off offset:32
	global_load_dwordx4 v[35:38], v[35:36], off offset:16
	;; [unrolled: 33-line block ×6, first 2 shown]
	s_waitcnt vmcnt(2)
	v_dot4c_i32_i8 v39, v21, v32
	v_mov_b32_e32 v32, 0
	v_cvt_f32_f16_e32 v31, v31
	v_dot4c_i32_i8 v39, v22, v33
	s_waitcnt vmcnt(0)
	v_dot4c_i32_i8 v32, v25, v36
	v_mul_f32_e32 v31, v6, v31
	v_dot4c_i32_i8 v39, v23, v34
	v_dot4c_i32_i8 v32, v26, v37
	;; [unrolled: 1-line block ×5, first 2 shown]
	v_mul_lo_u32 v7, v39, v30
	v_mul_lo_u32 v33, v32, v28
	v_add_nc_u32_e32 v32, v32, v39
	v_mov_b32_e32 v39, 0
	v_lshrrev_b32_e32 v34, 31, v32
	v_add_nc_u32_e32 v32, v32, v34
	v_ashrrev_i32_e32 v32, 1, v32
	v_add3_u32 v7, v33, v7, v32
	v_ashrrev_i32_e32 v32, 31, v7
	v_lshrrev_b32_e32 v32, 30, v32
	v_add_nc_u32_e32 v7, v7, v32
	v_ashrrev_i32_e32 v7, 2, v7
	v_cvt_f32_i32_e32 v7, v7
	v_fmac_f32_e32 v9, v31, v7
	v_add_nc_u32_e32 v7, s3, v19
	v_add_nc_u32_e32 v19, 32, v19
	v_mad_u64_u32 v[35:36], null, v7, 36, v[2:3]
	s_clause 0x2
	global_load_dwordx4 v[31:34], v[35:36], off
	global_load_dword v7, v[35:36], off offset:32
	global_load_dwordx4 v[35:38], v[35:36], off offset:16
	s_waitcnt vmcnt(2)
	v_dot4c_i32_i8 v39, v21, v32
	v_mov_b32_e32 v21, 0
	v_dot4c_i32_i8 v39, v22, v33
	s_waitcnt vmcnt(0)
	v_dot4c_i32_i8 v21, v25, v36
	v_dot4c_i32_i8 v39, v23, v34
	;; [unrolled: 1-line block ×6, first 2 shown]
	v_mul_lo_u32 v7, v39, v30
	v_mul_lo_u32 v22, v21, v28
	v_add_nc_u32_e32 v21, v21, v39
	v_lshrrev_b32_e32 v23, 31, v21
	v_add_nc_u32_e32 v21, v21, v23
	v_ashrrev_i32_e32 v21, 1, v21
	v_add3_u32 v7, v22, v7, v21
	v_ashrrev_i32_e32 v21, 31, v7
	v_lshrrev_b32_e32 v21, 30, v21
	v_add_nc_u32_e32 v7, v7, v21
	v_cvt_f32_f16_e32 v21, v31
	v_ashrrev_i32_e32 v7, 2, v7
	v_mul_f32_e32 v6, v6, v21
	v_cvt_f32_i32_e32 v7, v7
	v_fmac_f32_e32 v8, v6, v7
	s_andn2_b32 exec_lo, exec_lo, s17
	s_cbranch_execnz .LBB179_2
; %bb.3:
	s_or_b32 exec_lo, exec_lo, s17
.LBB179_4:
	s_or_b32 exec_lo, exec_lo, s9
	s_mov_b32 s1, 0
	; wave barrier
	buffer_gl0_inv
	s_mov_b32 s0, exec_lo
	v_cmpx_eq_u32_e32 0, v1
	s_cbranch_execz .LBB179_21
; %bb.5:
	v_mbcnt_lo_u32_b32 v5, -1, 0
	s_load_dwordx2 s[4:5], s[4:5], 0x38
	s_mul_i32 s0, s14, s7
	s_mul_i32 s3, s18, s8
	s_add_i32 s0, s0, s6
	v_xor_b32_e32 v1, 16, v5
	v_xor_b32_e32 v2, 8, v5
	;; [unrolled: 1-line block ×3, first 2 shown]
	s_add_i32 s0, s0, s3
	s_lshl_b64 s[0:1], s[0:1], 2
	v_cmp_gt_i32_e32 vcc_lo, 32, v1
	v_cndmask_b32_e32 v1, v5, v1, vcc_lo
	v_cmp_gt_i32_e32 vcc_lo, 32, v2
	v_lshlrev_b32_e32 v1, 2, v1
	v_cndmask_b32_e32 v2, v5, v2, vcc_lo
	s_waitcnt lgkmcnt(0)
	s_add_u32 s0, s4, s0
	s_addc_u32 s1, s5, s1
	ds_bpermute_b32 v3, v1, v16
	v_lshlrev_b32_e32 v2, 2, v2
	s_waitcnt lgkmcnt(0)
	v_add_f32_e32 v4, v16, v3
	v_xor_b32_e32 v3, 4, v5
	ds_bpermute_b32 v6, v2, v4
	v_cmp_gt_i32_e32 vcc_lo, 32, v3
	v_cndmask_b32_e32 v3, v5, v3, vcc_lo
	v_lshlrev_b32_e32 v3, 2, v3
	s_waitcnt lgkmcnt(0)
	v_add_f32_e32 v6, v4, v6
	v_xor_b32_e32 v4, 2, v5
	ds_bpermute_b32 v7, v3, v6
	v_cmp_gt_i32_e32 vcc_lo, 32, v4
	v_cndmask_b32_e32 v4, v5, v4, vcc_lo
	v_cmp_gt_i32_e32 vcc_lo, 32, v15
	v_lshlrev_b32_e32 v4, 2, v4
	v_cndmask_b32_e32 v5, v5, v15, vcc_lo
	v_cmp_eq_u32_e32 vcc_lo, 0, v0
	v_lshlrev_b32_e32 v5, 2, v5
	s_waitcnt lgkmcnt(0)
	v_add_f32_e32 v6, v6, v7
	ds_bpermute_b32 v7, v4, v6
	s_waitcnt lgkmcnt(0)
	v_add_f32_e32 v6, v6, v7
	ds_bpermute_b32 v7, v5, v6
	s_and_saveexec_b32 s3, vcc_lo
	s_cbranch_execz .LBB179_7
; %bb.6:
	s_waitcnt lgkmcnt(0)
	v_add_f32_e32 v0, v6, v7
	v_mov_b32_e32 v6, 0
	global_store_dword v6, v0, s[0:1]
.LBB179_7:
	s_or_b32 exec_lo, exec_lo, s3
	ds_bpermute_b32 v0, v1, v14
	s_waitcnt lgkmcnt(0)
	v_add_f32_e32 v0, v14, v0
	ds_bpermute_b32 v6, v2, v0
	s_waitcnt lgkmcnt(0)
	v_add_f32_e32 v0, v0, v6
	;; [unrolled: 3-line block ×4, first 2 shown]
	ds_bpermute_b32 v6, v5, v0
	s_and_saveexec_b32 s4, vcc_lo
	s_cbranch_execz .LBB179_9
; %bb.8:
	s_mov_b32 s3, 0
	s_waitcnt lgkmcnt(0)
	v_add_f32_e32 v0, v0, v6
	s_lshl_b64 s[6:7], s[2:3], 2
	v_mov_b32_e32 v6, 0
	s_add_u32 s6, s0, s6
	s_addc_u32 s7, s1, s7
	global_store_dword v6, v0, s[6:7]
.LBB179_9:
	s_or_b32 exec_lo, exec_lo, s4
	ds_bpermute_b32 v0, v1, v13
	s_waitcnt lgkmcnt(0)
	v_add_f32_e32 v0, v13, v0
	ds_bpermute_b32 v6, v2, v0
	s_waitcnt lgkmcnt(0)
	v_add_f32_e32 v0, v0, v6
	;; [unrolled: 3-line block ×4, first 2 shown]
	ds_bpermute_b32 v6, v5, v0
	s_and_saveexec_b32 s3, vcc_lo
	s_cbranch_execz .LBB179_11
; %bb.10:
	s_lshl_b32 s4, s2, 1
	s_mov_b32 s5, 0
	s_waitcnt lgkmcnt(0)
	v_add_f32_e32 v0, v0, v6
	s_lshl_b64 s[4:5], s[4:5], 2
	v_mov_b32_e32 v6, 0
	s_add_u32 s4, s0, s4
	s_addc_u32 s5, s1, s5
	global_store_dword v6, v0, s[4:5]
.LBB179_11:
	s_or_b32 exec_lo, exec_lo, s3
	ds_bpermute_b32 v0, v1, v12
	s_waitcnt lgkmcnt(0)
	v_add_f32_e32 v0, v12, v0
	ds_bpermute_b32 v6, v2, v0
	s_waitcnt lgkmcnt(0)
	v_add_f32_e32 v0, v0, v6
	;; [unrolled: 3-line block ×4, first 2 shown]
	ds_bpermute_b32 v6, v5, v0
	s_and_saveexec_b32 s3, vcc_lo
	s_cbranch_execz .LBB179_13
; %bb.12:
	s_mul_i32 s4, s2, 3
	s_mov_b32 s5, 0
	s_waitcnt lgkmcnt(0)
	v_add_f32_e32 v0, v0, v6
	s_lshl_b64 s[4:5], s[4:5], 2
	v_mov_b32_e32 v6, 0
	s_add_u32 s4, s0, s4
	s_addc_u32 s5, s1, s5
	global_store_dword v6, v0, s[4:5]
.LBB179_13:
	s_or_b32 exec_lo, exec_lo, s3
	ds_bpermute_b32 v0, v1, v11
	s_waitcnt lgkmcnt(0)
	v_add_f32_e32 v0, v11, v0
	ds_bpermute_b32 v6, v2, v0
	s_waitcnt lgkmcnt(0)
	v_add_f32_e32 v0, v0, v6
	;; [unrolled: 3-line block ×4, first 2 shown]
	ds_bpermute_b32 v6, v5, v0
	s_and_saveexec_b32 s3, vcc_lo
	s_cbranch_execz .LBB179_15
; %bb.14:
	s_lshl_b32 s4, s2, 2
	s_mov_b32 s5, 0
	s_waitcnt lgkmcnt(0)
	v_add_f32_e32 v0, v0, v6
	s_lshl_b64 s[4:5], s[4:5], 2
	v_mov_b32_e32 v6, 0
	s_add_u32 s4, s0, s4
	s_addc_u32 s5, s1, s5
	global_store_dword v6, v0, s[4:5]
.LBB179_15:
	s_or_b32 exec_lo, exec_lo, s3
	ds_bpermute_b32 v0, v1, v10
	s_waitcnt lgkmcnt(0)
	v_add_f32_e32 v0, v10, v0
	ds_bpermute_b32 v6, v2, v0
	s_waitcnt lgkmcnt(0)
	v_add_f32_e32 v0, v0, v6
	;; [unrolled: 3-line block ×4, first 2 shown]
	ds_bpermute_b32 v6, v5, v0
	s_and_saveexec_b32 s3, vcc_lo
	s_cbranch_execz .LBB179_17
; %bb.16:
	s_mul_i32 s4, s2, 5
	s_mov_b32 s5, 0
	s_waitcnt lgkmcnt(0)
	v_add_f32_e32 v0, v0, v6
	s_lshl_b64 s[4:5], s[4:5], 2
	v_mov_b32_e32 v6, 0
	s_add_u32 s4, s0, s4
	s_addc_u32 s5, s1, s5
	global_store_dword v6, v0, s[4:5]
.LBB179_17:
	s_or_b32 exec_lo, exec_lo, s3
	ds_bpermute_b32 v0, v1, v9
	s_waitcnt lgkmcnt(0)
	v_add_f32_e32 v0, v9, v0
	ds_bpermute_b32 v6, v2, v0
	s_waitcnt lgkmcnt(0)
	v_add_f32_e32 v0, v0, v6
	;; [unrolled: 3-line block ×4, first 2 shown]
	ds_bpermute_b32 v6, v5, v0
	s_and_saveexec_b32 s3, vcc_lo
	s_cbranch_execz .LBB179_19
; %bb.18:
	s_mul_i32 s4, s2, 6
	s_mov_b32 s5, 0
	s_waitcnt lgkmcnt(0)
	v_add_f32_e32 v0, v0, v6
	s_lshl_b64 s[4:5], s[4:5], 2
	v_mov_b32_e32 v6, 0
	s_add_u32 s4, s0, s4
	s_addc_u32 s5, s1, s5
	global_store_dword v6, v0, s[4:5]
.LBB179_19:
	s_or_b32 exec_lo, exec_lo, s3
	ds_bpermute_b32 v0, v1, v8
	s_waitcnt lgkmcnt(0)
	v_add_f32_e32 v0, v8, v0
	ds_bpermute_b32 v1, v2, v0
	s_waitcnt lgkmcnt(0)
	v_add_f32_e32 v0, v0, v1
	;; [unrolled: 3-line block ×4, first 2 shown]
	ds_bpermute_b32 v1, v5, v0
	s_and_b32 exec_lo, exec_lo, vcc_lo
	s_cbranch_execz .LBB179_21
; %bb.20:
	s_mul_i32 s2, s2, 7
	s_mov_b32 s3, 0
	s_waitcnt lgkmcnt(0)
	v_add_f32_e32 v0, v0, v1
	s_lshl_b64 s[2:3], s[2:3], 2
	v_mov_b32_e32 v1, 0
	s_add_u32 s0, s0, s2
	s_addc_u32 s1, s1, s3
	global_store_dword v1, v0, s[0:1]
.LBB179_21:
	s_endpgm
	.section	.rodata,"a",@progbits
	.p2align	6, 0x0
	.amdhsa_kernel _ZL13mul_mat_vec_qIL9ggml_type17ELi8ELb0ELb0EEvPKvS2_PKi31ggml_cuda_mm_fusion_args_devicePfj15HIP_vector_typeIjLj3EEjjjS8_jjjS8_jjjj
		.amdhsa_group_segment_fixed_size 0
		.amdhsa_private_segment_fixed_size 0
		.amdhsa_kernarg_size 144
		.amdhsa_user_sgpr_count 6
		.amdhsa_user_sgpr_private_segment_buffer 1
		.amdhsa_user_sgpr_dispatch_ptr 0
		.amdhsa_user_sgpr_queue_ptr 0
		.amdhsa_user_sgpr_kernarg_segment_ptr 1
		.amdhsa_user_sgpr_dispatch_id 0
		.amdhsa_user_sgpr_flat_scratch_init 0
		.amdhsa_user_sgpr_private_segment_size 0
		.amdhsa_wavefront_size32 1
		.amdhsa_uses_dynamic_stack 0
		.amdhsa_system_sgpr_private_segment_wavefront_offset 0
		.amdhsa_system_sgpr_workgroup_id_x 1
		.amdhsa_system_sgpr_workgroup_id_y 1
		.amdhsa_system_sgpr_workgroup_id_z 1
		.amdhsa_system_sgpr_workgroup_info 0
		.amdhsa_system_vgpr_workitem_id 1
		.amdhsa_next_free_vgpr 40
		.amdhsa_next_free_sgpr 28
		.amdhsa_reserve_vcc 1
		.amdhsa_reserve_flat_scratch 0
		.amdhsa_float_round_mode_32 0
		.amdhsa_float_round_mode_16_64 0
		.amdhsa_float_denorm_mode_32 3
		.amdhsa_float_denorm_mode_16_64 3
		.amdhsa_dx10_clamp 1
		.amdhsa_ieee_mode 1
		.amdhsa_fp16_overflow 0
		.amdhsa_workgroup_processor_mode 1
		.amdhsa_memory_ordered 1
		.amdhsa_forward_progress 1
		.amdhsa_shared_vgpr_count 0
		.amdhsa_exception_fp_ieee_invalid_op 0
		.amdhsa_exception_fp_denorm_src 0
		.amdhsa_exception_fp_ieee_div_zero 0
		.amdhsa_exception_fp_ieee_overflow 0
		.amdhsa_exception_fp_ieee_underflow 0
		.amdhsa_exception_fp_ieee_inexact 0
		.amdhsa_exception_int_div_zero 0
	.end_amdhsa_kernel
	.section	.text._ZL13mul_mat_vec_qIL9ggml_type17ELi8ELb0ELb0EEvPKvS2_PKi31ggml_cuda_mm_fusion_args_devicePfj15HIP_vector_typeIjLj3EEjjjS8_jjjS8_jjjj,"axG",@progbits,_ZL13mul_mat_vec_qIL9ggml_type17ELi8ELb0ELb0EEvPKvS2_PKi31ggml_cuda_mm_fusion_args_devicePfj15HIP_vector_typeIjLj3EEjjjS8_jjjS8_jjjj,comdat
.Lfunc_end179:
	.size	_ZL13mul_mat_vec_qIL9ggml_type17ELi8ELb0ELb0EEvPKvS2_PKi31ggml_cuda_mm_fusion_args_devicePfj15HIP_vector_typeIjLj3EEjjjS8_jjjS8_jjjj, .Lfunc_end179-_ZL13mul_mat_vec_qIL9ggml_type17ELi8ELb0ELb0EEvPKvS2_PKi31ggml_cuda_mm_fusion_args_devicePfj15HIP_vector_typeIjLj3EEjjjS8_jjjS8_jjjj
                                        ; -- End function
	.set _ZL13mul_mat_vec_qIL9ggml_type17ELi8ELb0ELb0EEvPKvS2_PKi31ggml_cuda_mm_fusion_args_devicePfj15HIP_vector_typeIjLj3EEjjjS8_jjjS8_jjjj.num_vgpr, 40
	.set _ZL13mul_mat_vec_qIL9ggml_type17ELi8ELb0ELb0EEvPKvS2_PKi31ggml_cuda_mm_fusion_args_devicePfj15HIP_vector_typeIjLj3EEjjjS8_jjjS8_jjjj.num_agpr, 0
	.set _ZL13mul_mat_vec_qIL9ggml_type17ELi8ELb0ELb0EEvPKvS2_PKi31ggml_cuda_mm_fusion_args_devicePfj15HIP_vector_typeIjLj3EEjjjS8_jjjS8_jjjj.numbered_sgpr, 28
	.set _ZL13mul_mat_vec_qIL9ggml_type17ELi8ELb0ELb0EEvPKvS2_PKi31ggml_cuda_mm_fusion_args_devicePfj15HIP_vector_typeIjLj3EEjjjS8_jjjS8_jjjj.num_named_barrier, 0
	.set _ZL13mul_mat_vec_qIL9ggml_type17ELi8ELb0ELb0EEvPKvS2_PKi31ggml_cuda_mm_fusion_args_devicePfj15HIP_vector_typeIjLj3EEjjjS8_jjjS8_jjjj.private_seg_size, 0
	.set _ZL13mul_mat_vec_qIL9ggml_type17ELi8ELb0ELb0EEvPKvS2_PKi31ggml_cuda_mm_fusion_args_devicePfj15HIP_vector_typeIjLj3EEjjjS8_jjjS8_jjjj.uses_vcc, 1
	.set _ZL13mul_mat_vec_qIL9ggml_type17ELi8ELb0ELb0EEvPKvS2_PKi31ggml_cuda_mm_fusion_args_devicePfj15HIP_vector_typeIjLj3EEjjjS8_jjjS8_jjjj.uses_flat_scratch, 0
	.set _ZL13mul_mat_vec_qIL9ggml_type17ELi8ELb0ELb0EEvPKvS2_PKi31ggml_cuda_mm_fusion_args_devicePfj15HIP_vector_typeIjLj3EEjjjS8_jjjS8_jjjj.has_dyn_sized_stack, 0
	.set _ZL13mul_mat_vec_qIL9ggml_type17ELi8ELb0ELb0EEvPKvS2_PKi31ggml_cuda_mm_fusion_args_devicePfj15HIP_vector_typeIjLj3EEjjjS8_jjjS8_jjjj.has_recursion, 0
	.set _ZL13mul_mat_vec_qIL9ggml_type17ELi8ELb0ELb0EEvPKvS2_PKi31ggml_cuda_mm_fusion_args_devicePfj15HIP_vector_typeIjLj3EEjjjS8_jjjS8_jjjj.has_indirect_call, 0
	.section	.AMDGPU.csdata,"",@progbits
; Kernel info:
; codeLenInByte = 4972
; TotalNumSgprs: 30
; NumVgprs: 40
; ScratchSize: 0
; MemoryBound: 0
; FloatMode: 240
; IeeeMode: 1
; LDSByteSize: 0 bytes/workgroup (compile time only)
; SGPRBlocks: 0
; VGPRBlocks: 4
; NumSGPRsForWavesPerEU: 30
; NumVGPRsForWavesPerEU: 40
; Occupancy: 16
; WaveLimiterHint : 0
; COMPUTE_PGM_RSRC2:SCRATCH_EN: 0
; COMPUTE_PGM_RSRC2:USER_SGPR: 6
; COMPUTE_PGM_RSRC2:TRAP_HANDLER: 0
; COMPUTE_PGM_RSRC2:TGID_X_EN: 1
; COMPUTE_PGM_RSRC2:TGID_Y_EN: 1
; COMPUTE_PGM_RSRC2:TGID_Z_EN: 1
; COMPUTE_PGM_RSRC2:TIDIG_COMP_CNT: 1
	.section	.text._ZL17mul_mat_vec_q_moeIL9ggml_type22ELi2EEvPKvS2_PKiPfj15HIP_vector_typeIjLj3EEjjjjjjjjj,"axG",@progbits,_ZL17mul_mat_vec_q_moeIL9ggml_type22ELi2EEvPKvS2_PKiPfj15HIP_vector_typeIjLj3EEjjjjjjjjj,comdat
	.globl	_ZL17mul_mat_vec_q_moeIL9ggml_type22ELi2EEvPKvS2_PKiPfj15HIP_vector_typeIjLj3EEjjjjjjjjj ; -- Begin function _ZL17mul_mat_vec_q_moeIL9ggml_type22ELi2EEvPKvS2_PKiPfj15HIP_vector_typeIjLj3EEjjjjjjjjj
	.p2align	8
	.type	_ZL17mul_mat_vec_q_moeIL9ggml_type22ELi2EEvPKvS2_PKiPfj15HIP_vector_typeIjLj3EEjjjjjjjjj,@function
_ZL17mul_mat_vec_q_moeIL9ggml_type22ELi2EEvPKvS2_PKiPfj15HIP_vector_typeIjLj3EEjjjjjjjjj: ; @_ZL17mul_mat_vec_q_moeIL9ggml_type22ELi2EEvPKvS2_PKiPfj15HIP_vector_typeIjLj3EEjjjjjjjjj
; %bb.0:
	s_load_dwordx8 s[16:23], s[4:5], 0x30
	s_mov_b32 s0, exec_lo
	s_waitcnt lgkmcnt(0)
	v_cmpx_gt_u32_e64 s23, v1
	s_cbranch_execz .LBB180_7
; %bb.1:
	s_clause 0x2
	s_load_dword s1, s[4:5], 0x20
	s_load_dword s0, s[4:5], 0x50
	s_load_dwordx8 s[8:15], s[4:5], 0x0
	v_lshrrev_b32_e32 v15, 3, v0
	v_mov_b32_e32 v16, 0
	v_mov_b32_e32 v17, 0
	s_mov_b32 s2, s7
	s_lshl_b32 s3, s6, 1
	s_mov_b32 s6, exec_lo
	s_waitcnt lgkmcnt(0)
	s_lshr_b32 s7, s1, 8
	v_cmpx_gt_u32_e64 s7, v15
	s_cbranch_execz .LBB180_5
; %bb.2:
	v_mad_u64_u32 v[9:10], null, s0, v1, s[2:3]
	v_mov_b32_e32 v10, 0
	s_load_dwordx4 s[24:27], s[4:5], 0x24
	v_lshrrev_b32_e32 v5, 3, v0
	v_and_b32_e32 v18, 7, v0
	v_mov_b32_e32 v17, 0
	v_mov_b32_e32 v16, 0
	v_lshlrev_b64 v[2:3], 2, v[9:10]
	s_mov_b32 s4, 0
	v_add_co_u32 v2, vcc_lo, s12, v2
	v_add_co_ci_u32_e64 v3, null, s13, v3, vcc_lo
	global_load_dword v4, v[2:3], off
	v_mul_lo_u32 v2, s18, v1
	s_waitcnt lgkmcnt(0)
	s_mul_hi_u32 s0, s24, s2
	s_add_i32 s0, s2, s0
	s_lshr_b32 s0, s0, s25
	s_mul_i32 s0, s0, s26
	v_mad_u64_u32 v[2:3], null, v2, 36, 0
	s_sub_i32 s0, s2, s0
	s_mul_i32 s0, s0, s21
	v_mad_u64_u32 v[2:3], null, 0x120, v5, v[2:3]
	v_lshlrev_b32_e32 v5, 1, v18
	v_lshlrev_b32_e32 v19, 1, v5
	v_mad_u64_u32 v[2:3], null, s0, 36, v[2:3]
	s_add_i32 s0, s3, 1
	v_mad_u64_u32 v[2:3], null, v18, 36, v[2:3]
	v_add_co_u32 v2, vcc_lo, s10, v2
	v_add_co_ci_u32_e64 v3, null, s11, v3, vcc_lo
	s_waitcnt vmcnt(0)
	v_mul_lo_u32 v4, v4, s20
	v_mad_u64_u32 v[11:12], null, s3, s17, v[4:5]
	v_mad_u64_u32 v[12:13], null, s17, s0, v[4:5]
	v_add_co_u32 v13, vcc_lo, v2, 32
	v_add_co_ci_u32_e64 v14, null, 0, v3, vcc_lo
.LBB180_3:                              ; =>This Inner Loop Header: Depth=1
	v_add_nc_u32_e32 v20, v11, v15
	v_add_nc_u32_e32 v21, v12, v15
	s_clause 0x1
	global_load_dwordx4 v[2:5], v[13:14], off offset:-32
	global_load_dwordx4 v[6:9], v[13:14], off offset:-16
	s_getpc_b64 s[0:1]
	s_add_u32 s0, s0, _ZL9iq2s_grid@rel32@lo+4
	s_addc_u32 s1, s1, _ZL9iq2s_grid@rel32@hi+12
	v_add_nc_u32_e32 v15, 4, v15
	v_mad_i64_i32 v[24:25], null, 0x52, v20, s[8:9]
	v_mad_i64_i32 v[20:21], null, 0x52, v21, s[8:9]
	v_add_co_u32 v22, vcc_lo, v24, v19
	v_add_co_ci_u32_e64 v23, null, 0, v25, vcc_lo
	v_add_co_u32 v26, vcc_lo, v24, v18
	v_add_co_ci_u32_e64 v27, null, 0, v25, vcc_lo
	;; [unrolled: 2-line block ×4, first 2 shown]
	s_clause 0x9
	global_load_dword v32, v[22:23], off offset:2
	global_load_dword v33, v[22:23], off offset:34
	global_load_ubyte v34, v[26:27], off offset:66
	global_load_dword v35, v[28:29], off offset:2
	global_load_ubyte v36, v[30:31], off offset:66
	global_load_dword v28, v[28:29], off offset:34
	global_load_ushort v20, v[20:21], off
	global_load_ubyte v23, v[26:27], off offset:74
	global_load_ushort v21, v[24:25], off
	global_load_ubyte v22, v[30:31], off offset:74
	s_waitcnt vmcnt(11)
	v_cvt_f32_f16_e32 v2, v2
	s_waitcnt vmcnt(9)
	v_and_b32_e32 v26, 0xff, v32
	s_waitcnt vmcnt(8)
	v_lshrrev_b32_e32 v31, 2, v33
	v_lshrrev_b32_e32 v41, 1, v33
	s_waitcnt vmcnt(7)
	v_lshlrev_b32_e32 v27, 8, v34
	v_and_b32_e32 v29, 0xff, v33
	v_lshlrev_b32_e32 v30, 21, v33
	v_bfe_u32 v39, v32, 8, 8
	v_lshlrev_b32_e32 v40, 6, v34
	v_lshrrev_b32_e32 v24, 24, v32
	v_bfe_u32 v32, v32, 16, 8
	v_lshlrev_b32_e32 v47, 4, v34
	v_lshlrev_b32_e32 v34, 2, v34
	v_lshrrev_b32_e32 v25, 16, v33
	v_lshlrev_b32_e32 v37, 17, v33
	v_lshrrev_b32_e32 v38, 6, v33
	v_lshrrev_b32_e32 v42, 11, v33
	;; [unrolled: 1-line block ×16, first 2 shown]
	s_waitcnt vmcnt(6)
	v_and_b32_e32 v57, 0xff, v35
	s_waitcnt vmcnt(5)
	v_lshlrev_b32_e32 v58, 8, v36
	s_waitcnt vmcnt(4)
	v_and_b32_e32 v59, 0xff, v28
	v_lshlrev_b32_e32 v61, 17, v28
	v_bfe_u32 v62, v35, 8, 8
	v_lshlrev_b32_e32 v63, 6, v36
	v_bfe_u32 v72, v35, 16, 8
	v_lshlrev_b32_e32 v73, 4, v36
	v_lshrrev_b32_e32 v35, 24, v35
	v_lshlrev_b32_e32 v36, 2, v36
	v_bfe_i32 v84, v31, 0, 1
	v_and_b32_e32 v31, 0x180, v41
	v_lshrrev_b32_e32 v79, 17, v28
	v_lshrrev_b32_e32 v80, 24, v28
	v_and_or_b32 v26, 0x300, v27, v26
	v_lshlrev_b32_e32 v60, 21, v28
	v_lshrrev_b32_e32 v71, 14, v28
	v_lshl_or_b32 v27, v29, 7, v30
	v_and_or_b32 v30, 0x300, v40, v39
	v_lshrrev_b32_e32 v64, 2, v28
	v_lshrrev_b32_e32 v65, 6, v28
	;; [unrolled: 1-line block ×16, first 2 shown]
	v_and_or_b32 v32, 0x300, v47, v32
	v_and_or_b32 v24, 0x300, v34, v24
	v_lshl_or_b32 v29, v29, 3, v37
	v_bfe_i32 v85, v38, 0, 1
	v_bfe_i32 v37, v42, 0, 1
	v_and_b32_e32 v38, 0x180, v44
	v_lshl_or_b32 v42, v25, 21, v48
	v_lshl_or_b32 v25, v25, 17, v50
	v_bfe_i32 v44, v51, 0, 1
	v_lshl_or_b32 v34, v53, 21, v52
	v_bfe_i32 v48, v33, 0, 1
	v_and_or_b32 v33, 0x300, v58, v57
	v_lshl_or_b32 v50, v59, 3, v61
	v_and_or_b32 v51, 0x300, v63, v62
	v_and_or_b32 v61, 0x300, v73, v72
	;; [unrolled: 1-line block ×3, first 2 shown]
	v_cmp_ne_u16_sdwa s5, v31, v10 src0_sel:BYTE_1 src1_sel:DWORD
	v_bfe_i32 v39, v45, 0, 1
	v_cmp_ne_u16_e32 vcc_lo, 0, v55
	v_lshl_or_b32 v36, v80, 21, v79
	v_lshlrev_b32_e32 v26, 3, v26
	v_bfe_i32 v40, v43, 0, 1
	v_bfe_i32 v43, v49, 0, 1
	v_lshl_or_b32 v49, v59, 7, v60
	v_bfe_i32 v60, v71, 0, 1
	v_and_b32_e32 v71, 0x1800180, v27
	v_bfe_u32 v72, v27, 24, 1
	v_lshlrev_b32_e32 v27, 3, v30
	v_bfe_i32 v59, v70, 0, 1
	v_bfe_i32 v70, v28, 0, 1
	v_lshlrev_b32_e32 v28, 3, v32
	v_lshlrev_b32_e32 v30, 3, v24
	v_bfe_i32 v41, v46, 0, 1
	v_lshrrev_b16 v45, 8, v54
	v_lshrrev_b16 v46, 7, v54
	v_bfe_i32 v47, v56, 0, 1
	v_bfe_i32 v52, v64, 0, 1
	v_and_b32_e32 v54, 0x180, v66
	v_bfe_i32 v56, v67, 0, 1
	v_bfe_i32 v57, v68, 0, 1
	v_lshl_or_b32 v63, v74, 17, v76
	v_bfe_i32 v64, v77, 0, 1
	v_lshrrev_b16 v66, 8, v82
	v_lshrrev_b16 v67, 7, v82
	v_bfe_i32 v68, v83, 0, 1
	v_lshlrev_b16 v76, 8, v37
	v_lshrrev_b16 v77, 7, v38
	v_bfe_u32 v82, v34, 24, 1
	v_and_b32_e32 v83, 0x1800180, v34
	v_lshlrev_b32_e32 v32, 3, v33
	v_cndmask_b32_e64 v90, 0, -1, s5
	v_cmp_ne_u16_sdwa s5, v38, v10 src0_sel:BYTE_1 src1_sel:DWORD
	v_lshlrev_b32_e32 v34, 3, v51
	v_lshlrev_b32_e32 v37, 3, v61
	;; [unrolled: 1-line block ×3, first 2 shown]
	v_bfe_i32 v53, v65, 0, 1
	v_cndmask_b32_e64 v55, 0, -1, vcc_lo
	v_lshl_or_b32 v62, v74, 21, v75
	v_bfe_i32 v65, v78, 0, 1
	v_cmp_ne_u16_e32 vcc_lo, 0, v81
	v_and_b32_e32 v73, 0x1800180, v29
	v_bfe_u32 v74, v29, 24, 1
	v_lshrrev_b16 v75, 7, v31
	v_lshlrev_b16 v78, 8, v39
	v_and_b32_e32 v80, 0x1800180, v25
	v_bfe_u32 v81, v25, 24, 1
	v_bfe_u32 v61, v36, 24, 1
	v_and_b32_e32 v93, 0x1800180, v36
	s_clause 0x7
	global_load_dwordx2 v[24:25], v26, s[0:1]
	global_load_dwordx2 v[26:27], v27, s[0:1]
	;; [unrolled: 1-line block ×8, first 2 shown]
	v_and_b32_e32 v58, 0x180, v69
	v_cndmask_b32_e64 v69, 0, -1, vcc_lo
	v_cmp_ne_u16_e32 vcc_lo, 0, v72
	v_and_b32_e32 v79, 0x1800180, v42
	v_bfe_u32 v42, v42, 24, 1
	v_cmp_ne_u16_sdwa s0, v71, v10 src0_sel:BYTE_1 src1_sel:DWORD
	v_lshrrev_b16 v94, 7, v71
	v_cndmask_b32_e64 v72, 0, -1, vcc_lo
	v_cmp_ne_u16_e32 vcc_lo, 0, v74
	v_lshrrev_b16 v95, 7, v73
	v_cndmask_b32_e64 v71, 0, -1, s0
	v_cmp_ne_u16_sdwa s0, v73, v10 src0_sel:BYTE_1 src1_sel:DWORD
	v_bfe_u32 v86, v49, 24, 1
	v_cndmask_b32_e64 v74, 0, -1, vcc_lo
	v_cmp_ne_u16_e32 vcc_lo, 0, v42
	v_lshrrev_b16 v98, 7, v79
	v_cndmask_b32_e64 v73, 0, -1, s0
	v_cmp_ne_u16_sdwa s0, v79, v10 src0_sel:BYTE_1 src1_sel:DWORD
	v_bfe_u32 v87, v50, 24, 1
	v_cndmask_b32_e64 v42, 0, -1, vcc_lo
	v_cmp_ne_u16_e32 vcc_lo, 0, v81
	v_and_b32_e32 v49, 0x1800180, v49
	v_cndmask_b32_e64 v79, 0, -1, s0
	v_cmp_ne_u16_sdwa s0, v80, v10 src0_sel:BYTE_1 src1_sel:DWORD
	v_lshrrev_b16 v99, 7, v80
	v_cndmask_b32_e64 v81, 0, -1, vcc_lo
	v_cmp_ne_u16_e32 vcc_lo, 0, v82
	v_and_b32_e32 v50, 0x1800180, v50
	v_cndmask_b32_e64 v80, 0, -1, s0
	v_cmp_ne_u16_sdwa s0, v83, v10 src0_sel:BYTE_1 src1_sel:DWORD
	v_bfe_u32 v51, v62, 24, 1
	v_cndmask_b32_e64 v82, 0, -1, vcc_lo
	v_cmp_ne_u16_e32 vcc_lo, 0, v86
	v_and_b32_e32 v62, 0x1800180, v62
	v_lshrrev_b16 v100, 7, v83
	v_cndmask_b32_e64 v83, 0, -1, s0
	v_cmp_ne_u16_sdwa s0, v49, v10 src0_sel:BYTE_1 src1_sel:DWORD
	v_cndmask_b32_e64 v86, 0, -1, vcc_lo
	v_cmp_ne_u16_e32 vcc_lo, 0, v87
	v_bfe_u32 v92, v63, 24, 1
	v_lshrrev_b16 v101, 7, v49
	v_cndmask_b32_e64 v49, 0, -1, s0
	v_cmp_ne_u16_sdwa s0, v50, v10 src0_sel:BYTE_1 src1_sel:DWORD
	v_cndmask_b32_e64 v87, 0, -1, vcc_lo
	v_cmp_ne_u16_e32 vcc_lo, 0, v51
	v_cmp_ne_u16_sdwa s1, v62, v10 src0_sel:BYTE_1 src1_sel:DWORD
	v_lshrrev_b16 v51, 7, v62
	v_bfe_i32 v62, v94, 0, 1
	v_lshlrev_b16 v71, 8, v71
	v_lshlrev_b16 v72, 8, v72
	v_lshrrev_b16 v102, 7, v50
	v_cndmask_b32_e64 v50, 0, -1, s0
	v_cmp_ne_u16_e64 s0, 0, v92
	v_bfe_i32 v92, v95, 0, 1
	v_or_b32_sdwa v94, v62, v71 dst_sel:DWORD dst_unused:UNUSED_PAD src0_sel:BYTE_0 src1_sel:DWORD
	v_or_b32_sdwa v95, v84, v72 dst_sel:WORD_1 dst_unused:UNUSED_PAD src0_sel:BYTE_0 src1_sel:DWORD
	v_cndmask_b32_e64 v91, 0, -1, s5
	v_bfe_i32 v75, v75, 0, 1
	v_lshlrev_b16 v90, 8, v90
	v_or_b32_sdwa v96, v40, v76 dst_sel:WORD_1 dst_unused:UNUSED_PAD src0_sel:BYTE_0 src1_sel:DWORD
	v_or_b32_sdwa v94, v94, v95 dst_sel:DWORD dst_unused:UNUSED_PAD src0_sel:WORD_0 src1_sel:DWORD
	v_bfe_i32 v77, v77, 0, 1
	v_lshlrev_b16 v91, 8, v91
	v_bfe_i32 v45, v45, 0, 1
	v_or_b32_sdwa v97, v41, v78 dst_sel:WORD_1 dst_unused:UNUSED_PAD src0_sel:BYTE_0 src1_sel:DWORD
	v_bfe_i32 v46, v46, 0, 1
	v_lshlrev_b16 v55, 8, v55
	v_bfe_i32 v98, v98, 0, 1
	v_lshlrev_b16 v45, 8, v45
	v_lshlrev_b16 v79, 8, v79
	v_lshlrev_b16 v42, 8, v42
	v_or_b32_sdwa v103, v47, v55 dst_sel:WORD_1 dst_unused:UNUSED_PAD src0_sel:BYTE_0 src1_sel:DWORD
	v_bfe_i32 v99, v99, 0, 1
	v_lshlrev_b16 v80, 8, v80
	v_lshlrev_b16 v81, 8, v81
	v_bfe_i32 v100, v100, 0, 1
	v_lshlrev_b16 v83, 8, v83
	v_lshlrev_b16 v82, 8, v82
	;; [unrolled: 3-line block ×3, first 2 shown]
	v_cmp_ne_u16_sdwa s5, v54, v10 src0_sel:BYTE_1 src1_sel:DWORD
	v_bfe_i32 v102, v102, 0, 1
	v_lshlrev_b16 v50, 8, v50
	v_lshlrev_b16 v87, 8, v87
	v_lshrrev_b16 v88, 7, v54
	v_cndmask_b32_e64 v54, 0, -1, s5
	v_cmp_ne_u16_sdwa s5, v58, v10 src0_sel:BYTE_1 src1_sel:DWORD
	v_lshlrev_b16 v56, 8, v56
	v_lshrrev_b16 v89, 7, v58
	v_bfe_i32 v88, v88, 0, 1
	v_lshlrev_b16 v54, 8, v54
	v_cndmask_b32_e64 v58, 0, -1, s5
	v_lshlrev_b16 v73, 8, v73
	v_lshlrev_b16 v74, 8, v74
	;; [unrolled: 1-line block ×3, first 2 shown]
	v_and_b32_e32 v63, 0x1800180, v63
	v_or_b32_sdwa v104, v57, v56 dst_sel:WORD_1 dst_unused:UNUSED_PAD src0_sel:BYTE_0 src1_sel:DWORD
	v_bfe_i32 v89, v89, 0, 1
	v_lshlrev_b16 v58, 8, v58
	v_or_b32_sdwa v106, v92, v73 dst_sel:DWORD dst_unused:UNUSED_PAD src0_sel:BYTE_0 src1_sel:DWORD
	v_or_b32_sdwa v95, v85, v74 dst_sel:WORD_1 dst_unused:UNUSED_PAD src0_sel:BYTE_0 src1_sel:DWORD
	v_bfe_i32 v66, v66, 0, 1
	v_or_b32_sdwa v105, v60, v59 dst_sel:WORD_1 dst_unused:UNUSED_PAD src0_sel:BYTE_0 src1_sel:DWORD
	v_bfe_i32 v67, v67, 0, 1
	v_lshlrev_b16 v69, 8, v69
	v_or_b32_sdwa v95, v106, v95 dst_sel:DWORD dst_unused:UNUSED_PAD src0_sel:WORD_0 src1_sel:DWORD
	v_cndmask_b32_e64 v106, 0, -1, s1
	v_cmp_ne_u16_sdwa s1, v63, v10 src0_sel:BYTE_1 src1_sel:DWORD
	v_lshlrev_b16 v66, 8, v66
	v_bfe_i32 v51, v51, 0, 1
	v_lshlrev_b16 v62, 8, v62
	v_lshlrev_b16 v106, 8, v106
	v_lshlrev_b16 v92, 8, v92
	v_lshlrev_b16 v85, 8, v85
	v_lshlrev_b16 v40, 8, v40
	v_lshlrev_b16 v41, 8, v41
	v_lshlrev_b16 v84, 8, v84
	v_lshlrev_b16 v47, 8, v47
	v_lshlrev_b16 v57, 8, v57
	v_lshlrev_b16 v60, 8, v60
	s_waitcnt vmcnt(7)
	v_xor_b32_e32 v24, v24, v94
	v_cndmask_b32_e64 v94, 0, -1, vcc_lo
	v_cmp_ne_u16_e32 vcc_lo, 0, v61
	v_or_b32_sdwa v61, v75, v90 dst_sel:DWORD dst_unused:UNUSED_PAD src0_sel:BYTE_0 src1_sel:DWORD
	v_xor_b32_e32 v25, v25, v95
	v_lshrrev_b16 v95, 7, v63
	v_cndmask_b32_e64 v63, 0, -1, s1
	v_lshlrev_b16 v94, 8, v94
	v_or_b32_sdwa v61, v61, v96 dst_sel:DWORD dst_unused:UNUSED_PAD src0_sel:WORD_0 src1_sel:DWORD
	v_or_b32_sdwa v96, v77, v91 dst_sel:DWORD dst_unused:UNUSED_PAD src0_sel:BYTE_0 src1_sel:DWORD
	v_bfe_i32 v95, v95, 0, 1
	v_lshlrev_b16 v63, 8, v63
	v_lshlrev_b16 v75, 8, v75
	s_waitcnt vmcnt(6)
	v_xor_b32_e32 v26, v26, v61
	v_or_b32_sdwa v96, v96, v97 dst_sel:DWORD dst_unused:UNUSED_PAD src0_sel:WORD_0 src1_sel:DWORD
	v_or_b32_sdwa v97, v46, v45 dst_sel:DWORD dst_unused:UNUSED_PAD src0_sel:BYTE_0 src1_sel:DWORD
	v_or_b32_sdwa v61, v98, v79 dst_sel:DWORD dst_unused:UNUSED_PAD src0_sel:BYTE_0 src1_sel:DWORD
	v_lshlrev_b16 v77, 8, v77
	v_lshlrev_b16 v46, 8, v46
	v_xor_b32_e32 v27, v27, v96
	v_or_b32_sdwa v96, v43, v42 dst_sel:WORD_1 dst_unused:UNUSED_PAD src0_sel:BYTE_0 src1_sel:DWORD
	v_or_b32_sdwa v97, v97, v103 dst_sel:DWORD dst_unused:UNUSED_PAD src0_sel:WORD_0 src1_sel:DWORD
	v_or_b32_sdwa v103, v99, v80 dst_sel:DWORD dst_unused:UNUSED_PAD src0_sel:BYTE_0 src1_sel:DWORD
	v_lshlrev_b16 v43, 8, v43
	v_or_b32_sdwa v61, v61, v96 dst_sel:DWORD dst_unused:UNUSED_PAD src0_sel:WORD_0 src1_sel:DWORD
	v_or_b32_sdwa v96, v44, v81 dst_sel:WORD_1 dst_unused:UNUSED_PAD src0_sel:BYTE_0 src1_sel:DWORD
	s_waitcnt vmcnt(4)
	v_xor_b32_e32 v31, v31, v97
	v_or_b32_sdwa v97, v102, v50 dst_sel:DWORD dst_unused:UNUSED_PAD src0_sel:BYTE_0 src1_sel:DWORD
	v_lshlrev_b16 v44, 8, v44
	v_xor_b32_e32 v28, v28, v61
	v_or_b32_sdwa v96, v103, v96 dst_sel:DWORD dst_unused:UNUSED_PAD src0_sel:WORD_0 src1_sel:DWORD
	v_or_b32_sdwa v61, v100, v83 dst_sel:DWORD dst_unused:UNUSED_PAD src0_sel:BYTE_0 src1_sel:DWORD
	v_cndmask_b32_e64 v103, 0, -1, s0
	v_cmp_ne_u16_sdwa s0, v93, v10 src0_sel:BYTE_1 src1_sel:DWORD
	v_lshrrev_b16 v93, 7, v93
	v_xor_b32_e32 v29, v29, v96
	v_or_b32_sdwa v96, v48, v82 dst_sel:WORD_1 dst_unused:UNUSED_PAD src0_sel:BYTE_0 src1_sel:DWORD
	v_lshlrev_b16 v103, 8, v103
	v_lshlrev_b16 v48, 8, v48
	v_bfe_i32 v93, v93, 0, 1
	v_or_b32_sdwa v61, v61, v96 dst_sel:DWORD dst_unused:UNUSED_PAD src0_sel:WORD_0 src1_sel:DWORD
	v_or_b32_sdwa v96, v101, v49 dst_sel:DWORD dst_unused:UNUSED_PAD src0_sel:BYTE_0 src1_sel:DWORD
	v_xor_b32_e32 v30, v30, v61
	v_or_b32_sdwa v61, v52, v86 dst_sel:WORD_1 dst_unused:UNUSED_PAD src0_sel:BYTE_0 src1_sel:DWORD
	v_lshlrev_b16 v52, 8, v52
	v_or_b32_sdwa v61, v96, v61 dst_sel:DWORD dst_unused:UNUSED_PAD src0_sel:WORD_0 src1_sel:DWORD
	v_or_b32_sdwa v96, v53, v87 dst_sel:WORD_1 dst_unused:UNUSED_PAD src0_sel:BYTE_0 src1_sel:DWORD
	v_lshlrev_b16 v53, 8, v53
	s_waitcnt vmcnt(3)
	v_xor_b32_e32 v32, v32, v61
	v_or_b32_sdwa v96, v97, v96 dst_sel:DWORD dst_unused:UNUSED_PAD src0_sel:WORD_0 src1_sel:DWORD
	v_or_b32_sdwa v97, v68, v69 dst_sel:WORD_1 dst_unused:UNUSED_PAD src0_sel:BYTE_0 src1_sel:DWORD
	v_cndmask_b32_e64 v61, 0, -1, s0
	v_lshlrev_b16 v68, 8, v68
	v_cmp_le_u32_e64 s0, s7, v15
	v_xor_b32_e32 v33, v33, v96
	v_or_b32_sdwa v96, v88, v54 dst_sel:DWORD dst_unused:UNUSED_PAD src0_sel:BYTE_0 src1_sel:DWORD
	v_lshlrev_b16 v61, 8, v61
	v_lshlrev_b16 v88, 8, v88
	s_or_b32 s4, s0, s4
	v_or_b32_sdwa v96, v96, v104 dst_sel:DWORD dst_unused:UNUSED_PAD src0_sel:WORD_0 src1_sel:DWORD
	v_or_b32_sdwa v104, v89, v58 dst_sel:DWORD dst_unused:UNUSED_PAD src0_sel:BYTE_0 src1_sel:DWORD
	v_lshlrev_b16 v89, 8, v89
	s_waitcnt vmcnt(2)
	v_xor_b32_e32 v34, v34, v96
	v_or_b32_sdwa v104, v104, v105 dst_sel:DWORD dst_unused:UNUSED_PAD src0_sel:WORD_0 src1_sel:DWORD
	v_or_b32_sdwa v105, v67, v66 dst_sel:DWORD dst_unused:UNUSED_PAD src0_sel:BYTE_0 src1_sel:DWORD
	v_or_b32_sdwa v96, v51, v106 dst_sel:DWORD dst_unused:UNUSED_PAD src0_sel:BYTE_0 src1_sel:DWORD
	v_lshlrev_b16 v51, 8, v51
	v_lshlrev_b16 v67, 8, v67
	v_xor_b32_e32 v35, v35, v104
	v_or_b32_sdwa v104, v64, v94 dst_sel:WORD_1 dst_unused:UNUSED_PAD src0_sel:BYTE_0 src1_sel:DWORD
	v_or_b32_sdwa v97, v105, v97 dst_sel:DWORD dst_unused:UNUSED_PAD src0_sel:WORD_0 src1_sel:DWORD
	v_or_b32_sdwa v105, v95, v63 dst_sel:DWORD dst_unused:UNUSED_PAD src0_sel:BYTE_0 src1_sel:DWORD
	v_lshlrev_b16 v95, 8, v95
	v_lshlrev_b16 v64, 8, v64
	v_or_b32_sdwa v96, v96, v104 dst_sel:DWORD dst_unused:UNUSED_PAD src0_sel:WORD_0 src1_sel:DWORD
	v_or_b32_sdwa v104, v65, v103 dst_sel:WORD_1 dst_unused:UNUSED_PAD src0_sel:BYTE_0 src1_sel:DWORD
	s_waitcnt vmcnt(0)
	v_xor_b32_e32 v39, v39, v97
	v_lshlrev_b16 v97, 8, v98
	v_lshlrev_b16 v98, 8, v99
	v_xor_b32_e32 v36, v36, v96
	v_or_b32_sdwa v104, v105, v104 dst_sel:DWORD dst_unused:UNUSED_PAD src0_sel:WORD_0 src1_sel:DWORD
	v_cndmask_b32_e64 v105, 0, -1, vcc_lo
	v_or_b32_sdwa v96, v93, v61 dst_sel:DWORD dst_unused:UNUSED_PAD src0_sel:BYTE_0 src1_sel:DWORD
	v_lshlrev_b16 v99, 8, v100
	v_lshlrev_b16 v100, 8, v101
	v_xor_b32_e32 v37, v37, v104
	v_lshlrev_b16 v105, 8, v105
	v_lshlrev_b16 v101, 8, v102
	v_and_b32_e32 v102, 0xffffff00, v24
	v_lshlrev_b16 v93, 8, v93
	v_lshlrev_b16 v65, 8, v65
	v_or_b32_sdwa v104, v70, v105 dst_sel:WORD_1 dst_unused:UNUSED_PAD src0_sel:BYTE_0 src1_sel:DWORD
	v_lshlrev_b16 v70, 8, v70
	v_sub_nc_i16 v71, v102, v71 clamp
	v_lshlrev_b16 v102, 8, v24
	v_lshrrev_b32_e32 v24, 16, v24
	v_or_b32_sdwa v96, v96, v104 dst_sel:DWORD dst_unused:UNUSED_PAD src0_sel:WORD_0 src1_sel:DWORD
	global_load_dword v104, v[13:14], off
	v_add_co_u32 v13, vcc_lo, 0x480, v13
	v_sub_nc_i16 v62, v102, v62 clamp
	v_and_b32_e32 v102, 0xffffff00, v25
	v_xor_b32_e32 v38, v38, v96
	v_mov_b32_e32 v96, 0
	v_add_co_ci_u32_e64 v14, null, 0, v14, vcc_lo
	v_sub_nc_i16 v73, v102, v73 clamp
	v_lshlrev_b16 v102, 8, v25
	v_lshrrev_b32_e32 v25, 16, v25
	v_perm_b32 v62, v62, v71, 0xc0c0105
	v_and_b32_e32 v71, 0xffffff00, v24
	v_lshlrev_b16 v24, 8, v24
	v_sub_nc_i16 v92, v102, v92 clamp
	v_and_b32_e32 v102, 0xffffff00, v26
	v_sub_nc_i16 v71, v71, v72 clamp
	v_sub_nc_i16 v24, v24, v84 clamp
	v_perm_b32 v73, v92, v73, 0xc0c0105
	v_sub_nc_i16 v90, v102, v90 clamp
	v_lshlrev_b16 v102, 8, v26
	v_and_b32_e32 v92, 0xffffff00, v25
	v_lshrrev_b32_e32 v26, 16, v26
	v_lshlrev_b16 v25, 8, v25
	v_perm_b32 v24, v24, v71, 0xc0c0105
	v_sub_nc_i16 v75, v102, v75 clamp
	v_and_b32_e32 v102, 0xffffff00, v27
	v_sub_nc_i16 v74, v92, v74 clamp
	v_sub_nc_i16 v25, v25, v85 clamp
	v_and_b32_e32 v85, 0xffffff00, v26
	v_lshlrev_b16 v26, 8, v26
	v_sub_nc_i16 v91, v102, v91 clamp
	v_lshlrev_b16 v102, 8, v27
	v_lshrrev_b32_e32 v27, 16, v27
	v_perm_b32 v75, v75, v90, 0xc0c0105
	v_sub_nc_i16 v76, v85, v76 clamp
	v_sub_nc_i16 v26, v26, v40 clamp
	;; [unrolled: 1-line block ×3, first 2 shown]
	v_and_b32_e32 v102, 0xffffff00, v28
	v_and_b32_e32 v90, 0xffffff00, v27
	v_lshlrev_b16 v27, 8, v27
	v_mov_b32_e32 v72, 0
	v_perm_b32 v77, v77, v91, 0xc0c0105
	v_sub_nc_i16 v79, v102, v79 clamp
	v_lshlrev_b16 v102, 8, v28
	v_lshrrev_b32_e32 v28, 16, v28
	v_sub_nc_i16 v27, v27, v41 clamp
	v_sub_nc_i16 v78, v90, v78 clamp
	v_mov_b32_e32 v84, 0
	v_sub_nc_i16 v97, v102, v97 clamp
	v_and_b32_e32 v102, 0xffffff00, v29
	v_and_b32_e32 v85, 0xffffff00, v28
	v_lshlrev_b16 v28, 8, v28
	v_perm_b32 v25, v25, v74, 0xc0c0105
	v_perm_b32 v79, v97, v79, 0xc0c0105
	v_sub_nc_i16 v80, v102, v80 clamp
	v_lshlrev_b16 v102, 8, v29
	v_lshrrev_b32_e32 v29, 16, v29
	v_sub_nc_i16 v42, v85, v42 clamp
	v_sub_nc_i16 v28, v28, v43 clamp
	v_lshl_or_b32 v24, v24, 16, v62
	v_sub_nc_i16 v98, v102, v98 clamp
	v_and_b32_e32 v102, 0xffffff00, v30
	v_and_b32_e32 v40, 0xffffff00, v29
	v_lshlrev_b16 v29, 8, v29
	v_perm_b32 v28, v28, v42, 0xc0c0105
	v_perm_b32 v80, v98, v80, 0xc0c0105
	v_sub_nc_i16 v83, v102, v83 clamp
	v_lshlrev_b16 v102, 8, v30
	v_lshrrev_b32_e32 v30, 16, v30
	v_sub_nc_i16 v40, v40, v81 clamp
	v_sub_nc_i16 v29, v29, v44 clamp
	v_lshl_or_b32 v28, v28, 16, v79
	v_sub_nc_i16 v99, v102, v99 clamp
	v_and_b32_e32 v102, 0xffffff00, v31
	v_and_b32_e32 v91, 0xffffff00, v30
	v_lshlrev_b16 v30, 8, v30
	v_perm_b32 v29, v29, v40, 0xc0c0105
	v_perm_b32 v83, v99, v83, 0xc0c0105
	v_sub_nc_i16 v45, v102, v45 clamp
	v_lshlrev_b16 v102, 8, v31
	v_lshrrev_b32_e32 v31, 16, v31
	v_sub_nc_i16 v30, v30, v48 clamp
	v_sub_nc_i16 v82, v91, v82 clamp
	v_perm_b32 v26, v26, v76, 0xc0c0105
	v_sub_nc_i16 v46, v102, v46 clamp
	v_and_b32_e32 v102, 0xffffff00, v32
	v_and_b32_e32 v90, 0xffffff00, v31
	v_lshlrev_b16 v31, 8, v31
	v_perm_b32 v30, v30, v82, 0xc0c0105
	v_perm_b32 v45, v46, v45, 0xc0c0105
	v_sub_nc_i16 v49, v102, v49 clamp
	v_lshlrev_b16 v102, 8, v32
	v_lshrrev_b32_e32 v32, 16, v32
	v_sub_nc_i16 v31, v31, v47 clamp
	v_sub_nc_i16 v46, v90, v55 clamp
	v_lshl_or_b32 v25, v25, 16, v73
	v_sub_nc_i16 v100, v102, v100 clamp
	v_and_b32_e32 v102, 0xffffff00, v33
	v_and_b32_e32 v41, 0xffffff00, v32
	v_lshlrev_b16 v32, 8, v32
	v_lshl_or_b32 v29, v29, 16, v80
	v_perm_b32 v47, v100, v49, 0xc0c0105
	v_sub_nc_i16 v50, v102, v50 clamp
	v_lshlrev_b16 v102, 8, v33
	v_lshrrev_b32_e32 v33, 16, v33
	v_sub_nc_i16 v41, v41, v86 clamp
	v_sub_nc_i16 v32, v32, v52 clamp
	v_dot4c_i32_i8 v96, v24, v3
	v_sub_nc_i16 v101, v102, v101 clamp
	v_and_b32_e32 v102, 0xffffff00, v34
	v_and_b32_e32 v97, 0xffffff00, v33
	v_lshlrev_b16 v33, 8, v33
	v_perm_b32 v32, v32, v41, 0xc0c0105
	v_perm_b32 v48, v101, v50, 0xc0c0105
	v_sub_nc_i16 v54, v102, v54 clamp
	v_lshlrev_b16 v102, 8, v34
	v_lshrrev_b32_e32 v34, 16, v34
	v_sub_nc_i16 v49, v97, v87 clamp
	v_sub_nc_i16 v33, v33, v53 clamp
	v_lshl_or_b32 v32, v32, 16, v47
	v_sub_nc_i16 v88, v102, v88 clamp
	v_and_b32_e32 v102, 0xffffff00, v35
	v_and_b32_e32 v85, 0xffffff00, v34
	v_lshlrev_b16 v34, 8, v34
	v_perm_b32 v33, v33, v49, 0xc0c0105
	v_perm_b32 v50, v88, v54, 0xc0c0105
	v_sub_nc_i16 v58, v102, v58 clamp
	v_lshlrev_b16 v102, 8, v35
	v_lshrrev_b32_e32 v35, 16, v35
	v_sub_nc_i16 v52, v85, v56 clamp
	v_sub_nc_i16 v34, v34, v57 clamp
	v_lshl_or_b32 v33, v33, 16, v48
	v_sub_nc_i16 v89, v102, v89 clamp
	v_and_b32_e32 v102, 0xffffff00, v36
	v_and_b32_e32 v43, 0xffffff00, v35
	v_lshlrev_b16 v35, 8, v35
	v_perm_b32 v34, v34, v52, 0xc0c0105
	v_dot4c_i32_i8 v72, v32, v3
	v_sub_nc_i16 v102, v102, v106 clamp
	v_lshlrev_b16 v106, 8, v36
	v_lshrrev_b32_e32 v36, 16, v36
	v_sub_nc_i16 v43, v43, v59 clamp
	v_sub_nc_i16 v35, v35, v60 clamp
	v_perm_b32 v53, v89, v58, 0xc0c0105
	v_sub_nc_i16 v51, v106, v51 clamp
	v_and_b32_e32 v106, 0xffffff00, v37
	v_and_b32_e32 v98, 0xffffff00, v36
	v_lshlrev_b16 v36, 8, v36
	v_perm_b32 v27, v27, v78, 0xc0c0105
	v_perm_b32 v51, v51, v102, 0xc0c0105
	v_sub_nc_i16 v63, v106, v63 clamp
	v_lshlrev_b16 v106, 8, v37
	v_lshrrev_b32_e32 v37, 16, v37
	v_sub_nc_i16 v54, v98, v94 clamp
	v_sub_nc_i16 v36, v36, v64 clamp
	v_perm_b32 v31, v31, v46, 0xc0c0105
	v_sub_nc_i16 v95, v106, v95 clamp
	v_and_b32_e32 v106, 0xffffff00, v38
	v_and_b32_e32 v81, 0xffffff00, v37
	v_lshlrev_b16 v37, 8, v37
	v_perm_b32 v36, v36, v54, 0xc0c0105
	v_perm_b32 v55, v95, v63, 0xc0c0105
	v_sub_nc_i16 v61, v106, v61 clamp
	v_lshlrev_b16 v106, 8, v38
	v_lshrrev_b32_e32 v38, 16, v38
	v_sub_nc_i16 v56, v81, v103 clamp
	v_sub_nc_i16 v37, v37, v65 clamp
	v_lshl_or_b32 v36, v36, 16, v51
	v_sub_nc_i16 v93, v106, v93 clamp
	v_and_b32_e32 v106, 0xffffff00, v39
	v_and_b32_e32 v44, 0xffffff00, v38
	v_lshlrev_b16 v38, 8, v38
	v_perm_b32 v37, v37, v56, 0xc0c0105
	v_perm_b32 v57, v93, v61, 0xc0c0105
	v_sub_nc_i16 v66, v106, v66 clamp
	v_lshlrev_b16 v106, 8, v39
	v_lshrrev_b32_e32 v39, 16, v39
	v_sub_nc_i16 v44, v44, v105 clamp
	v_sub_nc_i16 v38, v38, v70 clamp
	v_lshl_or_b32 v37, v37, 16, v55
	v_sub_nc_i16 v67, v106, v67 clamp
	v_mov_b32_e32 v106, 0
	v_and_b32_e32 v99, 0xffffff00, v39
	v_lshlrev_b16 v39, 8, v39
	v_perm_b32 v38, v38, v44, 0xc0c0105
	v_dot4c_i32_i8 v84, v36, v7
	v_dot4c_i32_i8 v106, v28, v7
	v_sub_nc_i16 v59, v99, v69 clamp
	v_sub_nc_i16 v39, v39, v68 clamp
	v_perm_b32 v58, v67, v66, 0xc0c0105
	v_perm_b32 v35, v35, v43, 0xc0c0105
	v_lshl_or_b32 v26, v26, 16, v75
	v_lshl_or_b32 v30, v30, 16, v83
	v_perm_b32 v39, v39, v59, 0xc0c0105
	v_lshl_or_b32 v34, v34, 16, v50
	v_lshl_or_b32 v38, v38, 16, v57
	v_dot4c_i32_i8 v96, v25, v4
	v_dot4c_i32_i8 v106, v29, v8
	;; [unrolled: 1-line block ×4, first 2 shown]
	v_lshl_or_b32 v27, v27, 16, v77
	v_lshl_or_b32 v31, v31, 16, v45
	;; [unrolled: 1-line block ×4, first 2 shown]
	v_dot4c_i32_i8 v96, v26, v5
	v_dot4c_i32_i8 v106, v30, v9
	v_dot4c_i32_i8 v72, v34, v5
	v_dot4c_i32_i8 v84, v38, v9
	v_lshrrev_b32_e32 v92, 4, v23
	v_dot4c_i32_i8 v96, v27, v6
	v_and_b32_e32 v3, 15, v23
	v_dot4c_i32_i8 v72, v35, v6
	v_lshrrev_b32_e32 v4, 4, v22
	v_and_b32_e32 v7, 15, v22
	v_mul_lo_u32 v3, v96, v3
	v_mul_lo_u32 v7, v72, v7
	s_waitcnt vmcnt(0)
	v_dot4c_i32_i8 v106, v31, v104
	v_dot4c_i32_i8 v84, v39, v104
	v_add_nc_u32_e32 v5, v106, v96
	v_add_nc_u32_e32 v6, v84, v72
	v_mul_lo_u32 v22, v106, v92
	v_mul_lo_u32 v4, v84, v4
	v_lshrrev_b32_e32 v8, 31, v5
	v_lshrrev_b32_e32 v9, 31, v6
	v_add_nc_u32_e32 v5, v5, v8
	v_add_nc_u32_e32 v6, v6, v9
	v_ashrrev_i32_e32 v5, 1, v5
	v_ashrrev_i32_e32 v6, 1, v6
	v_add3_u32 v3, v22, v3, v5
	v_add3_u32 v4, v4, v7, v6
	v_ashrrev_i32_e32 v5, 31, v3
	v_ashrrev_i32_e32 v6, 31, v4
	v_lshrrev_b32_e32 v5, 30, v5
	v_lshrrev_b32_e32 v6, 30, v6
	v_add_nc_u32_e32 v3, v3, v5
	v_add_nc_u32_e32 v4, v4, v6
	v_cvt_f32_f16_e32 v5, v21
	v_cvt_f32_f16_e32 v6, v20
	v_ashrrev_i32_e32 v3, 2, v3
	v_ashrrev_i32_e32 v4, 2, v4
	v_mul_f32_e32 v5, v5, v2
	v_mul_f32_e32 v2, v6, v2
	v_cvt_f32_i32_e32 v3, v3
	v_cvt_f32_i32_e32 v4, v4
	v_fmac_f32_e32 v17, v5, v3
	v_fmac_f32_e32 v16, v2, v4
	s_andn2_b32 exec_lo, exec_lo, s4
	s_cbranch_execnz .LBB180_3
; %bb.4:
	s_or_b32 exec_lo, exec_lo, s4
.LBB180_5:
	s_or_b32 exec_lo, exec_lo, s6
	v_mbcnt_lo_u32_b32 v2, -1, 0
	v_xor_b32_e32 v3, 16, v2
	v_xor_b32_e32 v5, 8, v2
	;; [unrolled: 1-line block ×3, first 2 shown]
	v_cmp_gt_i32_e32 vcc_lo, 32, v3
	v_cndmask_b32_e32 v3, v2, v3, vcc_lo
	v_cmp_gt_i32_e32 vcc_lo, 32, v5
	v_lshlrev_b32_e32 v3, 2, v3
	v_cndmask_b32_e32 v5, v2, v5, vcc_lo
	v_cmp_gt_i32_e32 vcc_lo, 32, v7
	ds_bpermute_b32 v4, v3, v17
	ds_bpermute_b32 v3, v3, v16
	v_lshlrev_b32_e32 v5, 2, v5
	v_cndmask_b32_e32 v7, v2, v7, vcc_lo
	v_lshlrev_b32_e32 v7, 2, v7
	s_waitcnt lgkmcnt(1)
	v_add_f32_e32 v4, v17, v4
	s_waitcnt lgkmcnt(0)
	v_add_f32_e32 v3, v16, v3
	ds_bpermute_b32 v6, v5, v4
	ds_bpermute_b32 v5, v5, v3
	s_waitcnt lgkmcnt(1)
	v_add_f32_e32 v4, v4, v6
	s_waitcnt lgkmcnt(0)
	v_add_f32_e32 v3, v3, v5
	ds_bpermute_b32 v5, v7, v4
	ds_bpermute_b32 v6, v7, v3
	v_xor_b32_e32 v7, 2, v2
	v_cmp_gt_i32_e32 vcc_lo, 32, v7
	v_cndmask_b32_e32 v7, v2, v7, vcc_lo
	v_lshlrev_b32_e32 v7, 2, v7
	s_waitcnt lgkmcnt(1)
	v_add_f32_e32 v4, v4, v5
	s_waitcnt lgkmcnt(0)
	v_add_f32_e32 v3, v3, v6
	ds_bpermute_b32 v5, v7, v4
	ds_bpermute_b32 v6, v7, v3
	v_xor_b32_e32 v7, 1, v2
	v_cmp_gt_i32_e32 vcc_lo, 32, v7
	v_cndmask_b32_e32 v2, v2, v7, vcc_lo
	v_cmp_gt_u32_e32 vcc_lo, 2, v0
	v_lshlrev_b32_e32 v7, 2, v2
	s_waitcnt lgkmcnt(1)
	v_add_f32_e32 v2, v4, v5
	s_waitcnt lgkmcnt(0)
	v_add_f32_e32 v3, v3, v6
	v_add_nc_u32_e32 v6, s3, v0
	ds_bpermute_b32 v4, v7, v2
	ds_bpermute_b32 v5, v7, v3
	v_cmp_gt_u32_e64 s0, s16, v6
	s_and_b32 s0, vcc_lo, s0
	s_and_b32 exec_lo, exec_lo, s0
	s_cbranch_execz .LBB180_7
; %bb.6:
	v_mul_lo_u32 v1, s19, v1
	v_or_b32_e32 v6, s3, v0
	s_mul_i32 s0, s22, s2
	v_mov_b32_e32 v7, 0
	s_waitcnt lgkmcnt(1)
	v_add_f32_e32 v4, v2, v4
	s_waitcnt lgkmcnt(0)
	v_add_f32_e32 v3, v3, v5
	v_cmp_eq_u32_e32 vcc_lo, 1, v0
	v_add3_u32 v6, v6, v1, s0
	v_cndmask_b32_e32 v3, v4, v3, vcc_lo
	v_lshlrev_b64 v[1:2], 2, v[6:7]
	v_add_co_u32 v0, vcc_lo, s14, v1
	v_add_co_ci_u32_e64 v1, null, s15, v2, vcc_lo
	global_store_dword v[0:1], v3, off
.LBB180_7:
	s_endpgm
	.section	.rodata,"a",@progbits
	.p2align	6, 0x0
	.amdhsa_kernel _ZL17mul_mat_vec_q_moeIL9ggml_type22ELi2EEvPKvS2_PKiPfj15HIP_vector_typeIjLj3EEjjjjjjjjj
		.amdhsa_group_segment_fixed_size 0
		.amdhsa_private_segment_fixed_size 0
		.amdhsa_kernarg_size 84
		.amdhsa_user_sgpr_count 6
		.amdhsa_user_sgpr_private_segment_buffer 1
		.amdhsa_user_sgpr_dispatch_ptr 0
		.amdhsa_user_sgpr_queue_ptr 0
		.amdhsa_user_sgpr_kernarg_segment_ptr 1
		.amdhsa_user_sgpr_dispatch_id 0
		.amdhsa_user_sgpr_flat_scratch_init 0
		.amdhsa_user_sgpr_private_segment_size 0
		.amdhsa_wavefront_size32 1
		.amdhsa_uses_dynamic_stack 0
		.amdhsa_system_sgpr_private_segment_wavefront_offset 0
		.amdhsa_system_sgpr_workgroup_id_x 1
		.amdhsa_system_sgpr_workgroup_id_y 1
		.amdhsa_system_sgpr_workgroup_id_z 0
		.amdhsa_system_sgpr_workgroup_info 0
		.amdhsa_system_vgpr_workitem_id 1
		.amdhsa_next_free_vgpr 107
		.amdhsa_next_free_sgpr 28
		.amdhsa_reserve_vcc 1
		.amdhsa_reserve_flat_scratch 0
		.amdhsa_float_round_mode_32 0
		.amdhsa_float_round_mode_16_64 0
		.amdhsa_float_denorm_mode_32 3
		.amdhsa_float_denorm_mode_16_64 3
		.amdhsa_dx10_clamp 1
		.amdhsa_ieee_mode 1
		.amdhsa_fp16_overflow 0
		.amdhsa_workgroup_processor_mode 1
		.amdhsa_memory_ordered 1
		.amdhsa_forward_progress 1
		.amdhsa_shared_vgpr_count 0
		.amdhsa_exception_fp_ieee_invalid_op 0
		.amdhsa_exception_fp_denorm_src 0
		.amdhsa_exception_fp_ieee_div_zero 0
		.amdhsa_exception_fp_ieee_overflow 0
		.amdhsa_exception_fp_ieee_underflow 0
		.amdhsa_exception_fp_ieee_inexact 0
		.amdhsa_exception_int_div_zero 0
	.end_amdhsa_kernel
	.section	.text._ZL17mul_mat_vec_q_moeIL9ggml_type22ELi2EEvPKvS2_PKiPfj15HIP_vector_typeIjLj3EEjjjjjjjjj,"axG",@progbits,_ZL17mul_mat_vec_q_moeIL9ggml_type22ELi2EEvPKvS2_PKiPfj15HIP_vector_typeIjLj3EEjjjjjjjjj,comdat
.Lfunc_end180:
	.size	_ZL17mul_mat_vec_q_moeIL9ggml_type22ELi2EEvPKvS2_PKiPfj15HIP_vector_typeIjLj3EEjjjjjjjjj, .Lfunc_end180-_ZL17mul_mat_vec_q_moeIL9ggml_type22ELi2EEvPKvS2_PKiPfj15HIP_vector_typeIjLj3EEjjjjjjjjj
                                        ; -- End function
	.set _ZL17mul_mat_vec_q_moeIL9ggml_type22ELi2EEvPKvS2_PKiPfj15HIP_vector_typeIjLj3EEjjjjjjjjj.num_vgpr, 107
	.set _ZL17mul_mat_vec_q_moeIL9ggml_type22ELi2EEvPKvS2_PKiPfj15HIP_vector_typeIjLj3EEjjjjjjjjj.num_agpr, 0
	.set _ZL17mul_mat_vec_q_moeIL9ggml_type22ELi2EEvPKvS2_PKiPfj15HIP_vector_typeIjLj3EEjjjjjjjjj.numbered_sgpr, 28
	.set _ZL17mul_mat_vec_q_moeIL9ggml_type22ELi2EEvPKvS2_PKiPfj15HIP_vector_typeIjLj3EEjjjjjjjjj.num_named_barrier, 0
	.set _ZL17mul_mat_vec_q_moeIL9ggml_type22ELi2EEvPKvS2_PKiPfj15HIP_vector_typeIjLj3EEjjjjjjjjj.private_seg_size, 0
	.set _ZL17mul_mat_vec_q_moeIL9ggml_type22ELi2EEvPKvS2_PKiPfj15HIP_vector_typeIjLj3EEjjjjjjjjj.uses_vcc, 1
	.set _ZL17mul_mat_vec_q_moeIL9ggml_type22ELi2EEvPKvS2_PKiPfj15HIP_vector_typeIjLj3EEjjjjjjjjj.uses_flat_scratch, 0
	.set _ZL17mul_mat_vec_q_moeIL9ggml_type22ELi2EEvPKvS2_PKiPfj15HIP_vector_typeIjLj3EEjjjjjjjjj.has_dyn_sized_stack, 0
	.set _ZL17mul_mat_vec_q_moeIL9ggml_type22ELi2EEvPKvS2_PKiPfj15HIP_vector_typeIjLj3EEjjjjjjjjj.has_recursion, 0
	.set _ZL17mul_mat_vec_q_moeIL9ggml_type22ELi2EEvPKvS2_PKiPfj15HIP_vector_typeIjLj3EEjjjjjjjjj.has_indirect_call, 0
	.section	.AMDGPU.csdata,"",@progbits
; Kernel info:
; codeLenInByte = 5364
; TotalNumSgprs: 30
; NumVgprs: 107
; ScratchSize: 0
; MemoryBound: 0
; FloatMode: 240
; IeeeMode: 1
; LDSByteSize: 0 bytes/workgroup (compile time only)
; SGPRBlocks: 0
; VGPRBlocks: 13
; NumSGPRsForWavesPerEU: 30
; NumVGPRsForWavesPerEU: 107
; Occupancy: 9
; WaveLimiterHint : 1
; COMPUTE_PGM_RSRC2:SCRATCH_EN: 0
; COMPUTE_PGM_RSRC2:USER_SGPR: 6
; COMPUTE_PGM_RSRC2:TRAP_HANDLER: 0
; COMPUTE_PGM_RSRC2:TGID_X_EN: 1
; COMPUTE_PGM_RSRC2:TGID_Y_EN: 1
; COMPUTE_PGM_RSRC2:TGID_Z_EN: 0
; COMPUTE_PGM_RSRC2:TIDIG_COMP_CNT: 1
	.section	.text._ZL13mul_mat_vec_qIL9ggml_type22ELi1ELb1ELb1EEvPKvS2_PKi31ggml_cuda_mm_fusion_args_devicePfj15HIP_vector_typeIjLj3EEjjjS8_jjjS8_jjjj,"axG",@progbits,_ZL13mul_mat_vec_qIL9ggml_type22ELi1ELb1ELb1EEvPKvS2_PKi31ggml_cuda_mm_fusion_args_devicePfj15HIP_vector_typeIjLj3EEjjjS8_jjjS8_jjjj,comdat
	.globl	_ZL13mul_mat_vec_qIL9ggml_type22ELi1ELb1ELb1EEvPKvS2_PKi31ggml_cuda_mm_fusion_args_devicePfj15HIP_vector_typeIjLj3EEjjjS8_jjjS8_jjjj ; -- Begin function _ZL13mul_mat_vec_qIL9ggml_type22ELi1ELb1ELb1EEvPKvS2_PKi31ggml_cuda_mm_fusion_args_devicePfj15HIP_vector_typeIjLj3EEjjjS8_jjjS8_jjjj
	.p2align	8
	.type	_ZL13mul_mat_vec_qIL9ggml_type22ELi1ELb1ELb1EEvPKvS2_PKi31ggml_cuda_mm_fusion_args_devicePfj15HIP_vector_typeIjLj3EEjjjS8_jjjS8_jjjj,@function
_ZL13mul_mat_vec_qIL9ggml_type22ELi1ELb1ELb1EEvPKvS2_PKi31ggml_cuda_mm_fusion_args_devicePfj15HIP_vector_typeIjLj3EEjjjS8_jjjS8_jjjj: ; @_ZL13mul_mat_vec_qIL9ggml_type22ELi1ELb1ELb1EEvPKvS2_PKi31ggml_cuda_mm_fusion_args_devicePfj15HIP_vector_typeIjLj3EEjjjS8_jjjS8_jjjj
; %bb.0:
	s_clause 0x3
	s_load_dwordx8 s[12:19], s[4:5], 0x0
	s_load_dwordx4 s[28:31], s[4:5], 0x20
	s_load_dwordx4 s[36:39], s[4:5], 0x40
	;; [unrolled: 1-line block ×3, first 2 shown]
	s_mov_b32 s10, s7
	s_waitcnt lgkmcnt(0)
	s_cmp_lg_u64 s[16:17], 0
	s_cselect_b32 s0, -1, 0
	s_cmp_eq_u64 s[16:17], 0
	s_cbranch_scc1 .LBB181_5
; %bb.1:
	s_mov_b32 s11, 0
	s_lshl_b64 s[2:3], s[10:11], 2
	s_add_u32 s2, s16, s2
	s_addc_u32 s3, s17, s3
	s_load_dword s33, s[2:3], 0x0
	s_clause 0x1
	s_load_dword s35, s[4:5], 0x50
	s_load_dword s34, s[4:5], 0x78
	s_cbranch_execnz .LBB181_3
.LBB181_2:
	s_load_dwordx2 s[2:3], s[4:5], 0x5c
	s_waitcnt lgkmcnt(0)
	s_mul_hi_u32 s1, s2, s10
	s_add_i32 s1, s10, s1
	s_lshr_b32 s33, s1, s3
.LBB181_3:
	s_andn2_b32 vcc_lo, exec_lo, s0
	s_cbranch_vccnz .LBB181_6
; %bb.4:
	s_mul_hi_u32 s0, s37, s10
	s_waitcnt lgkmcnt(0)
	s_mov_b32 s1, s33
	s_add_i32 s0, s10, s0
	s_lshr_b32 s0, s0, s38
	s_mul_i32 s0, s0, s39
	s_sub_i32 s37, s10, s0
	s_branch .LBB181_7
.LBB181_5:
                                        ; implicit-def: $sgpr33
	s_clause 0x1
	s_load_dword s35, s[4:5], 0x50
	s_load_dword s34, s[4:5], 0x78
	s_branch .LBB181_2
.LBB181_6:
	s_mov_b32 s1, s10
	s_mov_b32 s37, s10
.LBB181_7:
	s_load_dwordx4 s[24:27], s[4:5], 0x80
	v_or_b32_e32 v2, v0, v1
	s_cmp_lg_u64 s[18:19], 0
	v_mov_b32_e32 v22, 0
	v_mov_b32_e32 v23, 0
	s_cselect_b32 s0, -1, 0
	v_cmp_eq_u32_e32 vcc_lo, 0, v2
	s_mov_b32 s17, 0
	s_mul_i32 s2, s1, s22
	s_and_b32 s3, s0, vcc_lo
	s_and_saveexec_b32 s1, s3
	s_cbranch_execz .LBB181_9
; %bb.8:
	s_waitcnt lgkmcnt(0)
	s_mul_i32 s16, s26, s8
	s_mov_b32 s3, s17
	s_lshl_b64 s[38:39], s[16:17], 2
	v_lshlrev_b32_e32 v2, 2, v0
	s_add_u32 s7, s18, s38
	s_addc_u32 s9, s19, s39
	s_lshl_b64 s[16:17], s[2:3], 2
	s_add_u32 s3, s7, s16
	s_addc_u32 s9, s9, s17
	s_ashr_i32 s7, s6, 31
	s_lshl_b64 s[16:17], s[6:7], 2
	s_add_u32 s16, s3, s16
	s_addc_u32 s17, s9, s17
	global_load_dword v23, v2, s[16:17]
.LBB181_9:
	s_or_b32 exec_lo, exec_lo, s1
	s_cmp_lg_u64 s[28:29], 0
	s_cselect_b32 s9, -1, 0
	s_cmp_lg_u64 s[30:31], 0
	s_cselect_b32 s1, -1, 0
	s_and_b32 s3, s1, s9
	s_and_b32 s3, s3, vcc_lo
	s_and_saveexec_b32 s11, s3
	s_cbranch_execz .LBB181_11
; %bb.10:
	s_waitcnt lgkmcnt(0)
	s_mul_i32 s16, s26, s8
	s_mov_b32 s17, 0
	v_lshlrev_b32_e32 v2, 2, v0
	s_lshl_b64 s[18:19], s[16:17], 2
	s_mov_b32 s3, s17
	s_add_u32 s7, s30, s18
	s_addc_u32 s16, s31, s19
	s_lshl_b64 s[2:3], s[2:3], 2
	s_add_u32 s17, s7, s2
	s_addc_u32 s16, s16, s3
	s_ashr_i32 s7, s6, 31
	s_lshl_b64 s[2:3], s[6:7], 2
	s_add_u32 s2, s17, s2
	s_addc_u32 s3, s16, s3
	global_load_dword v22, v2, s[2:3]
.LBB181_11:
	s_or_b32 exec_lo, exec_lo, s11
	v_lshl_or_b32 v2, v1, 5, v0
	v_mov_b32_e32 v26, 0
	v_cndmask_b32_e64 v24, 0, 1, s9
	v_mov_b32_e32 v25, 0
	s_lshr_b32 s7, s36, 8
	v_lshrrev_b32_e32 v27, 3, v2
	s_mov_b32 s11, exec_lo
	v_cmpx_gt_u32_e64 s7, v27
	s_cbranch_execz .LBB181_17
; %bb.12:
	v_lshrrev_b32_e32 v2, 3, v2
	s_mul_i32 s2, s37, s21
	v_and_b32_e32 v28, 7, v0
	s_mul_hi_u32 s3, s2, 36
	s_mul_i32 s2, s2, 36
	s_waitcnt lgkmcnt(0)
	s_mul_i32 s35, s35, s6
	v_mad_u64_u32 v[2:3], null, 0x120, v2, s[2:3]
	s_mul_i32 s2, s25, s8
	v_lshlrev_b32_e32 v4, 1, v28
	v_mov_b32_e32 v29, 0
	v_mov_b32_e32 v26, 0
	;; [unrolled: 1-line block ×3, first 2 shown]
	s_mul_i32 s3, s33, s20
	v_mad_u64_u32 v[2:3], null, s2, 36, v[2:3]
	s_mul_hi_u32 s2, s23, s8
	v_lshlrev_b32_e32 v30, 1, v4
	s_add_i32 s2, s8, s2
	s_lshr_b32 s2, s2, s34
	v_mad_u64_u32 v[2:3], null, v28, 36, v[2:3]
	s_mul_i32 s2, s2, s24
	s_add_i32 s2, s2, s35
	v_add_co_u32 v2, vcc_lo, s14, v2
	v_add_co_ci_u32_e64 v3, null, s15, v3, vcc_lo
	s_add_i32 s15, s3, s2
	v_add_co_u32 v10, vcc_lo, v2, 32
	v_add_co_ci_u32_e64 v11, null, 0, v3, vcc_lo
	s_mov_b32 s14, 0
	s_branch .LBB181_14
.LBB181_13:                             ;   in Loop: Header=BB181_14 Depth=1
	v_and_b32_e32 v20, 0xff, v34
	v_lshlrev_b32_e32 v21, 21, v34
	v_lshlrev_b32_e32 v35, 17, v34
	v_lshrrev_b32_e32 v36, 2, v34
	v_lshrrev_b32_e32 v37, 6, v34
	;; [unrolled: 1-line block ×3, first 2 shown]
	v_lshl_or_b32 v21, v20, 7, v21
	v_lshl_or_b32 v20, v20, 3, v35
	v_bfe_i32 v36, v36, 0, 1
	v_bfe_i32 v37, v37, 0, 1
	v_lshrrev_b32_e32 v45, 16, v34
	v_and_b32_e32 v35, 0x1800180, v21
	v_bfe_u32 v21, v21, 24, 1
	v_and_b32_e32 v38, 0x1800180, v20
	v_bfe_u32 v20, v20, 24, 1
	v_add_nc_u32_e32 v27, 4, v27
	v_cmp_ne_u16_sdwa s2, v35, v29 src0_sel:BYTE_1 src1_sel:DWORD
	v_cmp_ne_u16_e32 vcc_lo, 0, v21
	v_lshrrev_b16 v39, 7, v35
	v_lshrrev_b16 v40, 7, v38
	v_cndmask_b32_e64 v35, 0, -1, s2
	v_cndmask_b32_e64 v21, 0, -1, vcc_lo
	v_cmp_ne_u16_sdwa s2, v38, v29 src0_sel:BYTE_1 src1_sel:DWORD
	v_cmp_ne_u16_e32 vcc_lo, 0, v20
	v_bfe_i32 v39, v39, 0, 1
	v_lshlrev_b16 v35, 8, v35
	v_lshlrev_b16 v21, 8, v21
	v_cndmask_b32_e64 v38, 0, -1, s2
	v_cndmask_b32_e64 v20, 0, -1, vcc_lo
	v_bfe_i32 v40, v40, 0, 1
	v_or_b32_sdwa v41, v39, v35 dst_sel:DWORD dst_unused:UNUSED_PAD src0_sel:BYTE_0 src1_sel:DWORD
	v_or_b32_sdwa v42, v36, v21 dst_sel:WORD_1 dst_unused:UNUSED_PAD src0_sel:BYTE_0 src1_sel:DWORD
	v_lshlrev_b16 v38, 8, v38
	v_lshlrev_b16 v20, 8, v20
	;; [unrolled: 1-line block ×4, first 2 shown]
	v_or_b32_sdwa v41, v41, v42 dst_sel:DWORD dst_unused:UNUSED_PAD src0_sel:WORD_0 src1_sel:DWORD
	v_or_b32_sdwa v42, v40, v38 dst_sel:DWORD dst_unused:UNUSED_PAD src0_sel:BYTE_0 src1_sel:DWORD
	v_or_b32_sdwa v43, v37, v20 dst_sel:WORD_1 dst_unused:UNUSED_PAD src0_sel:BYTE_0 src1_sel:DWORD
	v_lshlrev_b16 v40, 8, v40
	s_waitcnt vmcnt(3)
	v_xor_b32_e32 v18, v18, v41
	v_or_b32_sdwa v41, v42, v43 dst_sel:DWORD dst_unused:UNUSED_PAD src0_sel:WORD_0 src1_sel:DWORD
	v_and_b32_e32 v42, 0xffffff00, v18
	v_lshlrev_b16 v43, 8, v18
	v_lshrrev_b32_e32 v18, 16, v18
	v_xor_b32_e32 v19, v19, v41
	v_sub_nc_i16 v35, v42, v35 clamp
	v_sub_nc_i16 v39, v43, v39 clamp
	v_and_b32_e32 v41, 0xffffff00, v18
	v_lshlrev_b16 v18, 8, v18
	v_and_b32_e32 v42, 0xffffff00, v19
	v_lshlrev_b16 v43, 8, v19
	v_lshrrev_b32_e32 v19, 16, v19
	v_sub_nc_i16 v21, v41, v21 clamp
	v_sub_nc_i16 v18, v18, v36 clamp
	;; [unrolled: 1-line block ×3, first 2 shown]
	v_lshrrev_b32_e32 v38, 1, v34
	v_perm_b32 v35, v39, v35, 0xc0c0105
	v_sub_nc_i16 v39, v43, v40 clamp
	v_perm_b32 v18, v18, v21, 0xc0c0105
	v_and_b32_e32 v21, 0xffffff00, v19
	v_and_b32_e32 v38, 0x180, v38
	v_lshrrev_b32_e32 v40, 5, v34
	v_perm_b32 v36, v39, v36, 0xc0c0105
	v_lshl_or_b32 v18, v18, 16, v35
	v_sub_nc_i16 v20, v21, v20 clamp
	v_lshrrev_b32_e32 v21, 11, v34
	v_cmp_ne_u16_sdwa s2, v38, v29 src0_sel:BYTE_1 src1_sel:DWORD
	v_lshlrev_b16 v35, 8, v37
	v_lshrrev_b16 v37, 7, v38
	v_lshrrev_b32_e32 v39, 10, v34
	v_bfe_i32 v21, v21, 0, 1
	v_cndmask_b32_e64 v38, 0, -1, s2
	v_and_b32_e32 v40, 0x180, v40
	v_lshlrev_b16 v19, 8, v19
	v_bfe_i32 v37, v37, 0, 1
	v_lshlrev_b16 v21, 8, v21
	v_lshlrev_b16 v38, 8, v38
	v_bfe_i32 v39, v39, 0, 1
	v_lshrrev_b32_e32 v41, 15, v34
	v_cmp_ne_u16_sdwa s2, v40, v29 src0_sel:BYTE_1 src1_sel:DWORD
	v_sub_nc_i16 v19, v19, v35 clamp
	v_or_b32_sdwa v35, v37, v38 dst_sel:DWORD dst_unused:UNUSED_PAD src0_sel:BYTE_0 src1_sel:DWORD
	v_or_b32_sdwa v42, v39, v21 dst_sel:WORD_1 dst_unused:UNUSED_PAD src0_sel:BYTE_0 src1_sel:DWORD
	v_lshrrev_b16 v43, 7, v40
	v_cndmask_b32_e64 v40, 0, -1, s2
	v_bfe_i32 v41, v41, 0, 1
	v_perm_b32 v19, v19, v20, 0xc0c0105
	v_or_b32_sdwa v35, v35, v42 dst_sel:DWORD dst_unused:UNUSED_PAD src0_sel:WORD_0 src1_sel:DWORD
	v_bfe_i32 v42, v43, 0, 1
	v_lshlrev_b16 v40, 8, v40
	v_lshlrev_b16 v41, 8, v41
	v_bfe_i32 v43, v44, 0, 1
	v_mov_b32_e32 v20, 0
	s_waitcnt vmcnt(2)
	v_xor_b32_e32 v16, v16, v35
	v_or_b32_sdwa v44, v42, v40 dst_sel:DWORD dst_unused:UNUSED_PAD src0_sel:BYTE_0 src1_sel:DWORD
	v_lshl_or_b32 v19, v19, 16, v36
	v_or_b32_sdwa v35, v43, v41 dst_sel:WORD_1 dst_unused:UNUSED_PAD src0_sel:BYTE_0 src1_sel:DWORD
	v_dot4c_i32_i8 v20, v18, v7
	v_lshrrev_b32_e32 v7, 16, v16
	v_lshlrev_b16 v36, 8, v37
	v_lshlrev_b16 v39, 8, v39
	v_or_b32_sdwa v18, v44, v35 dst_sel:DWORD dst_unused:UNUSED_PAD src0_sel:WORD_0 src1_sel:DWORD
	v_and_b32_e32 v35, 0xffffff00, v16
	v_lshlrev_b16 v16, 8, v16
	v_and_b32_e32 v37, 0xffffff00, v7
	v_lshlrev_b16 v7, 8, v7
	v_xor_b32_e32 v17, v17, v18
	v_sub_nc_i16 v35, v35, v38 clamp
	v_sub_nc_i16 v16, v16, v36 clamp
	;; [unrolled: 1-line block ×4, first 2 shown]
	v_lshrrev_b32_e32 v21, 9, v34
	v_and_b32_e32 v36, 0xffffff00, v17
	v_lshlrev_b16 v37, 8, v17
	v_lshlrev_b16 v38, 8, v42
	v_perm_b32 v16, v16, v35, 0xc0c0105
	v_lshl_or_b32 v21, v45, 21, v21
	v_perm_b32 v7, v7, v18, 0xc0c0105
	v_sub_nc_i16 v18, v36, v40 clamp
	v_sub_nc_i16 v35, v37, v38 clamp
	v_dot4c_i32_i8 v20, v19, v8
	v_and_b32_e32 v8, 0x1800180, v21
	v_lshl_or_b32 v7, v7, 16, v16
	v_lshrrev_b32_e32 v16, 16, v17
	v_perm_b32 v17, v35, v18, 0xc0c0105
	v_bfe_u32 v18, v21, 24, 1
	v_cmp_ne_u16_sdwa s2, v8, v29 src0_sel:BYTE_1 src1_sel:DWORD
	v_lshrrev_b16 v19, 7, v8
	v_lshrrev_b32_e32 v21, 13, v34
	v_lshrrev_b32_e32 v35, 18, v34
	v_cmp_ne_u16_e32 vcc_lo, 0, v18
	v_cndmask_b32_e64 v8, 0, -1, s2
	v_bfe_i32 v19, v19, 0, 1
	v_lshl_or_b32 v21, v45, 17, v21
	v_bfe_i32 v35, v35, 0, 1
	v_cndmask_b32_e64 v18, 0, -1, vcc_lo
	v_lshlrev_b16 v8, 8, v8
	v_and_b32_e32 v37, 0xffffff00, v16
	v_and_b32_e32 v36, 0x1800180, v21
	v_bfe_u32 v21, v21, 24, 1
	v_lshlrev_b16 v18, 8, v18
	v_or_b32_sdwa v38, v19, v8 dst_sel:DWORD dst_unused:UNUSED_PAD src0_sel:BYTE_0 src1_sel:DWORD
	v_lshlrev_b16 v19, 8, v19
	v_cmp_ne_u16_sdwa s2, v36, v29 src0_sel:BYTE_1 src1_sel:DWORD
	v_cmp_ne_u16_e32 vcc_lo, 0, v21
	v_or_b32_sdwa v39, v35, v18 dst_sel:WORD_1 dst_unused:UNUSED_PAD src0_sel:BYTE_0 src1_sel:DWORD
	v_lshrrev_b16 v40, 7, v36
	v_lshlrev_b16 v35, 8, v35
	v_cndmask_b32_e64 v36, 0, -1, s2
	v_cndmask_b32_e64 v21, 0, -1, vcc_lo
	v_or_b32_sdwa v38, v38, v39 dst_sel:DWORD dst_unused:UNUSED_PAD src0_sel:WORD_0 src1_sel:DWORD
	v_lshrrev_b32_e32 v39, 22, v34
	v_bfe_i32 v40, v40, 0, 1
	v_lshlrev_b16 v36, 8, v36
	v_lshlrev_b16 v21, 8, v21
	s_waitcnt vmcnt(1)
	v_xor_b32_e32 v14, v14, v38
	v_bfe_i32 v38, v39, 0, 1
	v_lshlrev_b16 v39, 8, v43
	v_or_b32_sdwa v42, v40, v36 dst_sel:DWORD dst_unused:UNUSED_PAD src0_sel:BYTE_0 src1_sel:DWORD
	v_lshlrev_b16 v16, 8, v16
	v_lshrrev_b32_e32 v43, 16, v14
	v_or_b32_sdwa v44, v38, v21 dst_sel:WORD_1 dst_unused:UNUSED_PAD src0_sel:BYTE_0 src1_sel:DWORD
	v_and_b32_e32 v45, 0xffffff00, v14
	v_lshlrev_b16 v14, 8, v14
	v_sub_nc_i16 v16, v16, v39 clamp
	v_and_b32_e32 v46, 0xffffff00, v43
	v_lshlrev_b16 v43, 8, v43
	v_or_b32_sdwa v42, v42, v44 dst_sel:DWORD dst_unused:UNUSED_PAD src0_sel:WORD_0 src1_sel:DWORD
	v_sub_nc_i16 v8, v45, v8 clamp
	v_sub_nc_i16 v14, v14, v19 clamp
	;; [unrolled: 1-line block ×4, first 2 shown]
	v_xor_b32_e32 v15, v15, v42
	v_sub_nc_i16 v35, v37, v41 clamp
	v_perm_b32 v8, v14, v8, 0xc0c0105
	v_lshlrev_b16 v40, 8, v40
	v_perm_b32 v14, v19, v18, 0xc0c0105
	v_lshrrev_b32_e32 v18, 17, v34
	v_lshrrev_b32_e32 v19, 24, v34
	v_and_b32_e32 v39, 0xffffff00, v15
	v_lshrrev_b32_e32 v37, 16, v15
	v_lshl_or_b32 v8, v14, 16, v8
	v_lshlrev_b16 v15, 8, v15
	v_lshl_or_b32 v18, v19, 21, v18
	v_sub_nc_i16 v14, v39, v36 clamp
	v_and_b32_e32 v19, 0xffffff00, v37
	v_lshrrev_b32_e32 v39, 26, v34
	v_sub_nc_i16 v15, v15, v40 clamp
	v_and_b32_e32 v36, 0x1800180, v18
	v_bfe_u32 v18, v18, 24, 1
	v_sub_nc_i16 v19, v19, v21 clamp
	v_lshlrev_b16 v21, 8, v37
	v_lshlrev_b16 v37, 8, v38
	v_cmp_ne_u16_sdwa s2, v36, v29 src0_sel:BYTE_1 src1_sel:DWORD
	v_cmp_ne_u16_e32 vcc_lo, 0, v18
	v_lshrrev_b16 v38, 7, v36
	v_lshrrev_b32_e32 v40, 21, v34
	v_lshrrev_b32_e32 v42, 31, v34
	v_cndmask_b32_e64 v36, 0, -1, s2
	v_cndmask_b32_e64 v18, 0, -1, vcc_lo
	v_bfe_i32 v38, v38, 0, 1
	v_bfe_i32 v39, v39, 0, 1
	v_sub_nc_i16 v21, v21, v37 clamp
	v_lshlrev_b16 v36, 8, v36
	v_lshlrev_b16 v18, 8, v18
	v_lshrrev_b16 v37, 8, v40
	v_cmp_ne_u16_e32 vcc_lo, 0, v42
	v_lshrrev_b32_e32 v34, 30, v34
	v_or_b32_sdwa v41, v38, v36 dst_sel:DWORD dst_unused:UNUSED_PAD src0_sel:BYTE_0 src1_sel:DWORD
	v_or_b32_sdwa v43, v39, v18 dst_sel:WORD_1 dst_unused:UNUSED_PAD src0_sel:BYTE_0 src1_sel:DWORD
	v_bfe_i32 v37, v37, 0, 1
	v_lshrrev_b16 v40, 7, v40
	v_cndmask_b32_e64 v42, 0, -1, vcc_lo
	v_bfe_i32 v34, v34, 0, 1
	v_or_b32_sdwa v41, v41, v43 dst_sel:DWORD dst_unused:UNUSED_PAD src0_sel:WORD_0 src1_sel:DWORD
	v_lshlrev_b16 v37, 8, v37
	v_bfe_i32 v40, v40, 0, 1
	v_lshlrev_b16 v42, 8, v42
	v_perm_b32 v14, v15, v14, 0xc0c0105
	s_waitcnt vmcnt(0)
	v_xor_b32_e32 v12, v12, v41
	v_perm_b32 v15, v21, v19, 0xc0c0105
	v_or_b32_sdwa v19, v40, v37 dst_sel:DWORD dst_unused:UNUSED_PAD src0_sel:BYTE_0 src1_sel:DWORD
	v_or_b32_sdwa v21, v34, v42 dst_sel:WORD_1 dst_unused:UNUSED_PAD src0_sel:BYTE_0 src1_sel:DWORD
	v_lshlrev_b16 v38, 8, v38
	v_and_b32_e32 v41, 0xffffff00, v12
	v_lshlrev_b16 v43, 8, v12
	v_lshrrev_b32_e32 v12, 16, v12
	v_or_b32_sdwa v19, v19, v21 dst_sel:DWORD dst_unused:UNUSED_PAD src0_sel:WORD_0 src1_sel:DWORD
	v_mov_b32_e32 v44, 0
	v_sub_nc_i16 v21, v41, v36 clamp
	v_sub_nc_i16 v36, v43, v38 clamp
	v_and_b32_e32 v38, 0xffffff00, v12
	v_xor_b32_e32 v13, v13, v19
	v_lshl_or_b32 v14, v15, 16, v14
	v_dot4c_i32_i8 v44, v8, v3
	v_lshlrev_b16 v12, 8, v12
	v_sub_nc_i16 v8, v38, v18 clamp
	v_lshrrev_b32_e32 v15, 16, v13
	v_lshlrev_b16 v18, 8, v39
	v_perm_b32 v3, v36, v21, 0xc0c0105
	v_and_b32_e32 v19, 0xffffff00, v13
	v_lshlrev_b16 v13, 8, v13
	v_lshlrev_b16 v21, 8, v40
	v_and_b32_e32 v36, 0xffffff00, v15
	v_lshlrev_b16 v15, 8, v15
	v_lshlrev_b16 v34, 8, v34
	v_sub_nc_i16 v12, v12, v18 clamp
	v_sub_nc_i16 v18, v19, v37 clamp
	;; [unrolled: 1-line block ×5, first 2 shown]
	v_perm_b32 v8, v12, v8, 0xc0c0105
	v_perm_b32 v12, v16, v35, 0xc0c0105
	v_dot4c_i32_i8 v44, v14, v4
	v_perm_b32 v4, v13, v18, 0xc0c0105
	v_perm_b32 v13, v15, v19, 0xc0c0105
	v_lshl_or_b32 v3, v8, 16, v3
	v_lshl_or_b32 v8, v12, 16, v17
	v_dot4c_i32_i8 v20, v7, v9
	v_cmp_le_u32_e32 vcc_lo, s7, v27
	v_lshl_or_b32 v4, v13, 16, v4
	v_dot4c_i32_i8 v44, v3, v5
	v_bfe_u32 v5, v31, 4, 4
	v_dot4c_i32_i8 v20, v8, v2
	v_add_co_u32 v10, s2, 0x480, v10
	v_dot4c_i32_i8 v44, v4, v33
	v_and_b32_e32 v4, 15, v31
	v_add_co_ci_u32_e64 v11, null, 0, v11, s2
	s_or_b32 s14, vcc_lo, s14
	v_add_nc_u32_e32 v2, v44, v20
	v_lshrrev_b32_e32 v3, 31, v2
	v_add_nc_u32_e32 v2, v2, v3
	v_mul_lo_u32 v3, v20, v4
	v_mul_lo_u32 v4, v44, v5
	v_ashrrev_i32_e32 v2, 1, v2
	v_add3_u32 v2, v4, v3, v2
	v_ashrrev_i32_e32 v3, 31, v2
	v_lshrrev_b32_e32 v3, 30, v3
	v_add_nc_u32_e32 v2, v2, v3
	v_cvt_f32_f16_e32 v3, v32
	v_ashrrev_i32_e32 v2, 2, v2
	v_mul_f32_e32 v3, v3, v6
	v_cvt_f32_i32_e32 v2, v2
	v_fmac_f32_e32 v26, v3, v2
	s_andn2_b32 exec_lo, exec_lo, s14
	s_cbranch_execz .LBB181_16
.LBB181_14:                             ; =>This Inner Loop Header: Depth=1
	v_add_nc_u32_e32 v20, s15, v27
	s_getpc_b64 s[2:3]
	s_add_u32 s2, s2, _ZL9iq2s_grid@rel32@lo+4
	s_addc_u32 s3, s3, _ZL9iq2s_grid@rel32@hi+12
	v_mad_i64_i32 v[2:3], null, 0x52, v20, s[12:13]
	v_add_co_u32 v4, vcc_lo, v2, v30
	v_add_co_ci_u32_e64 v5, null, 0, v3, vcc_lo
	v_add_co_u32 v6, vcc_lo, v2, v28
	v_add_co_ci_u32_e64 v7, null, 0, v3, vcc_lo
	s_clause 0x4
	global_load_dword v8, v[4:5], off offset:2
	global_load_ubyte v9, v[6:7], off offset:66
	global_load_ubyte v31, v[6:7], off offset:74
	global_load_dword v34, v[4:5], off offset:34
	global_load_ushort v32, v[2:3], off
	s_andn2_b32 vcc_lo, exec_lo, s9
	s_waitcnt vmcnt(4)
	v_and_b32_e32 v3, 0xff, v8
	s_waitcnt vmcnt(3)
	v_lshlrev_b32_e32 v4, 8, v9
	v_bfe_u32 v5, v8, 8, 8
	v_lshlrev_b32_e32 v6, 6, v9
	v_lshrrev_b32_e32 v2, 24, v8
	v_bfe_u32 v7, v8, 16, 8
	v_lshlrev_b32_e32 v8, 4, v9
	v_lshlrev_b32_e32 v9, 2, v9
	v_and_or_b32 v12, 0x300, v4, v3
	v_and_or_b32 v13, 0x300, v6, v5
	;; [unrolled: 1-line block ×4, first 2 shown]
	v_lshlrev_b32_e32 v12, 3, v12
	v_lshlrev_b32_e32 v13, 3, v13
	s_clause 0x1
	global_load_dwordx4 v[6:9], v[10:11], off offset:-32
	global_load_dwordx4 v[2:5], v[10:11], off offset:-16
	v_lshlrev_b32_e32 v14, 3, v14
	v_lshlrev_b32_e32 v21, 3, v15
	global_load_dword v33, v[10:11], off
	s_clause 0x3
	global_load_dwordx2 v[18:19], v12, s[2:3]
	global_load_dwordx2 v[16:17], v13, s[2:3]
	;; [unrolled: 1-line block ×4, first 2 shown]
	s_waitcnt vmcnt(6)
	v_cvt_f32_f16_e32 v6, v6
	s_cbranch_vccnz .LBB181_13
; %bb.15:                               ;   in Loop: Header=BB181_14 Depth=1
	v_mad_i64_i32 v[20:21], null, 0x52, v20, s[28:29]
	v_add_co_u32 v35, vcc_lo, v20, v28
	v_add_co_ci_u32_e64 v36, null, 0, v21, vcc_lo
	v_add_co_u32 v37, vcc_lo, v20, v30
	v_add_co_ci_u32_e64 v38, null, 0, v21, vcc_lo
	s_clause 0x4
	global_load_dword v39, v[37:38], off offset:2
	global_load_ubyte v41, v[35:36], off offset:66
	global_load_dword v37, v[37:38], off offset:34
	global_load_ubyte v42, v[35:36], off offset:74
	global_load_ushort v20, v[20:21], off
	s_waitcnt vmcnt(3)
	v_lshlrev_b32_e32 v36, 8, v41
	v_and_b32_e32 v35, 0xff, v39
	s_waitcnt vmcnt(2)
	v_lshlrev_b32_e32 v43, 21, v37
	v_lshrrev_b32_e32 v38, 16, v37
	v_lshrrev_b32_e32 v40, 24, v39
	s_waitcnt vmcnt(0)
	v_cvt_f32_f16_e32 v20, v20
	v_and_or_b32 v35, 0x300, v36, v35
	v_and_b32_e32 v36, 0xff, v37
	v_mul_f32_e32 v20, v6, v20
	v_lshlrev_b32_e32 v35, 3, v35
	v_lshl_or_b32 v43, v36, 7, v43
	v_and_b32_e32 v44, 0x1800180, v43
	v_bfe_u32 v43, v43, 24, 1
	v_cmp_ne_u16_sdwa s16, v44, v29 src0_sel:BYTE_1 src1_sel:DWORD
	v_cmp_ne_u16_e32 vcc_lo, 0, v43
	v_lshrrev_b16 v43, 7, v44
	v_lshrrev_b32_e32 v44, 2, v37
	v_cndmask_b32_e64 v45, 0, -1, s16
	v_cndmask_b32_e64 v47, 0, -1, vcc_lo
	v_bfe_i32 v43, v43, 0, 1
	v_bfe_i32 v44, v44, 0, 1
	v_lshlrev_b16 v45, 8, v45
	v_lshlrev_b16 v47, 8, v47
	v_or_b32_sdwa v46, v43, v45 dst_sel:DWORD dst_unused:UNUSED_PAD src0_sel:BYTE_0 src1_sel:DWORD
	v_or_b32_sdwa v48, v44, v47 dst_sel:WORD_1 dst_unused:UNUSED_PAD src0_sel:BYTE_0 src1_sel:DWORD
	v_lshlrev_b16 v43, 8, v43
	v_lshlrev_b16 v44, 8, v44
	v_or_b32_sdwa v46, v46, v48 dst_sel:DWORD dst_unused:UNUSED_PAD src0_sel:WORD_0 src1_sel:DWORD
	v_lshlrev_b32_e32 v48, 17, v37
	v_lshl_or_b32 v36, v36, 3, v48
	v_and_b32_e32 v48, 0x1800180, v36
	v_bfe_u32 v36, v36, 24, 1
	v_cmp_ne_u16_sdwa s16, v48, v29 src0_sel:BYTE_1 src1_sel:DWORD
	v_cmp_ne_u16_e32 vcc_lo, 0, v36
	v_lshrrev_b16 v36, 7, v48
	v_lshrrev_b32_e32 v48, 6, v37
	v_cndmask_b32_e64 v51, 0, -1, vcc_lo
	v_bfe_i32 v49, v36, 0, 1
	v_cndmask_b32_e64 v36, 0, -1, s16
	v_bfe_i32 v48, v48, 0, 1
	v_lshlrev_b16 v51, 8, v51
	v_lshlrev_b16 v50, 8, v36
	v_or_b32_sdwa v52, v48, v51 dst_sel:WORD_1 dst_unused:UNUSED_PAD src0_sel:BYTE_0 src1_sel:DWORD
	v_or_b32_sdwa v36, v49, v50 dst_sel:DWORD dst_unused:UNUSED_PAD src0_sel:BYTE_0 src1_sel:DWORD
	v_or_b32_sdwa v52, v36, v52 dst_sel:DWORD dst_unused:UNUSED_PAD src0_sel:WORD_0 src1_sel:DWORD
	global_load_dwordx2 v[35:36], v35, s[2:3]
	s_waitcnt vmcnt(0)
	v_xor_b32_e32 v35, v35, v46
	v_xor_b32_e32 v36, v36, v52
	v_lshrrev_b32_e32 v46, 16, v35
	v_and_b32_e32 v53, 0xffffff00, v35
	v_lshlrev_b16 v35, 8, v35
	v_sub_nc_i16 v45, v53, v45 clamp
	v_sub_nc_i16 v35, v35, v43 clamp
	v_and_b32_e32 v43, 0xffffff00, v46
	v_perm_b32 v35, v35, v45, 0xc0c0105
	v_lshlrev_b16 v45, 8, v46
	v_sub_nc_i16 v43, v43, v47 clamp
	v_sub_nc_i16 v44, v45, v44 clamp
	v_lshlrev_b16 v45, 8, v49
	v_lshrrev_b32_e32 v49, 15, v37
	v_perm_b32 v43, v44, v43, 0xc0c0105
	v_and_b32_e32 v44, 0xffffff00, v36
	v_bfe_i32 v49, v49, 0, 1
	v_lshl_or_b32 v35, v43, 16, v35
	v_lshrrev_b32_e32 v43, 16, v36
	v_lshlrev_b16 v36, 8, v36
	v_sub_nc_i16 v44, v44, v50 clamp
	v_lshrrev_b32_e32 v50, 14, v37
	v_lshlrev_b16 v49, 8, v49
	v_sub_nc_i16 v36, v36, v45 clamp
	v_lshlrev_b16 v45, 8, v48
	v_bfe_i32 v50, v50, 0, 1
	v_perm_b32 v36, v36, v44, 0xc0c0105
	v_and_b32_e32 v44, 0xffffff00, v43
	v_lshlrev_b16 v43, 8, v43
	v_or_b32_sdwa v53, v50, v49 dst_sel:WORD_1 dst_unused:UNUSED_PAD src0_sel:BYTE_0 src1_sel:DWORD
	v_sub_nc_i16 v44, v44, v51 clamp
	v_sub_nc_i16 v43, v43, v45 clamp
	v_lshrrev_b32_e32 v45, 10, v37
	v_perm_b32 v43, v43, v44, 0xc0c0105
	v_lshrrev_b32_e32 v44, 11, v37
	v_bfe_i32 v45, v45, 0, 1
	v_lshl_or_b32 v36, v43, 16, v36
	v_mov_b32_e32 v43, 0
	v_bfe_i32 v44, v44, 0, 1
	v_dot4c_i32_i8 v43, v35, v7
	v_bfe_u32 v35, v39, 8, 8
	v_lshlrev_b16 v44, 8, v44
	v_dot4c_i32_i8 v43, v36, v8
	v_lshlrev_b32_e32 v36, 6, v41
	v_or_b32_sdwa v48, v45, v44 dst_sel:WORD_1 dst_unused:UNUSED_PAD src0_sel:BYTE_0 src1_sel:DWORD
	v_lshlrev_b16 v45, 8, v45
	v_and_or_b32 v35, 0x300, v36, v35
	v_lshrrev_b32_e32 v36, 1, v37
	v_lshlrev_b32_e32 v35, 3, v35
	v_and_b32_e32 v36, 0x180, v36
	v_cmp_ne_u16_sdwa s16, v36, v29 src0_sel:BYTE_1 src1_sel:DWORD
	v_lshrrev_b16 v36, 7, v36
	v_bfe_i32 v46, v36, 0, 1
	v_cndmask_b32_e64 v36, 0, -1, s16
	v_lshlrev_b16 v47, 8, v36
	v_or_b32_sdwa v36, v46, v47 dst_sel:DWORD dst_unused:UNUSED_PAD src0_sel:BYTE_0 src1_sel:DWORD
	v_lshlrev_b16 v46, 8, v46
	v_or_b32_sdwa v48, v36, v48 dst_sel:DWORD dst_unused:UNUSED_PAD src0_sel:WORD_0 src1_sel:DWORD
	v_lshrrev_b32_e32 v36, 5, v37
	v_and_b32_e32 v36, 0x180, v36
	v_cmp_ne_u16_sdwa s16, v36, v29 src0_sel:BYTE_1 src1_sel:DWORD
	v_lshrrev_b16 v36, 7, v36
	v_bfe_i32 v51, v36, 0, 1
	v_cndmask_b32_e64 v36, 0, -1, s16
	v_lshlrev_b16 v52, 8, v36
	v_or_b32_sdwa v36, v51, v52 dst_sel:DWORD dst_unused:UNUSED_PAD src0_sel:BYTE_0 src1_sel:DWORD
	v_or_b32_sdwa v53, v36, v53 dst_sel:DWORD dst_unused:UNUSED_PAD src0_sel:WORD_0 src1_sel:DWORD
	global_load_dwordx2 v[35:36], v35, s[2:3]
	s_waitcnt vmcnt(0)
	v_xor_b32_e32 v35, v35, v48
	v_xor_b32_e32 v36, v36, v53
	v_lshrrev_b32_e32 v48, 16, v35
	v_and_b32_e32 v54, 0xffffff00, v35
	v_lshlrev_b16 v35, 8, v35
	v_sub_nc_i16 v47, v54, v47 clamp
	v_sub_nc_i16 v35, v35, v46 clamp
	v_and_b32_e32 v46, 0xffffff00, v48
	v_perm_b32 v35, v35, v47, 0xc0c0105
	v_sub_nc_i16 v44, v46, v44 clamp
	v_lshlrev_b16 v46, 8, v48
	v_sub_nc_i16 v45, v46, v45 clamp
	v_lshlrev_b16 v46, 8, v51
	v_perm_b32 v44, v45, v44, 0xc0c0105
	v_and_b32_e32 v45, 0xffffff00, v36
	v_lshl_or_b32 v35, v44, 16, v35
	v_lshrrev_b32_e32 v44, 16, v36
	v_lshlrev_b16 v36, 8, v36
	v_sub_nc_i16 v45, v45, v52 clamp
	v_dot4c_i32_i8 v43, v35, v9
	v_bfe_u32 v35, v39, 16, 8
	v_sub_nc_i16 v36, v36, v46 clamp
	v_lshlrev_b16 v46, 8, v50
	v_perm_b32 v36, v36, v45, 0xc0c0105
	v_and_b32_e32 v45, 0xffffff00, v44
	v_lshlrev_b16 v44, 8, v44
	v_sub_nc_i16 v45, v45, v49 clamp
	v_sub_nc_i16 v44, v44, v46 clamp
	v_perm_b32 v44, v44, v45, 0xc0c0105
	v_lshl_or_b32 v36, v44, 16, v36
	v_dot4c_i32_i8 v43, v36, v2
	v_lshlrev_b32_e32 v36, 4, v41
	v_and_or_b32 v35, 0x300, v36, v35
	v_lshrrev_b32_e32 v36, 9, v37
	v_lshlrev_b32_e32 v35, 3, v35
	v_lshl_or_b32 v36, v38, 21, v36
	v_and_b32_e32 v39, 0x1800180, v36
	v_bfe_u32 v36, v36, 24, 1
	v_cmp_ne_u16_sdwa s16, v39, v29 src0_sel:BYTE_1 src1_sel:DWORD
	v_cmp_ne_u16_e32 vcc_lo, 0, v36
	v_lshrrev_b16 v36, 7, v39
	v_lshrrev_b32_e32 v39, 18, v37
	v_cndmask_b32_e64 v46, 0, -1, vcc_lo
	v_bfe_i32 v44, v36, 0, 1
	v_cndmask_b32_e64 v36, 0, -1, s16
	v_bfe_i32 v39, v39, 0, 1
	v_lshlrev_b16 v46, 8, v46
	v_lshlrev_b16 v45, 8, v36
	v_or_b32_sdwa v47, v39, v46 dst_sel:WORD_1 dst_unused:UNUSED_PAD src0_sel:BYTE_0 src1_sel:DWORD
	v_lshlrev_b16 v39, 8, v39
	v_or_b32_sdwa v36, v44, v45 dst_sel:DWORD dst_unused:UNUSED_PAD src0_sel:BYTE_0 src1_sel:DWORD
	v_lshlrev_b16 v44, 8, v44
	v_or_b32_sdwa v47, v36, v47 dst_sel:DWORD dst_unused:UNUSED_PAD src0_sel:WORD_0 src1_sel:DWORD
	v_lshrrev_b32_e32 v36, 13, v37
	v_lshl_or_b32 v36, v38, 17, v36
	v_and_b32_e32 v38, 0x1800180, v36
	v_bfe_u32 v36, v36, 24, 1
	v_cmp_ne_u16_sdwa s16, v38, v29 src0_sel:BYTE_1 src1_sel:DWORD
	v_cmp_ne_u16_e32 vcc_lo, 0, v36
	v_lshrrev_b16 v36, 7, v38
	v_lshrrev_b32_e32 v38, 22, v37
	v_cndmask_b32_e64 v50, 0, -1, vcc_lo
	v_bfe_i32 v48, v36, 0, 1
	v_cndmask_b32_e64 v36, 0, -1, s16
	v_bfe_i32 v38, v38, 0, 1
	v_lshlrev_b16 v50, 8, v50
	v_lshlrev_b16 v49, 8, v36
	v_or_b32_sdwa v51, v38, v50 dst_sel:WORD_1 dst_unused:UNUSED_PAD src0_sel:BYTE_0 src1_sel:DWORD
	v_lshlrev_b16 v38, 8, v38
	v_or_b32_sdwa v36, v48, v49 dst_sel:DWORD dst_unused:UNUSED_PAD src0_sel:BYTE_0 src1_sel:DWORD
	v_or_b32_sdwa v51, v36, v51 dst_sel:DWORD dst_unused:UNUSED_PAD src0_sel:WORD_0 src1_sel:DWORD
	global_load_dwordx2 v[35:36], v35, s[2:3]
	s_waitcnt vmcnt(0)
	v_xor_b32_e32 v35, v35, v47
	v_xor_b32_e32 v36, v36, v51
	v_lshrrev_b32_e32 v47, 16, v35
	v_and_b32_e32 v52, 0xffffff00, v35
	v_lshlrev_b16 v35, 8, v35
	v_sub_nc_i16 v45, v52, v45 clamp
	v_sub_nc_i16 v35, v35, v44 clamp
	v_and_b32_e32 v44, 0xffffff00, v47
	v_perm_b32 v35, v35, v45, 0xc0c0105
	v_lshlrev_b16 v45, 8, v47
	v_sub_nc_i16 v44, v44, v46 clamp
	v_lshrrev_b32_e32 v47, 31, v37
	v_sub_nc_i16 v39, v45, v39 clamp
	v_lshlrev_b16 v45, 8, v48
	v_perm_b32 v39, v39, v44, 0xc0c0105
	v_and_b32_e32 v44, 0xffffff00, v36
	v_lshl_or_b32 v35, v39, 16, v35
	v_lshrrev_b32_e32 v39, 16, v36
	v_lshlrev_b16 v36, 8, v36
	v_sub_nc_i16 v44, v44, v49 clamp
	v_sub_nc_i16 v36, v36, v45 clamp
	v_perm_b32 v36, v36, v44, 0xc0c0105
	v_and_b32_e32 v44, 0xffffff00, v39
	v_lshlrev_b16 v39, 8, v39
	v_sub_nc_i16 v44, v44, v50 clamp
	v_sub_nc_i16 v38, v39, v38 clamp
	v_lshrrev_b32_e32 v39, 24, v37
	v_perm_b32 v38, v38, v44, 0xc0c0105
	v_lshl_or_b32 v36, v38, 16, v36
	v_mov_b32_e32 v38, 0
	v_dot4c_i32_i8 v38, v35, v3
	v_lshlrev_b32_e32 v35, 2, v41
	v_dot4c_i32_i8 v38, v36, v4
	v_lshrrev_b32_e32 v36, 17, v37
	v_and_or_b32 v35, 0x300, v35, v40
	v_lshl_or_b32 v36, v39, 21, v36
	v_lshlrev_b32_e32 v35, 3, v35
	v_and_b32_e32 v39, 0x1800180, v36
	v_bfe_u32 v36, v36, 24, 1
	v_cmp_ne_u16_sdwa s16, v39, v29 src0_sel:BYTE_1 src1_sel:DWORD
	v_cmp_ne_u16_e32 vcc_lo, 0, v36
	v_lshrrev_b16 v36, 7, v39
	v_lshrrev_b32_e32 v39, 26, v37
	v_cndmask_b32_e64 v44, 0, -1, vcc_lo
	v_bfe_i32 v40, v36, 0, 1
	v_cndmask_b32_e64 v36, 0, -1, s16
	v_bfe_i32 v39, v39, 0, 1
	v_cmp_ne_u16_e32 vcc_lo, 0, v47
	v_lshlrev_b16 v44, 8, v44
	v_lshlrev_b16 v41, 8, v36
	v_cndmask_b32_e64 v48, 0, -1, vcc_lo
	v_or_b32_sdwa v45, v39, v44 dst_sel:WORD_1 dst_unused:UNUSED_PAD src0_sel:BYTE_0 src1_sel:DWORD
	v_lshlrev_b16 v39, 8, v39
	v_or_b32_sdwa v36, v40, v41 dst_sel:DWORD dst_unused:UNUSED_PAD src0_sel:BYTE_0 src1_sel:DWORD
	v_lshlrev_b16 v40, 8, v40
	v_lshlrev_b16 v48, 8, v48
	v_or_b32_sdwa v45, v36, v45 dst_sel:DWORD dst_unused:UNUSED_PAD src0_sel:WORD_0 src1_sel:DWORD
	v_lshrrev_b32_e32 v36, 21, v37
	v_lshrrev_b32_e32 v37, 30, v37
	v_lshrrev_b16 v46, 8, v36
	v_lshrrev_b16 v36, 7, v36
	v_bfe_i32 v37, v37, 0, 1
	v_bfe_i32 v46, v46, 0, 1
	;; [unrolled: 1-line block ×3, first 2 shown]
	v_or_b32_sdwa v49, v37, v48 dst_sel:WORD_1 dst_unused:UNUSED_PAD src0_sel:BYTE_0 src1_sel:DWORD
	v_lshlrev_b16 v37, 8, v37
	v_lshlrev_b16 v46, 8, v46
	v_or_b32_sdwa v36, v47, v46 dst_sel:DWORD dst_unused:UNUSED_PAD src0_sel:BYTE_0 src1_sel:DWORD
	v_or_b32_sdwa v49, v36, v49 dst_sel:DWORD dst_unused:UNUSED_PAD src0_sel:WORD_0 src1_sel:DWORD
	global_load_dwordx2 v[35:36], v35, s[2:3]
	s_waitcnt vmcnt(0)
	v_xor_b32_e32 v35, v35, v45
	v_xor_b32_e32 v36, v36, v49
	v_lshrrev_b32_e32 v45, 16, v35
	v_and_b32_e32 v50, 0xffffff00, v35
	v_lshlrev_b16 v35, 8, v35
	v_sub_nc_i16 v41, v50, v41 clamp
	v_sub_nc_i16 v35, v35, v40 clamp
	v_and_b32_e32 v40, 0xffffff00, v45
	v_perm_b32 v35, v35, v41, 0xc0c0105
	v_lshlrev_b16 v41, 8, v45
	v_sub_nc_i16 v40, v40, v44 clamp
	v_sub_nc_i16 v39, v41, v39 clamp
	v_lshlrev_b16 v41, 8, v47
	v_perm_b32 v39, v39, v40, 0xc0c0105
	v_and_b32_e32 v40, 0xffffff00, v36
	v_lshl_or_b32 v35, v39, 16, v35
	v_lshrrev_b32_e32 v39, 16, v36
	v_lshlrev_b16 v36, 8, v36
	v_sub_nc_i16 v40, v40, v46 clamp
	v_dot4c_i32_i8 v38, v35, v5
	v_lshrrev_b32_e32 v35, 4, v42
	v_sub_nc_i16 v36, v36, v41 clamp
	v_perm_b32 v36, v36, v40, 0xc0c0105
	v_and_b32_e32 v40, 0xffffff00, v39
	v_lshlrev_b16 v39, 8, v39
	v_sub_nc_i16 v40, v40, v48 clamp
	v_sub_nc_i16 v37, v39, v37 clamp
	v_perm_b32 v37, v37, v40, 0xc0c0105
	v_lshl_or_b32 v36, v37, 16, v36
	v_dot4c_i32_i8 v38, v36, v33
	v_and_b32_e32 v36, 15, v42
	v_add_nc_u32_e32 v37, v38, v43
	v_mul_lo_u32 v35, v38, v35
	v_mul_lo_u32 v36, v43, v36
	v_lshrrev_b32_e32 v38, 31, v37
	v_add_nc_u32_e32 v37, v37, v38
	v_ashrrev_i32_e32 v37, 1, v37
	v_add3_u32 v35, v35, v36, v37
	v_ashrrev_i32_e32 v36, 31, v35
	v_lshrrev_b32_e32 v36, 30, v36
	v_add_nc_u32_e32 v35, v35, v36
	v_ashrrev_i32_e32 v35, 2, v35
	v_cvt_f32_i32_e32 v21, v35
	v_fmac_f32_e32 v25, v20, v21
	s_branch .LBB181_13
.LBB181_16:
	s_or_b32 exec_lo, exec_lo, s14
.LBB181_17:
	s_or_b32 exec_lo, exec_lo, s11
	s_load_dword s2, s[4:5], 0x30
	s_waitcnt vmcnt(0) lgkmcnt(0)
	; wave barrier
	buffer_gl0_inv
	s_mov_b32 s3, exec_lo
	v_cmpx_eq_u32_e32 0, v1
	s_cbranch_execz .LBB181_44
; %bb.18:
	v_mbcnt_lo_u32_b32 v2, -1, 0
	v_xor_b32_e32 v1, 16, v2
	v_xor_b32_e32 v4, 8, v2
	;; [unrolled: 1-line block ×3, first 2 shown]
	v_cmp_gt_i32_e32 vcc_lo, 32, v1
	v_cndmask_b32_e32 v1, v2, v1, vcc_lo
	v_cmp_gt_i32_e32 vcc_lo, 32, v4
	v_lshlrev_b32_e32 v1, 2, v1
	v_cndmask_b32_e32 v4, v2, v4, vcc_lo
	v_cmp_gt_i32_e32 vcc_lo, 32, v5
	ds_bpermute_b32 v3, v1, v26
	v_lshlrev_b32_e32 v4, 2, v4
	v_cndmask_b32_e32 v5, v2, v5, vcc_lo
	v_lshlrev_b32_e32 v5, 2, v5
	s_waitcnt lgkmcnt(0)
	v_add_f32_e32 v3, v26, v3
	ds_bpermute_b32 v6, v4, v3
	s_waitcnt lgkmcnt(0)
	v_add_f32_e32 v3, v3, v6
	v_xor_b32_e32 v6, 2, v2
	ds_bpermute_b32 v7, v5, v3
	v_cmp_gt_i32_e32 vcc_lo, 32, v6
	v_cndmask_b32_e32 v6, v2, v6, vcc_lo
	v_lshlrev_b32_e32 v6, 2, v6
	s_waitcnt lgkmcnt(0)
	v_add_f32_e32 v3, v3, v7
	v_xor_b32_e32 v7, 1, v2
	ds_bpermute_b32 v8, v6, v3
	v_cmp_gt_i32_e32 vcc_lo, 32, v7
	v_cndmask_b32_e32 v2, v2, v7, vcc_lo
	v_cmp_ne_u32_e32 vcc_lo, 1, v24
	v_lshlrev_b32_e32 v7, 2, v2
	s_waitcnt lgkmcnt(0)
	v_add_f32_e32 v2, v3, v8
	ds_bpermute_b32 v3, v7, v2
	s_cbranch_vccnz .LBB181_20
; %bb.19:
	ds_bpermute_b32 v1, v1, v25
	s_waitcnt lgkmcnt(0)
	v_add_f32_e32 v1, v25, v1
	ds_bpermute_b32 v4, v4, v1
	s_waitcnt lgkmcnt(0)
	v_add_f32_e32 v1, v1, v4
	;; [unrolled: 3-line block ×5, first 2 shown]
.LBB181_20:
	v_cmp_eq_u32_e32 vcc_lo, 0, v0
	s_and_b32 exec_lo, exec_lo, vcc_lo
	s_cbranch_execz .LBB181_44
; %bb.21:
	s_waitcnt lgkmcnt(0)
	v_add_f32_e32 v1, v2, v3
	v_cmp_ne_u32_e32 vcc_lo, 1, v24
	v_add_f32_e32 v2, v23, v1
	v_cndmask_b32_e64 v1, v1, v2, s0
	s_cbranch_vccnz .LBB181_43
; %bb.22:
	v_add_f32_e32 v2, v22, v25
	s_cmp_lt_i32 s2, 2
	s_mov_b32 s0, 0
	v_cndmask_b32_e64 v2, v25, v2, s1
	s_cbranch_scc1 .LBB181_26
; %bb.23:
	s_cmp_gt_i32 s2, 2
	s_cbranch_scc0 .LBB181_27
; %bb.24:
	s_cmp_eq_u32 s2, 3
	s_cbranch_scc0 .LBB181_28
; %bb.25:
	v_max_f32_e32 v3, v2, v2
	s_mov_b32 s1, 0
	v_min_f32_e32 v3, 0x40e00000, v3
	v_mul_f32_e32 v4, 0xbfd9db23, v3
	v_mul_f32_e32 v5, 0x3fb8aa3b, v4
	v_cmp_ngt_f32_e32 vcc_lo, 0xc2ce8ed0, v4
	v_fma_f32 v6, 0x3fb8aa3b, v4, -v5
	v_rndne_f32_e32 v7, v5
	v_fmamk_f32 v6, v4, 0x32a5705f, v6
	v_sub_f32_e32 v5, v5, v7
	v_add_f32_e32 v5, v5, v6
	v_cvt_i32_f32_e32 v6, v7
	v_exp_f32_e32 v5, v5
	v_ldexp_f32 v5, v5, v6
	v_cndmask_b32_e32 v5, 0, v5, vcc_lo
	v_cmp_nlt_f32_e32 vcc_lo, 0x42b17218, v4
	v_cndmask_b32_e32 v4, 0x7f800000, v5, vcc_lo
	v_add_f32_e32 v4, 1.0, v4
	v_div_scale_f32 v5, null, v4, v4, v3
	v_div_scale_f32 v8, vcc_lo, v3, v4, v3
	v_rcp_f32_e32 v6, v5
	v_fma_f32 v7, -v5, v6, 1.0
	v_fmac_f32_e32 v6, v7, v6
	v_mul_f32_e32 v7, v8, v6
	v_fma_f32 v9, -v5, v7, v8
	v_fmac_f32_e32 v7, v9, v6
	v_max_f32_e32 v9, v1, v1
	v_fma_f32 v5, -v5, v7, v8
	v_min_f32_e32 v8, 0x40e00000, v9
	v_div_fmas_f32 v5, v5, v6, v7
	v_max_f32_e32 v6, 0xc0e00000, v8
	v_div_fixup_f32 v3, v5, v4, v3
	v_add_f32_e32 v4, 1.0, v6
	v_mul_f32_e32 v3, v4, v3
	s_branch .LBB181_29
.LBB181_26:
	s_mov_b32 s1, 0
                                        ; implicit-def: $vgpr3
	s_cbranch_execnz .LBB181_33
	s_branch .LBB181_34
.LBB181_27:
	s_mov_b32 s3, -1
	s_mov_b32 s1, 0
                                        ; implicit-def: $vgpr3
	s_branch .LBB181_30
.LBB181_28:
	s_mov_b32 s1, -1
                                        ; implicit-def: $vgpr3
.LBB181_29:
	s_mov_b32 s3, 0
.LBB181_30:
	s_and_b32 vcc_lo, exec_lo, s3
	s_cbranch_vccz .LBB181_32
; %bb.31:
	v_mul_f32_e32 v3, 0xbfb8aa3b, v2
	v_cmp_nlt_f32_e32 vcc_lo, 0x42ce8ed0, v2
	v_rndne_f32_e32 v4, v3
	v_fma_f32 v5, 0xbfb8aa3b, v2, -v3
	v_sub_f32_e32 v3, v3, v4
	v_fmamk_f32 v5, v2, 0xb2a5705f, v5
	v_cvt_i32_f32_e32 v4, v4
	v_add_f32_e32 v3, v3, v5
	v_exp_f32_e32 v3, v3
	v_ldexp_f32 v3, v3, v4
	v_cndmask_b32_e32 v3, 0, v3, vcc_lo
	v_cmp_ngt_f32_e32 vcc_lo, 0xc2b17218, v2
	v_cndmask_b32_e32 v3, 0x7f800000, v3, vcc_lo
	v_add_f32_e32 v3, 1.0, v3
	v_div_scale_f32 v4, null, v3, v3, v2
	v_rcp_f32_e32 v5, v4
	v_fma_f32 v6, -v4, v5, 1.0
	v_fmac_f32_e32 v5, v6, v5
	v_div_scale_f32 v6, vcc_lo, v2, v3, v2
	v_mul_f32_e32 v7, v6, v5
	v_fma_f32 v8, -v4, v7, v6
	v_fmac_f32_e32 v7, v8, v5
	v_fma_f32 v4, -v4, v7, v6
	v_div_fmas_f32 v4, v4, v5, v7
	v_div_fixup_f32 v3, v4, v3, v2
	v_mul_f32_e32 v3, v1, v3
.LBB181_32:
	s_branch .LBB181_34
.LBB181_33:
	s_cmp_lg_u32 s2, 1
	s_mov_b32 s0, -1
	s_cselect_b32 s1, -1, 0
.LBB181_34:
	s_andn2_b32 vcc_lo, exec_lo, s1
	s_cbranch_vccz .LBB181_36
; %bb.35:
	s_andn2_b32 vcc_lo, exec_lo, s0
	s_cbranch_vccz .LBB181_37
	s_branch .LBB181_42
.LBB181_36:
	v_mul_f32_e32 v3, v2, v1
	s_cbranch_execnz .LBB181_42
.LBB181_37:
	v_mul_f32_e32 v3, 0x3d372713, v2
	v_mul_f32_e32 v4, 0x3f4c422a, v2
	v_fma_f32 v3, v2, v3, 1.0
	v_mul_f32_e32 v3, v4, v3
                                        ; implicit-def: $vgpr4
	v_cmp_ngt_f32_e64 s0, 0x3f200000, |v3|
	s_and_saveexec_b32 s1, s0
	s_xor_b32 s0, exec_lo, s1
	s_cbranch_execz .LBB181_39
; %bb.38:
	v_add_f32_e64 v4, |v3|, |v3|
	v_mul_f32_e32 v5, 0x3fb8aa3b, v4
	v_cmp_ngt_f32_e32 vcc_lo, 0xc2ce8ed0, v4
	v_rndne_f32_e32 v6, v5
	v_fma_f32 v7, 0x3fb8aa3b, v4, -v5
	v_sub_f32_e32 v5, v5, v6
	v_fmamk_f32 v7, v4, 0x32a5705f, v7
	v_cvt_i32_f32_e32 v6, v6
	v_add_f32_e32 v5, v5, v7
	v_exp_f32_e32 v5, v5
	v_ldexp_f32 v5, v5, v6
	v_cndmask_b32_e32 v5, 0, v5, vcc_lo
	v_cmp_nlt_f32_e32 vcc_lo, 0x42b17218, v4
	v_cndmask_b32_e32 v4, 0x7f800000, v5, vcc_lo
	v_add_f32_e32 v4, 1.0, v4
	v_rcp_f32_e32 v4, v4
	v_fma_f32 v4, v4, -2.0, 1.0
.LBB181_39:
	s_andn2_saveexec_b32 s0, s0
	s_cbranch_execz .LBB181_41
; %bb.40:
	v_mul_f32_e32 v4, v3, v3
	s_mov_b32 s1, 0xbbbac73d
	v_fmaak_f32 v5, s1, v4, 0x3ca908c9
	v_fmaak_f32 v5, v4, v5, 0xbd5c1c4e
	;; [unrolled: 1-line block ×4, first 2 shown]
	v_mul_f32_e64 v5, |v3|, v5
	v_fma_f32 v4, v4, v5, |v3|
.LBB181_41:
	s_or_b32 exec_lo, exec_lo, s0
	v_bfi_b32 v3, 0x7fffffff, v4, v3
	v_mul_f32_e32 v2, 0.5, v2
	v_add_f32_e32 v3, 1.0, v3
	v_mul_f32_e32 v2, v2, v3
	v_mul_f32_e32 v3, v1, v2
.LBB181_42:
	v_mov_b32_e32 v1, v3
.LBB181_43:
	s_load_dwordx2 s[0:1], s[4:5], 0x38
	s_mul_i32 s2, s22, s10
	s_mul_i32 s3, s26, s8
	s_add_i32 s2, s2, s6
	v_lshlrev_b32_e32 v0, 2, v0
	s_add_i32 s2, s2, s3
	s_mov_b32 s3, 0
	s_lshl_b64 s[2:3], s[2:3], 2
	s_waitcnt lgkmcnt(0)
	s_add_u32 s0, s0, s2
	s_addc_u32 s1, s1, s3
	global_store_dword v0, v1, s[0:1]
.LBB181_44:
	s_endpgm
	.section	.rodata,"a",@progbits
	.p2align	6, 0x0
	.amdhsa_kernel _ZL13mul_mat_vec_qIL9ggml_type22ELi1ELb1ELb1EEvPKvS2_PKi31ggml_cuda_mm_fusion_args_devicePfj15HIP_vector_typeIjLj3EEjjjS8_jjjS8_jjjj
		.amdhsa_group_segment_fixed_size 0
		.amdhsa_private_segment_fixed_size 0
		.amdhsa_kernarg_size 144
		.amdhsa_user_sgpr_count 6
		.amdhsa_user_sgpr_private_segment_buffer 1
		.amdhsa_user_sgpr_dispatch_ptr 0
		.amdhsa_user_sgpr_queue_ptr 0
		.amdhsa_user_sgpr_kernarg_segment_ptr 1
		.amdhsa_user_sgpr_dispatch_id 0
		.amdhsa_user_sgpr_flat_scratch_init 0
		.amdhsa_user_sgpr_private_segment_size 0
		.amdhsa_wavefront_size32 1
		.amdhsa_uses_dynamic_stack 0
		.amdhsa_system_sgpr_private_segment_wavefront_offset 0
		.amdhsa_system_sgpr_workgroup_id_x 1
		.amdhsa_system_sgpr_workgroup_id_y 1
		.amdhsa_system_sgpr_workgroup_id_z 1
		.amdhsa_system_sgpr_workgroup_info 0
		.amdhsa_system_vgpr_workitem_id 1
		.amdhsa_next_free_vgpr 55
		.amdhsa_next_free_sgpr 40
		.amdhsa_reserve_vcc 1
		.amdhsa_reserve_flat_scratch 0
		.amdhsa_float_round_mode_32 0
		.amdhsa_float_round_mode_16_64 0
		.amdhsa_float_denorm_mode_32 3
		.amdhsa_float_denorm_mode_16_64 3
		.amdhsa_dx10_clamp 1
		.amdhsa_ieee_mode 1
		.amdhsa_fp16_overflow 0
		.amdhsa_workgroup_processor_mode 1
		.amdhsa_memory_ordered 1
		.amdhsa_forward_progress 1
		.amdhsa_shared_vgpr_count 0
		.amdhsa_exception_fp_ieee_invalid_op 0
		.amdhsa_exception_fp_denorm_src 0
		.amdhsa_exception_fp_ieee_div_zero 0
		.amdhsa_exception_fp_ieee_overflow 0
		.amdhsa_exception_fp_ieee_underflow 0
		.amdhsa_exception_fp_ieee_inexact 0
		.amdhsa_exception_int_div_zero 0
	.end_amdhsa_kernel
	.section	.text._ZL13mul_mat_vec_qIL9ggml_type22ELi1ELb1ELb1EEvPKvS2_PKi31ggml_cuda_mm_fusion_args_devicePfj15HIP_vector_typeIjLj3EEjjjS8_jjjS8_jjjj,"axG",@progbits,_ZL13mul_mat_vec_qIL9ggml_type22ELi1ELb1ELb1EEvPKvS2_PKi31ggml_cuda_mm_fusion_args_devicePfj15HIP_vector_typeIjLj3EEjjjS8_jjjS8_jjjj,comdat
.Lfunc_end181:
	.size	_ZL13mul_mat_vec_qIL9ggml_type22ELi1ELb1ELb1EEvPKvS2_PKi31ggml_cuda_mm_fusion_args_devicePfj15HIP_vector_typeIjLj3EEjjjS8_jjjS8_jjjj, .Lfunc_end181-_ZL13mul_mat_vec_qIL9ggml_type22ELi1ELb1ELb1EEvPKvS2_PKi31ggml_cuda_mm_fusion_args_devicePfj15HIP_vector_typeIjLj3EEjjjS8_jjjS8_jjjj
                                        ; -- End function
	.set _ZL13mul_mat_vec_qIL9ggml_type22ELi1ELb1ELb1EEvPKvS2_PKi31ggml_cuda_mm_fusion_args_devicePfj15HIP_vector_typeIjLj3EEjjjS8_jjjS8_jjjj.num_vgpr, 55
	.set _ZL13mul_mat_vec_qIL9ggml_type22ELi1ELb1ELb1EEvPKvS2_PKi31ggml_cuda_mm_fusion_args_devicePfj15HIP_vector_typeIjLj3EEjjjS8_jjjS8_jjjj.num_agpr, 0
	.set _ZL13mul_mat_vec_qIL9ggml_type22ELi1ELb1ELb1EEvPKvS2_PKi31ggml_cuda_mm_fusion_args_devicePfj15HIP_vector_typeIjLj3EEjjjS8_jjjS8_jjjj.numbered_sgpr, 40
	.set _ZL13mul_mat_vec_qIL9ggml_type22ELi1ELb1ELb1EEvPKvS2_PKi31ggml_cuda_mm_fusion_args_devicePfj15HIP_vector_typeIjLj3EEjjjS8_jjjS8_jjjj.num_named_barrier, 0
	.set _ZL13mul_mat_vec_qIL9ggml_type22ELi1ELb1ELb1EEvPKvS2_PKi31ggml_cuda_mm_fusion_args_devicePfj15HIP_vector_typeIjLj3EEjjjS8_jjjS8_jjjj.private_seg_size, 0
	.set _ZL13mul_mat_vec_qIL9ggml_type22ELi1ELb1ELb1EEvPKvS2_PKi31ggml_cuda_mm_fusion_args_devicePfj15HIP_vector_typeIjLj3EEjjjS8_jjjS8_jjjj.uses_vcc, 1
	.set _ZL13mul_mat_vec_qIL9ggml_type22ELi1ELb1ELb1EEvPKvS2_PKi31ggml_cuda_mm_fusion_args_devicePfj15HIP_vector_typeIjLj3EEjjjS8_jjjS8_jjjj.uses_flat_scratch, 0
	.set _ZL13mul_mat_vec_qIL9ggml_type22ELi1ELb1ELb1EEvPKvS2_PKi31ggml_cuda_mm_fusion_args_devicePfj15HIP_vector_typeIjLj3EEjjjS8_jjjS8_jjjj.has_dyn_sized_stack, 0
	.set _ZL13mul_mat_vec_qIL9ggml_type22ELi1ELb1ELb1EEvPKvS2_PKi31ggml_cuda_mm_fusion_args_devicePfj15HIP_vector_typeIjLj3EEjjjS8_jjjS8_jjjj.has_recursion, 0
	.set _ZL13mul_mat_vec_qIL9ggml_type22ELi1ELb1ELb1EEvPKvS2_PKi31ggml_cuda_mm_fusion_args_devicePfj15HIP_vector_typeIjLj3EEjjjS8_jjjS8_jjjj.has_indirect_call, 0
	.section	.AMDGPU.csdata,"",@progbits
; Kernel info:
; codeLenInByte = 6480
; TotalNumSgprs: 42
; NumVgprs: 55
; ScratchSize: 0
; MemoryBound: 0
; FloatMode: 240
; IeeeMode: 1
; LDSByteSize: 0 bytes/workgroup (compile time only)
; SGPRBlocks: 0
; VGPRBlocks: 6
; NumSGPRsForWavesPerEU: 42
; NumVGPRsForWavesPerEU: 55
; Occupancy: 16
; WaveLimiterHint : 0
; COMPUTE_PGM_RSRC2:SCRATCH_EN: 0
; COMPUTE_PGM_RSRC2:USER_SGPR: 6
; COMPUTE_PGM_RSRC2:TRAP_HANDLER: 0
; COMPUTE_PGM_RSRC2:TGID_X_EN: 1
; COMPUTE_PGM_RSRC2:TGID_Y_EN: 1
; COMPUTE_PGM_RSRC2:TGID_Z_EN: 1
; COMPUTE_PGM_RSRC2:TIDIG_COMP_CNT: 1
	.section	.text._ZL13mul_mat_vec_qIL9ggml_type22ELi1ELb0ELb1EEvPKvS2_PKi31ggml_cuda_mm_fusion_args_devicePfj15HIP_vector_typeIjLj3EEjjjS8_jjjS8_jjjj,"axG",@progbits,_ZL13mul_mat_vec_qIL9ggml_type22ELi1ELb0ELb1EEvPKvS2_PKi31ggml_cuda_mm_fusion_args_devicePfj15HIP_vector_typeIjLj3EEjjjS8_jjjS8_jjjj,comdat
	.globl	_ZL13mul_mat_vec_qIL9ggml_type22ELi1ELb0ELb1EEvPKvS2_PKi31ggml_cuda_mm_fusion_args_devicePfj15HIP_vector_typeIjLj3EEjjjS8_jjjS8_jjjj ; -- Begin function _ZL13mul_mat_vec_qIL9ggml_type22ELi1ELb0ELb1EEvPKvS2_PKi31ggml_cuda_mm_fusion_args_devicePfj15HIP_vector_typeIjLj3EEjjjS8_jjjS8_jjjj
	.p2align	8
	.type	_ZL13mul_mat_vec_qIL9ggml_type22ELi1ELb0ELb1EEvPKvS2_PKi31ggml_cuda_mm_fusion_args_devicePfj15HIP_vector_typeIjLj3EEjjjS8_jjjS8_jjjj,@function
_ZL13mul_mat_vec_qIL9ggml_type22ELi1ELb0ELb1EEvPKvS2_PKi31ggml_cuda_mm_fusion_args_devicePfj15HIP_vector_typeIjLj3EEjjjS8_jjjS8_jjjj: ; @_ZL13mul_mat_vec_qIL9ggml_type22ELi1ELb0ELb1EEvPKvS2_PKi31ggml_cuda_mm_fusion_args_devicePfj15HIP_vector_typeIjLj3EEjjjS8_jjjS8_jjjj
; %bb.0:
	s_clause 0x1
	s_load_dwordx2 s[0:1], s[4:5], 0x10
	s_load_dwordx4 s[16:19], s[4:5], 0x40
	s_mov_b32 s10, s7
	s_waitcnt lgkmcnt(0)
	s_cmp_lg_u64 s[0:1], 0
	s_cselect_b32 s7, -1, 0
	s_cmp_eq_u64 s[0:1], 0
	s_cbranch_scc1 .LBB182_5
; %bb.1:
	s_mov_b32 s11, 0
	s_lshl_b64 s[2:3], s[10:11], 2
	s_add_u32 s0, s0, s2
	s_addc_u32 s1, s1, s3
	s_load_dword s20, s[0:1], 0x0
	s_clause 0x1
	s_load_dwordx4 s[0:3], s[4:5], 0x68
	s_load_dword s21, s[4:5], 0x50
	s_cbranch_execnz .LBB182_3
.LBB182_2:
	s_load_dwordx2 s[12:13], s[4:5], 0x5c
	s_waitcnt lgkmcnt(0)
	s_mul_hi_u32 s9, s12, s10
	s_add_i32 s9, s10, s9
	s_lshr_b32 s20, s9, s13
.LBB182_3:
	s_load_dword s11, s[4:5], 0x78
	s_andn2_b32 vcc_lo, exec_lo, s7
	s_cbranch_vccnz .LBB182_6
; %bb.4:
	s_mul_hi_u32 s7, s17, s10
	s_add_i32 s7, s10, s7
	s_lshr_b32 s7, s7, s18
	s_mul_i32 s7, s7, s19
	s_sub_i32 s17, s10, s7
	s_branch .LBB182_7
.LBB182_5:
                                        ; implicit-def: $sgpr20
	s_clause 0x1
	s_load_dwordx4 s[0:3], s[4:5], 0x68
	s_load_dword s21, s[4:5], 0x50
	s_branch .LBB182_2
.LBB182_6:
	s_mov_b32 s17, s10
.LBB182_7:
	s_load_dwordx4 s[12:15], s[4:5], 0x80
	v_lshl_or_b32 v2, v1, 5, v0
	v_mov_b32_e32 v13, 0
	s_lshr_b32 s9, s16, 8
	s_mov_b32 s7, exec_lo
	v_lshrrev_b32_e32 v12, 3, v2
	v_cmpx_gt_u32_e64 s9, v12
	s_cbranch_execz .LBB182_11
; %bb.8:
	v_lshrrev_b32_e32 v2, 3, v2
	s_waitcnt lgkmcnt(0)
	s_mul_i32 s1, s17, s1
	v_and_b32_e32 v14, 7, v0
	s_mul_hi_u32 s17, s1, 36
	s_mul_i32 s16, s1, 36
	s_mul_i32 s1, s13, s8
	v_mad_u64_u32 v[2:3], null, 0x120, v2, s[16:17]
	s_load_dwordx4 s[16:19], s[4:5], 0x0
	v_lshlrev_b32_e32 v4, 1, v14
	s_mul_i32 s21, s21, s6
	v_mov_b32_e32 v15, 0
	v_mov_b32_e32 v13, 0
	s_mul_i32 s0, s20, s0
	v_mad_u64_u32 v[2:3], null, s1, 36, v[2:3]
	s_mul_hi_u32 s1, s3, s8
	v_lshlrev_b32_e32 v16, 1, v4
	s_add_i32 s1, s8, s1
	s_mov_b32 s3, 0
	s_lshr_b32 s1, s1, s11
	v_mad_u64_u32 v[2:3], null, v14, 36, v[2:3]
	s_mul_i32 s1, s1, s12
	s_add_i32 s1, s1, s21
	s_add_i32 s11, s0, s1
	s_waitcnt lgkmcnt(0)
	v_add_co_u32 v2, vcc_lo, s18, v2
	v_add_co_ci_u32_e64 v3, null, s19, v3, vcc_lo
	v_add_co_u32 v10, vcc_lo, v2, 32
	v_add_co_ci_u32_e64 v11, null, 0, v3, vcc_lo
.LBB182_9:                              ; =>This Inner Loop Header: Depth=1
	v_add_nc_u32_e32 v17, s11, v12
	s_clause 0x1
	global_load_dwordx4 v[2:5], v[10:11], off offset:-32
	global_load_dwordx4 v[6:9], v[10:11], off offset:-16
	s_getpc_b64 s[0:1]
	s_add_u32 s0, s0, _ZL9iq2s_grid@rel32@lo+4
	s_addc_u32 s1, s1, _ZL9iq2s_grid@rel32@hi+12
	v_add_nc_u32_e32 v12, 4, v12
	v_mad_i64_i32 v[18:19], null, 0x52, v17, s[16:17]
	v_add_co_u32 v20, vcc_lo, v18, v16
	v_add_co_ci_u32_e64 v21, null, 0, v19, vcc_lo
	v_add_co_u32 v22, vcc_lo, v18, v14
	v_add_co_ci_u32_e64 v23, null, 0, v19, vcc_lo
	s_clause 0x4
	global_load_dword v24, v[20:21], off offset:2
	global_load_ubyte v17, v[22:23], off offset:74
	global_load_dword v20, v[20:21], off offset:34
	global_load_ubyte v21, v[22:23], off offset:66
	global_load_ushort v26, v[18:19], off
	s_waitcnt vmcnt(6)
	v_cvt_f32_f16_e32 v2, v2
	s_waitcnt vmcnt(4)
	v_and_b32_e32 v22, 0xff, v24
	v_bfe_u32 v31, v24, 8, 8
	s_waitcnt vmcnt(2)
	v_lshrrev_b32_e32 v48, 31, v20
	s_waitcnt vmcnt(1)
	v_lshlrev_b32_e32 v23, 8, v21
	v_and_b32_e32 v25, 0xff, v20
	v_lshlrev_b32_e32 v27, 21, v20
	v_lshlrev_b32_e32 v29, 17, v20
	v_lshlrev_b32_e32 v32, 6, v21
	v_lshrrev_b32_e32 v18, 24, v24
	v_bfe_u32 v24, v24, 16, 8
	v_lshlrev_b32_e32 v39, 4, v21
	v_lshlrev_b32_e32 v21, 2, v21
	v_lshrrev_b32_e32 v19, 16, v20
	v_lshrrev_b32_e32 v28, 2, v20
	;; [unrolled: 1-line block ×18, first 2 shown]
	v_and_or_b32 v22, 0x300, v23, v22
	v_cmp_ne_u16_e32 vcc_lo, 0, v48
	v_lshl_or_b32 v23, v25, 7, v27
	v_lshl_or_b32 v25, v25, 3, v29
	v_and_or_b32 v29, 0x300, v32, v31
	v_and_or_b32 v24, 0x300, v39, v24
	;; [unrolled: 1-line block ×3, first 2 shown]
	v_bfe_i32 v27, v28, 0, 1
	v_bfe_i32 v28, v30, 0, 1
	v_and_b32_e32 v30, 0x180, v33
	v_and_b32_e32 v33, 0x180, v36
	v_lshl_or_b32 v36, v19, 21, v40
	v_lshl_or_b32 v19, v19, 17, v42
	;; [unrolled: 1-line block ×3, first 2 shown]
	v_bfe_i32 v42, v20, 0, 1
	v_cndmask_b32_e64 v20, 0, -1, vcc_lo
	v_lshlrev_b32_e32 v22, 3, v22
	v_bfe_i32 v32, v35, 0, 1
	v_bfe_i32 v35, v38, 0, 1
	;; [unrolled: 1-line block ×3, first 2 shown]
	v_and_b32_e32 v43, 0x1800180, v23
	v_bfe_u32 v44, v23, 24, 1
	v_lshlrev_b32_e32 v23, 3, v29
	v_lshlrev_b32_e32 v24, 3, v24
	v_bfe_i32 v39, v46, 0, 1
	v_and_b32_e32 v45, 0x1800180, v25
	v_bfe_u32 v46, v25, 24, 1
	v_lshlrev_b32_e32 v25, 3, v18
	v_and_b32_e32 v49, 0x1800180, v19
	v_bfe_u32 v50, v19, 24, 1
	v_and_b32_e32 v51, 0x1800180, v21
	v_bfe_u32 v52, v21, 24, 1
	v_lshlrev_b16 v53, 8, v20
	s_clause 0x3
	global_load_dwordx2 v[18:19], v22, s[0:1]
	global_load_dwordx2 v[20:21], v23, s[0:1]
	;; [unrolled: 1-line block ×4, first 2 shown]
	v_cmp_ne_u16_e32 vcc_lo, 0, v44
	v_and_b32_e32 v48, 0x1800180, v36
	v_bfe_u32 v36, v36, 24, 1
	v_cmp_ne_u16_sdwa s0, v43, v15 src0_sel:BYTE_1 src1_sel:DWORD
	v_lshrrev_b16 v54, 7, v43
	v_cndmask_b32_e64 v44, 0, -1, vcc_lo
	v_cmp_ne_u16_e32 vcc_lo, 0, v46
	v_lshrrev_b16 v55, 7, v45
	v_cndmask_b32_e64 v43, 0, -1, s0
	v_cmp_ne_u16_sdwa s0, v45, v15 src0_sel:BYTE_1 src1_sel:DWORD
	v_lshlrev_b16 v44, 8, v44
	v_cndmask_b32_e64 v46, 0, -1, vcc_lo
	v_cmp_ne_u16_e32 vcc_lo, 0, v36
	v_lshlrev_b16 v43, 8, v43
	v_cndmask_b32_e64 v45, 0, -1, s0
	v_cmp_ne_u16_sdwa s12, v30, v15 src0_sel:BYTE_1 src1_sel:DWORD
	v_lshlrev_b16 v46, 8, v46
	v_cndmask_b32_e64 v36, 0, -1, vcc_lo
	v_cmp_ne_u16_e32 vcc_lo, 0, v50
	v_lshlrev_b16 v45, 8, v45
	v_or_b32_sdwa v60, v27, v44 dst_sel:WORD_1 dst_unused:UNUSED_PAD src0_sel:BYTE_0 src1_sel:DWORD
	v_bfe_i32 v31, v34, 0, 1
	v_lshrrev_b16 v29, 7, v30
	v_cndmask_b32_e64 v50, 0, -1, vcc_lo
	v_cmp_ne_u16_e32 vcc_lo, 0, v52
	v_bfe_i32 v52, v54, 0, 1
	v_bfe_i32 v54, v55, 0, 1
	v_cndmask_b32_e64 v30, 0, -1, s12
	v_cmp_ne_u16_sdwa s12, v33, v15 src0_sel:BYTE_1 src1_sel:DWORD
	v_bfe_i32 v34, v37, 0, 1
	v_or_b32_sdwa v55, v52, v43 dst_sel:DWORD dst_unused:UNUSED_PAD src0_sel:BYTE_0 src1_sel:DWORD
	v_or_b32_sdwa v61, v54, v45 dst_sel:DWORD dst_unused:UNUSED_PAD src0_sel:BYTE_0 src1_sel:DWORD
	v_bfe_i32 v37, v41, 0, 1
	v_lshrrev_b16 v40, 8, v47
	v_lshrrev_b16 v41, 7, v47
	v_or_b32_sdwa v55, v55, v60 dst_sel:DWORD dst_unused:UNUSED_PAD src0_sel:WORD_0 src1_sel:DWORD
	v_or_b32_sdwa v60, v28, v46 dst_sel:WORD_1 dst_unused:UNUSED_PAD src0_sel:BYTE_0 src1_sel:DWORD
	v_lshlrev_b16 v31, 8, v31
	v_lshrrev_b16 v47, 7, v33
	v_cndmask_b32_e64 v33, 0, -1, s12
	v_bfe_i32 v29, v29, 0, 1
	v_lshlrev_b16 v30, 8, v30
	v_cmp_ne_u16_sdwa s0, v48, v15 src0_sel:BYTE_1 src1_sel:DWORD
	v_or_b32_sdwa v60, v61, v60 dst_sel:DWORD dst_unused:UNUSED_PAD src0_sel:WORD_0 src1_sel:DWORD
	v_lshlrev_b16 v34, 8, v34
	v_or_b32_sdwa v56, v32, v31 dst_sel:WORD_1 dst_unused:UNUSED_PAD src0_sel:BYTE_0 src1_sel:DWORD
	v_bfe_i32 v47, v47, 0, 1
	v_lshlrev_b16 v33, 8, v33
	v_lshrrev_b16 v58, 7, v48
	v_cndmask_b32_e64 v48, 0, -1, s0
	v_cmp_ne_u16_sdwa s0, v49, v15 src0_sel:BYTE_1 src1_sel:DWORD
	v_or_b32_sdwa v57, v35, v34 dst_sel:WORD_1 dst_unused:UNUSED_PAD src0_sel:BYTE_0 src1_sel:DWORD
	v_lshrrev_b16 v59, 7, v49
	v_bfe_i32 v58, v58, 0, 1
	v_lshlrev_b16 v48, 8, v48
	v_cndmask_b32_e64 v49, 0, -1, s0
	v_lshlrev_b16 v36, 8, v36
	v_bfe_i32 v40, v40, 0, 1
	v_cmp_ne_u16_sdwa s0, v51, v15 src0_sel:BYTE_1 src1_sel:DWORD
	v_bfe_i32 v59, v59, 0, 1
	v_lshlrev_b16 v49, 8, v49
	v_lshlrev_b16 v50, 8, v50
	v_bfe_i32 v41, v41, 0, 1
	v_lshrrev_b16 v51, 7, v51
	v_cndmask_b32_e64 v61, 0, -1, s0
	v_lshlrev_b16 v40, 8, v40
	v_lshlrev_b16 v52, 8, v52
	v_lshlrev_b16 v54, 8, v54
	v_bfe_i32 v51, v51, 0, 1
	v_lshlrev_b16 v61, 8, v61
	v_lshlrev_b16 v27, 8, v27
	;; [unrolled: 1-line block ×5, first 2 shown]
	v_cmp_le_u32_e64 s0, s9, v12
	s_or_b32 s3, s0, s3
	s_waitcnt vmcnt(3)
	v_xor_b32_e32 v19, v19, v60
	v_or_b32_sdwa v60, v29, v30 dst_sel:DWORD dst_unused:UNUSED_PAD src0_sel:BYTE_0 src1_sel:DWORD
	v_xor_b32_e32 v18, v18, v55
	v_cndmask_b32_e64 v55, 0, -1, vcc_lo
	v_lshlrev_b16 v29, 8, v29
	v_or_b32_sdwa v56, v60, v56 dst_sel:DWORD dst_unused:UNUSED_PAD src0_sel:WORD_0 src1_sel:DWORD
	v_or_b32_sdwa v60, v47, v33 dst_sel:DWORD dst_unused:UNUSED_PAD src0_sel:BYTE_0 src1_sel:DWORD
	v_lshlrev_b16 v55, 8, v55
	v_lshlrev_b16 v47, 8, v47
	s_waitcnt vmcnt(2)
	v_xor_b32_e32 v20, v20, v56
	v_or_b32_sdwa v57, v60, v57 dst_sel:DWORD dst_unused:UNUSED_PAD src0_sel:WORD_0 src1_sel:DWORD
	v_or_b32_sdwa v60, v58, v48 dst_sel:DWORD dst_unused:UNUSED_PAD src0_sel:BYTE_0 src1_sel:DWORD
	v_or_b32_sdwa v56, v37, v36 dst_sel:WORD_1 dst_unused:UNUSED_PAD src0_sel:BYTE_0 src1_sel:DWORD
	v_lshlrev_b16 v37, 8, v37
	v_xor_b32_e32 v21, v21, v57
	v_or_b32_sdwa v57, v59, v49 dst_sel:DWORD dst_unused:UNUSED_PAD src0_sel:BYTE_0 src1_sel:DWORD
	v_or_b32_sdwa v56, v60, v56 dst_sel:DWORD dst_unused:UNUSED_PAD src0_sel:WORD_0 src1_sel:DWORD
	v_or_b32_sdwa v60, v38, v50 dst_sel:WORD_1 dst_unused:UNUSED_PAD src0_sel:BYTE_0 src1_sel:DWORD
	v_lshlrev_b16 v38, 8, v38
	s_waitcnt vmcnt(1)
	v_xor_b32_e32 v22, v22, v56
	v_or_b32_sdwa v57, v57, v60 dst_sel:DWORD dst_unused:UNUSED_PAD src0_sel:WORD_0 src1_sel:DWORD
	v_or_b32_sdwa v60, v42, v53 dst_sel:WORD_1 dst_unused:UNUSED_PAD src0_sel:BYTE_0 src1_sel:DWORD
	v_or_b32_sdwa v56, v41, v40 dst_sel:DWORD dst_unused:UNUSED_PAD src0_sel:BYTE_0 src1_sel:DWORD
	v_lshlrev_b16 v41, 8, v41
	v_lshlrev_b16 v42, 8, v42
	v_xor_b32_e32 v23, v23, v57
	v_or_b32_sdwa v57, v51, v61 dst_sel:DWORD dst_unused:UNUSED_PAD src0_sel:BYTE_0 src1_sel:DWORD
	v_or_b32_sdwa v56, v56, v60 dst_sel:DWORD dst_unused:UNUSED_PAD src0_sel:WORD_0 src1_sel:DWORD
	v_or_b32_sdwa v60, v39, v55 dst_sel:WORD_1 dst_unused:UNUSED_PAD src0_sel:BYTE_0 src1_sel:DWORD
	v_lshlrev_b16 v51, 8, v51
	v_lshlrev_b16 v39, 8, v39
	s_waitcnt vmcnt(0)
	v_xor_b32_e32 v25, v25, v56
	v_or_b32_sdwa v57, v57, v60 dst_sel:DWORD dst_unused:UNUSED_PAD src0_sel:WORD_0 src1_sel:DWORD
	global_load_dword v60, v[10:11], off
	v_mov_b32_e32 v56, 0
	v_add_co_u32 v10, vcc_lo, 0x480, v10
	v_xor_b32_e32 v24, v24, v57
	v_lshlrev_b16 v57, 8, v58
	v_lshlrev_b16 v58, 8, v59
	v_and_b32_e32 v59, 0xffffff00, v18
	v_add_co_ci_u32_e64 v11, null, 0, v11, vcc_lo
	v_sub_nc_i16 v43, v59, v43 clamp
	v_lshlrev_b16 v59, 8, v18
	v_lshrrev_b32_e32 v18, 16, v18
	v_sub_nc_i16 v52, v59, v52 clamp
	v_and_b32_e32 v59, 0xffffff00, v19
	v_perm_b32 v43, v52, v43, 0xc0c0105
	v_sub_nc_i16 v45, v59, v45 clamp
	v_lshlrev_b16 v59, 8, v19
	v_lshrrev_b32_e32 v19, 16, v19
	v_and_b32_e32 v52, 0xffffff00, v18
	v_lshlrev_b16 v18, 8, v18
	v_sub_nc_i16 v54, v59, v54 clamp
	v_and_b32_e32 v59, 0xffffff00, v20
	v_sub_nc_i16 v44, v52, v44 clamp
	v_and_b32_e32 v52, 0xffffff00, v19
	v_lshlrev_b16 v19, 8, v19
	v_perm_b32 v45, v54, v45, 0xc0c0105
	v_sub_nc_i16 v30, v59, v30 clamp
	v_lshlrev_b16 v59, 8, v20
	v_lshrrev_b32_e32 v20, 16, v20
	v_sub_nc_i16 v46, v52, v46 clamp
	v_sub_nc_i16 v18, v18, v27 clamp
	;; [unrolled: 1-line block ×4, first 2 shown]
	v_and_b32_e32 v59, 0xffffff00, v21
	v_and_b32_e32 v27, 0xffffff00, v20
	v_lshlrev_b16 v20, 8, v20
	v_perm_b32 v18, v18, v44, 0xc0c0105
	v_perm_b32 v29, v29, v30, 0xc0c0105
	v_sub_nc_i16 v33, v59, v33 clamp
	v_lshlrev_b16 v59, 8, v21
	v_lshrrev_b32_e32 v21, 16, v21
	v_sub_nc_i16 v20, v20, v32 clamp
	v_sub_nc_i16 v27, v27, v31 clamp
	v_perm_b32 v19, v19, v46, 0xc0c0105
	v_sub_nc_i16 v47, v59, v47 clamp
	v_and_b32_e32 v59, 0xffffff00, v22
	v_and_b32_e32 v54, 0xffffff00, v21
	v_lshlrev_b16 v21, 8, v21
	v_lshl_or_b32 v18, v18, 16, v43
	v_perm_b32 v32, v47, v33, 0xc0c0105
	v_sub_nc_i16 v48, v59, v48 clamp
	v_lshlrev_b16 v59, 8, v22
	v_lshrrev_b32_e32 v22, 16, v22
	v_sub_nc_i16 v21, v21, v35 clamp
	v_sub_nc_i16 v33, v54, v34 clamp
	v_perm_b32 v20, v20, v27, 0xc0c0105
	v_sub_nc_i16 v57, v59, v57 clamp
	v_and_b32_e32 v59, 0xffffff00, v23
	v_and_b32_e32 v52, 0xffffff00, v22
	v_lshlrev_b16 v22, 8, v22
	v_lshl_or_b32 v19, v19, 16, v45
	v_perm_b32 v34, v57, v48, 0xc0c0105
	v_sub_nc_i16 v49, v59, v49 clamp
	v_lshlrev_b16 v59, 8, v23
	v_lshrrev_b32_e32 v23, 16, v23
	v_sub_nc_i16 v35, v52, v36 clamp
	v_sub_nc_i16 v22, v22, v37 clamp
	v_dot4c_i32_i8 v56, v18, v3
	v_sub_nc_i16 v58, v59, v58 clamp
	v_and_b32_e32 v59, 0xffffff00, v24
	v_and_b32_e32 v28, 0xffffff00, v23
	v_lshlrev_b16 v23, 8, v23
	v_perm_b32 v22, v22, v35, 0xc0c0105
	v_perm_b32 v36, v58, v49, 0xc0c0105
	v_sub_nc_i16 v59, v59, v61 clamp
	v_lshlrev_b16 v61, 8, v24
	v_lshrrev_b32_e32 v24, 16, v24
	v_sub_nc_i16 v28, v28, v50 clamp
	v_sub_nc_i16 v23, v23, v38 clamp
	v_lshl_or_b32 v22, v22, 16, v34
	v_sub_nc_i16 v51, v61, v51 clamp
	v_and_b32_e32 v61, 0xffffff00, v25
	v_and_b32_e32 v30, 0xffffff00, v24
	v_lshlrev_b16 v24, 8, v24
	v_perm_b32 v23, v23, v28, 0xc0c0105
	v_perm_b32 v37, v51, v59, 0xc0c0105
	v_sub_nc_i16 v40, v61, v40 clamp
	v_lshlrev_b16 v61, 8, v25
	v_lshrrev_b32_e32 v25, 16, v25
	v_sub_nc_i16 v30, v30, v55 clamp
	v_sub_nc_i16 v24, v24, v39 clamp
	v_lshl_or_b32 v23, v23, 16, v36
	v_sub_nc_i16 v41, v61, v41 clamp
	v_mov_b32_e32 v61, 0
	v_and_b32_e32 v31, 0xffffff00, v25
	v_lshlrev_b16 v25, 8, v25
	v_perm_b32 v24, v24, v30, 0xc0c0105
	v_perm_b32 v38, v41, v40, 0xc0c0105
	v_dot4c_i32_i8 v61, v22, v7
	v_sub_nc_i16 v31, v31, v53 clamp
	v_sub_nc_i16 v25, v25, v42 clamp
	v_perm_b32 v21, v21, v33, 0xc0c0105
	v_lshl_or_b32 v3, v20, 16, v29
	v_lshl_or_b32 v7, v24, 16, v37
	v_dot4c_i32_i8 v56, v19, v4
	v_perm_b32 v25, v25, v31, 0xc0c0105
	v_dot4c_i32_i8 v61, v23, v8
	v_lshl_or_b32 v4, v21, 16, v32
	v_dot4c_i32_i8 v56, v3, v5
	v_lshl_or_b32 v8, v25, 16, v38
	v_dot4c_i32_i8 v61, v7, v9
	v_dot4c_i32_i8 v56, v4, v6
	v_and_b32_e32 v4, 15, v17
	v_lshrrev_b32_e32 v6, 4, v17
	v_mul_lo_u32 v4, v56, v4
	s_waitcnt vmcnt(0)
	v_dot4c_i32_i8 v61, v8, v60
	v_add_nc_u32_e32 v3, v61, v56
	v_lshrrev_b32_e32 v5, 31, v3
	v_add_nc_u32_e32 v3, v3, v5
	v_mul_lo_u32 v5, v61, v6
	v_ashrrev_i32_e32 v3, 1, v3
	v_add3_u32 v3, v5, v4, v3
	v_ashrrev_i32_e32 v4, 31, v3
	v_lshrrev_b32_e32 v4, 30, v4
	v_add_nc_u32_e32 v3, v3, v4
	v_cvt_f32_f16_e32 v4, v26
	v_ashrrev_i32_e32 v3, 2, v3
	v_mul_f32_e32 v2, v4, v2
	v_cvt_f32_i32_e32 v3, v3
	v_fmac_f32_e32 v13, v2, v3
	s_andn2_b32 exec_lo, exec_lo, s3
	s_cbranch_execnz .LBB182_9
; %bb.10:
	s_or_b32 exec_lo, exec_lo, s3
.LBB182_11:
	s_or_b32 exec_lo, exec_lo, s7
	s_waitcnt lgkmcnt(0)
	; wave barrier
	buffer_gl0_inv
	s_mov_b32 s0, exec_lo
	v_cmpx_eq_u32_e32 0, v1
	s_cbranch_execz .LBB182_14
; %bb.12:
	v_mbcnt_lo_u32_b32 v1, -1, 0
	v_xor_b32_e32 v2, 16, v1
	v_xor_b32_e32 v3, 8, v1
	;; [unrolled: 1-line block ×3, first 2 shown]
	v_cmp_gt_i32_e32 vcc_lo, 32, v2
	v_cndmask_b32_e32 v2, v1, v2, vcc_lo
	v_cmp_gt_i32_e32 vcc_lo, 32, v3
	v_lshlrev_b32_e32 v2, 2, v2
	v_cndmask_b32_e32 v3, v1, v3, vcc_lo
	v_cmp_gt_i32_e32 vcc_lo, 32, v4
	ds_bpermute_b32 v2, v2, v13
	v_lshlrev_b32_e32 v3, 2, v3
	v_cndmask_b32_e32 v4, v1, v4, vcc_lo
	v_lshlrev_b32_e32 v4, 2, v4
	s_waitcnt lgkmcnt(0)
	v_add_f32_e32 v2, v13, v2
	ds_bpermute_b32 v3, v3, v2
	s_waitcnt lgkmcnt(0)
	v_add_f32_e32 v2, v2, v3
	ds_bpermute_b32 v3, v4, v2
	v_xor_b32_e32 v4, 2, v1
	v_cmp_gt_i32_e32 vcc_lo, 32, v4
	v_cndmask_b32_e32 v4, v1, v4, vcc_lo
	v_lshlrev_b32_e32 v4, 2, v4
	s_waitcnt lgkmcnt(0)
	v_add_f32_e32 v2, v2, v3
	ds_bpermute_b32 v3, v4, v2
	v_xor_b32_e32 v4, 1, v1
	v_cmp_gt_i32_e32 vcc_lo, 32, v4
	v_cndmask_b32_e32 v1, v1, v4, vcc_lo
	v_cmp_eq_u32_e32 vcc_lo, 0, v0
	v_lshlrev_b32_e32 v4, 2, v1
	s_waitcnt lgkmcnt(0)
	v_add_f32_e32 v1, v2, v3
	ds_bpermute_b32 v2, v4, v1
	s_and_b32 exec_lo, exec_lo, vcc_lo
	s_cbranch_execz .LBB182_14
; %bb.13:
	s_load_dwordx2 s[0:1], s[4:5], 0x38
	s_mul_i32 s2, s2, s10
	s_mul_i32 s3, s14, s8
	s_add_i32 s2, s2, s6
	s_waitcnt lgkmcnt(0)
	v_add_f32_e32 v0, v1, v2
	s_add_i32 s2, s2, s3
	s_mov_b32 s3, 0
	v_mov_b32_e32 v1, 0
	s_lshl_b64 s[2:3], s[2:3], 2
	s_add_u32 s0, s0, s2
	s_addc_u32 s1, s1, s3
	global_store_dword v1, v0, s[0:1]
.LBB182_14:
	s_endpgm
	.section	.rodata,"a",@progbits
	.p2align	6, 0x0
	.amdhsa_kernel _ZL13mul_mat_vec_qIL9ggml_type22ELi1ELb0ELb1EEvPKvS2_PKi31ggml_cuda_mm_fusion_args_devicePfj15HIP_vector_typeIjLj3EEjjjS8_jjjS8_jjjj
		.amdhsa_group_segment_fixed_size 0
		.amdhsa_private_segment_fixed_size 0
		.amdhsa_kernarg_size 144
		.amdhsa_user_sgpr_count 6
		.amdhsa_user_sgpr_private_segment_buffer 1
		.amdhsa_user_sgpr_dispatch_ptr 0
		.amdhsa_user_sgpr_queue_ptr 0
		.amdhsa_user_sgpr_kernarg_segment_ptr 1
		.amdhsa_user_sgpr_dispatch_id 0
		.amdhsa_user_sgpr_flat_scratch_init 0
		.amdhsa_user_sgpr_private_segment_size 0
		.amdhsa_wavefront_size32 1
		.amdhsa_uses_dynamic_stack 0
		.amdhsa_system_sgpr_private_segment_wavefront_offset 0
		.amdhsa_system_sgpr_workgroup_id_x 1
		.amdhsa_system_sgpr_workgroup_id_y 1
		.amdhsa_system_sgpr_workgroup_id_z 1
		.amdhsa_system_sgpr_workgroup_info 0
		.amdhsa_system_vgpr_workitem_id 1
		.amdhsa_next_free_vgpr 62
		.amdhsa_next_free_sgpr 22
		.amdhsa_reserve_vcc 1
		.amdhsa_reserve_flat_scratch 0
		.amdhsa_float_round_mode_32 0
		.amdhsa_float_round_mode_16_64 0
		.amdhsa_float_denorm_mode_32 3
		.amdhsa_float_denorm_mode_16_64 3
		.amdhsa_dx10_clamp 1
		.amdhsa_ieee_mode 1
		.amdhsa_fp16_overflow 0
		.amdhsa_workgroup_processor_mode 1
		.amdhsa_memory_ordered 1
		.amdhsa_forward_progress 1
		.amdhsa_shared_vgpr_count 0
		.amdhsa_exception_fp_ieee_invalid_op 0
		.amdhsa_exception_fp_denorm_src 0
		.amdhsa_exception_fp_ieee_div_zero 0
		.amdhsa_exception_fp_ieee_overflow 0
		.amdhsa_exception_fp_ieee_underflow 0
		.amdhsa_exception_fp_ieee_inexact 0
		.amdhsa_exception_int_div_zero 0
	.end_amdhsa_kernel
	.section	.text._ZL13mul_mat_vec_qIL9ggml_type22ELi1ELb0ELb1EEvPKvS2_PKi31ggml_cuda_mm_fusion_args_devicePfj15HIP_vector_typeIjLj3EEjjjS8_jjjS8_jjjj,"axG",@progbits,_ZL13mul_mat_vec_qIL9ggml_type22ELi1ELb0ELb1EEvPKvS2_PKi31ggml_cuda_mm_fusion_args_devicePfj15HIP_vector_typeIjLj3EEjjjS8_jjjS8_jjjj,comdat
.Lfunc_end182:
	.size	_ZL13mul_mat_vec_qIL9ggml_type22ELi1ELb0ELb1EEvPKvS2_PKi31ggml_cuda_mm_fusion_args_devicePfj15HIP_vector_typeIjLj3EEjjjS8_jjjS8_jjjj, .Lfunc_end182-_ZL13mul_mat_vec_qIL9ggml_type22ELi1ELb0ELb1EEvPKvS2_PKi31ggml_cuda_mm_fusion_args_devicePfj15HIP_vector_typeIjLj3EEjjjS8_jjjS8_jjjj
                                        ; -- End function
	.set _ZL13mul_mat_vec_qIL9ggml_type22ELi1ELb0ELb1EEvPKvS2_PKi31ggml_cuda_mm_fusion_args_devicePfj15HIP_vector_typeIjLj3EEjjjS8_jjjS8_jjjj.num_vgpr, 62
	.set _ZL13mul_mat_vec_qIL9ggml_type22ELi1ELb0ELb1EEvPKvS2_PKi31ggml_cuda_mm_fusion_args_devicePfj15HIP_vector_typeIjLj3EEjjjS8_jjjS8_jjjj.num_agpr, 0
	.set _ZL13mul_mat_vec_qIL9ggml_type22ELi1ELb0ELb1EEvPKvS2_PKi31ggml_cuda_mm_fusion_args_devicePfj15HIP_vector_typeIjLj3EEjjjS8_jjjS8_jjjj.numbered_sgpr, 22
	.set _ZL13mul_mat_vec_qIL9ggml_type22ELi1ELb0ELb1EEvPKvS2_PKi31ggml_cuda_mm_fusion_args_devicePfj15HIP_vector_typeIjLj3EEjjjS8_jjjS8_jjjj.num_named_barrier, 0
	.set _ZL13mul_mat_vec_qIL9ggml_type22ELi1ELb0ELb1EEvPKvS2_PKi31ggml_cuda_mm_fusion_args_devicePfj15HIP_vector_typeIjLj3EEjjjS8_jjjS8_jjjj.private_seg_size, 0
	.set _ZL13mul_mat_vec_qIL9ggml_type22ELi1ELb0ELb1EEvPKvS2_PKi31ggml_cuda_mm_fusion_args_devicePfj15HIP_vector_typeIjLj3EEjjjS8_jjjS8_jjjj.uses_vcc, 1
	.set _ZL13mul_mat_vec_qIL9ggml_type22ELi1ELb0ELb1EEvPKvS2_PKi31ggml_cuda_mm_fusion_args_devicePfj15HIP_vector_typeIjLj3EEjjjS8_jjjS8_jjjj.uses_flat_scratch, 0
	.set _ZL13mul_mat_vec_qIL9ggml_type22ELi1ELb0ELb1EEvPKvS2_PKi31ggml_cuda_mm_fusion_args_devicePfj15HIP_vector_typeIjLj3EEjjjS8_jjjS8_jjjj.has_dyn_sized_stack, 0
	.set _ZL13mul_mat_vec_qIL9ggml_type22ELi1ELb0ELb1EEvPKvS2_PKi31ggml_cuda_mm_fusion_args_devicePfj15HIP_vector_typeIjLj3EEjjjS8_jjjS8_jjjj.has_recursion, 0
	.set _ZL13mul_mat_vec_qIL9ggml_type22ELi1ELb0ELb1EEvPKvS2_PKi31ggml_cuda_mm_fusion_args_devicePfj15HIP_vector_typeIjLj3EEjjjS8_jjjS8_jjjj.has_indirect_call, 0
	.section	.AMDGPU.csdata,"",@progbits
; Kernel info:
; codeLenInByte = 3052
; TotalNumSgprs: 24
; NumVgprs: 62
; ScratchSize: 0
; MemoryBound: 0
; FloatMode: 240
; IeeeMode: 1
; LDSByteSize: 0 bytes/workgroup (compile time only)
; SGPRBlocks: 0
; VGPRBlocks: 7
; NumSGPRsForWavesPerEU: 24
; NumVGPRsForWavesPerEU: 62
; Occupancy: 16
; WaveLimiterHint : 0
; COMPUTE_PGM_RSRC2:SCRATCH_EN: 0
; COMPUTE_PGM_RSRC2:USER_SGPR: 6
; COMPUTE_PGM_RSRC2:TRAP_HANDLER: 0
; COMPUTE_PGM_RSRC2:TGID_X_EN: 1
; COMPUTE_PGM_RSRC2:TGID_Y_EN: 1
; COMPUTE_PGM_RSRC2:TGID_Z_EN: 1
; COMPUTE_PGM_RSRC2:TIDIG_COMP_CNT: 1
	.section	.text._ZL13mul_mat_vec_qIL9ggml_type22ELi1ELb1ELb0EEvPKvS2_PKi31ggml_cuda_mm_fusion_args_devicePfj15HIP_vector_typeIjLj3EEjjjS8_jjjS8_jjjj,"axG",@progbits,_ZL13mul_mat_vec_qIL9ggml_type22ELi1ELb1ELb0EEvPKvS2_PKi31ggml_cuda_mm_fusion_args_devicePfj15HIP_vector_typeIjLj3EEjjjS8_jjjS8_jjjj,comdat
	.globl	_ZL13mul_mat_vec_qIL9ggml_type22ELi1ELb1ELb0EEvPKvS2_PKi31ggml_cuda_mm_fusion_args_devicePfj15HIP_vector_typeIjLj3EEjjjS8_jjjS8_jjjj ; -- Begin function _ZL13mul_mat_vec_qIL9ggml_type22ELi1ELb1ELb0EEvPKvS2_PKi31ggml_cuda_mm_fusion_args_devicePfj15HIP_vector_typeIjLj3EEjjjS8_jjjS8_jjjj
	.p2align	8
	.type	_ZL13mul_mat_vec_qIL9ggml_type22ELi1ELb1ELb0EEvPKvS2_PKi31ggml_cuda_mm_fusion_args_devicePfj15HIP_vector_typeIjLj3EEjjjS8_jjjS8_jjjj,@function
_ZL13mul_mat_vec_qIL9ggml_type22ELi1ELb1ELb0EEvPKvS2_PKi31ggml_cuda_mm_fusion_args_devicePfj15HIP_vector_typeIjLj3EEjjjS8_jjjS8_jjjj: ; @_ZL13mul_mat_vec_qIL9ggml_type22ELi1ELb1ELb0EEvPKvS2_PKi31ggml_cuda_mm_fusion_args_devicePfj15HIP_vector_typeIjLj3EEjjjS8_jjjS8_jjjj
; %bb.0:
	s_clause 0x3
	s_load_dwordx8 s[12:19], s[4:5], 0x0
	s_load_dwordx4 s[28:31], s[4:5], 0x20
	s_load_dwordx4 s[36:39], s[4:5], 0x40
	;; [unrolled: 1-line block ×3, first 2 shown]
	s_mov_b32 s10, s7
	s_waitcnt lgkmcnt(0)
	s_cmp_lg_u64 s[16:17], 0
	s_cselect_b32 s0, -1, 0
	s_cmp_eq_u64 s[16:17], 0
	s_cbranch_scc1 .LBB183_5
; %bb.1:
	s_mov_b32 s11, 0
	s_lshl_b64 s[2:3], s[10:11], 2
	s_add_u32 s2, s16, s2
	s_addc_u32 s3, s17, s3
	s_load_dword s33, s[2:3], 0x0
	s_clause 0x1
	s_load_dword s35, s[4:5], 0x50
	s_load_dword s34, s[4:5], 0x78
	s_cbranch_execnz .LBB183_3
.LBB183_2:
	s_load_dwordx2 s[2:3], s[4:5], 0x5c
	s_waitcnt lgkmcnt(0)
	s_mul_hi_u32 s1, s2, s10
	s_add_i32 s1, s10, s1
	s_lshr_b32 s33, s1, s3
.LBB183_3:
	s_andn2_b32 vcc_lo, exec_lo, s0
	s_cbranch_vccnz .LBB183_6
; %bb.4:
	s_mul_hi_u32 s0, s37, s10
	s_waitcnt lgkmcnt(0)
	s_mov_b32 s1, s33
	s_add_i32 s0, s10, s0
	s_lshr_b32 s0, s0, s38
	s_mul_i32 s0, s0, s39
	s_sub_i32 s37, s10, s0
	s_branch .LBB183_7
.LBB183_5:
                                        ; implicit-def: $sgpr33
	s_clause 0x1
	s_load_dword s35, s[4:5], 0x50
	s_load_dword s34, s[4:5], 0x78
	s_branch .LBB183_2
.LBB183_6:
	s_mov_b32 s1, s10
	s_mov_b32 s37, s10
.LBB183_7:
	s_load_dwordx4 s[24:27], s[4:5], 0x80
	v_or_b32_e32 v2, v0, v1
	s_cmp_lg_u64 s[18:19], 0
	v_mov_b32_e32 v22, 0
	v_mov_b32_e32 v23, 0
	s_cselect_b32 s0, -1, 0
	v_cmp_eq_u32_e32 vcc_lo, 0, v2
	s_mov_b32 s17, 0
	s_mul_i32 s2, s1, s22
	s_and_b32 s3, s0, vcc_lo
	s_and_saveexec_b32 s1, s3
	s_cbranch_execz .LBB183_9
; %bb.8:
	s_waitcnt lgkmcnt(0)
	s_mul_i32 s16, s26, s8
	s_mov_b32 s3, s17
	s_lshl_b64 s[38:39], s[16:17], 2
	v_lshlrev_b32_e32 v2, 2, v0
	s_add_u32 s7, s18, s38
	s_addc_u32 s9, s19, s39
	s_lshl_b64 s[16:17], s[2:3], 2
	s_add_u32 s3, s7, s16
	s_addc_u32 s9, s9, s17
	s_ashr_i32 s7, s6, 31
	s_lshl_b64 s[16:17], s[6:7], 2
	s_add_u32 s16, s3, s16
	s_addc_u32 s17, s9, s17
	global_load_dword v23, v2, s[16:17]
.LBB183_9:
	s_or_b32 exec_lo, exec_lo, s1
	s_cmp_lg_u64 s[28:29], 0
	s_cselect_b32 s9, -1, 0
	s_cmp_lg_u64 s[30:31], 0
	s_cselect_b32 s1, -1, 0
	s_and_b32 s3, s1, s9
	s_and_b32 s3, s3, vcc_lo
	s_and_saveexec_b32 s11, s3
	s_cbranch_execz .LBB183_11
; %bb.10:
	s_waitcnt lgkmcnt(0)
	s_mul_i32 s16, s26, s8
	s_mov_b32 s17, 0
	v_lshlrev_b32_e32 v2, 2, v0
	s_lshl_b64 s[18:19], s[16:17], 2
	s_mov_b32 s3, s17
	s_add_u32 s7, s30, s18
	s_addc_u32 s16, s31, s19
	s_lshl_b64 s[2:3], s[2:3], 2
	s_add_u32 s17, s7, s2
	s_addc_u32 s16, s16, s3
	s_ashr_i32 s7, s6, 31
	s_lshl_b64 s[2:3], s[6:7], 2
	s_add_u32 s2, s17, s2
	s_addc_u32 s3, s16, s3
	global_load_dword v22, v2, s[2:3]
.LBB183_11:
	s_or_b32 exec_lo, exec_lo, s11
	v_lshl_or_b32 v2, v1, 5, v0
	v_mov_b32_e32 v26, 0
	v_cndmask_b32_e64 v24, 0, 1, s9
	v_mov_b32_e32 v25, 0
	s_lshr_b32 s7, s36, 8
	v_lshrrev_b32_e32 v27, 3, v2
	s_mov_b32 s11, exec_lo
	v_cmpx_gt_u32_e64 s7, v27
	s_cbranch_execz .LBB183_17
; %bb.12:
	v_lshrrev_b32_e32 v2, 3, v2
	s_mul_i32 s2, s37, s21
	v_and_b32_e32 v28, 7, v0
	s_mul_hi_u32 s3, s2, 36
	s_mul_i32 s2, s2, 36
	s_waitcnt lgkmcnt(0)
	s_mul_i32 s35, s35, s6
	v_mad_u64_u32 v[2:3], null, 0x120, v2, s[2:3]
	s_mul_i32 s2, s25, s8
	v_lshlrev_b32_e32 v4, 1, v28
	v_mov_b32_e32 v29, 0
	v_mov_b32_e32 v26, 0
	;; [unrolled: 1-line block ×3, first 2 shown]
	s_mul_i32 s3, s33, s20
	v_mad_u64_u32 v[2:3], null, s2, 36, v[2:3]
	s_mul_hi_u32 s2, s23, s8
	v_lshlrev_b32_e32 v30, 1, v4
	s_add_i32 s2, s8, s2
	s_lshr_b32 s2, s2, s34
	v_mad_u64_u32 v[2:3], null, v28, 36, v[2:3]
	s_mul_i32 s2, s2, s24
	s_add_i32 s2, s2, s35
	v_add_co_u32 v2, vcc_lo, s14, v2
	v_add_co_ci_u32_e64 v3, null, s15, v3, vcc_lo
	s_add_i32 s15, s3, s2
	v_add_co_u32 v10, vcc_lo, v2, 32
	v_add_co_ci_u32_e64 v11, null, 0, v3, vcc_lo
	s_mov_b32 s14, 0
	s_branch .LBB183_14
.LBB183_13:                             ;   in Loop: Header=BB183_14 Depth=1
	v_and_b32_e32 v20, 0xff, v34
	v_lshlrev_b32_e32 v21, 21, v34
	v_lshlrev_b32_e32 v35, 17, v34
	v_lshrrev_b32_e32 v36, 2, v34
	v_lshrrev_b32_e32 v37, 6, v34
	;; [unrolled: 1-line block ×3, first 2 shown]
	v_lshl_or_b32 v21, v20, 7, v21
	v_lshl_or_b32 v20, v20, 3, v35
	v_bfe_i32 v36, v36, 0, 1
	v_bfe_i32 v37, v37, 0, 1
	v_lshrrev_b32_e32 v45, 16, v34
	v_and_b32_e32 v35, 0x1800180, v21
	v_bfe_u32 v21, v21, 24, 1
	v_and_b32_e32 v38, 0x1800180, v20
	v_bfe_u32 v20, v20, 24, 1
	v_add_nc_u32_e32 v27, 4, v27
	v_cmp_ne_u16_sdwa s2, v35, v29 src0_sel:BYTE_1 src1_sel:DWORD
	v_cmp_ne_u16_e32 vcc_lo, 0, v21
	v_lshrrev_b16 v39, 7, v35
	v_lshrrev_b16 v40, 7, v38
	v_cndmask_b32_e64 v35, 0, -1, s2
	v_cndmask_b32_e64 v21, 0, -1, vcc_lo
	v_cmp_ne_u16_sdwa s2, v38, v29 src0_sel:BYTE_1 src1_sel:DWORD
	v_cmp_ne_u16_e32 vcc_lo, 0, v20
	v_bfe_i32 v39, v39, 0, 1
	v_lshlrev_b16 v35, 8, v35
	v_lshlrev_b16 v21, 8, v21
	v_cndmask_b32_e64 v38, 0, -1, s2
	v_cndmask_b32_e64 v20, 0, -1, vcc_lo
	v_bfe_i32 v40, v40, 0, 1
	v_or_b32_sdwa v41, v39, v35 dst_sel:DWORD dst_unused:UNUSED_PAD src0_sel:BYTE_0 src1_sel:DWORD
	v_or_b32_sdwa v42, v36, v21 dst_sel:WORD_1 dst_unused:UNUSED_PAD src0_sel:BYTE_0 src1_sel:DWORD
	v_lshlrev_b16 v38, 8, v38
	v_lshlrev_b16 v20, 8, v20
	;; [unrolled: 1-line block ×4, first 2 shown]
	v_or_b32_sdwa v41, v41, v42 dst_sel:DWORD dst_unused:UNUSED_PAD src0_sel:WORD_0 src1_sel:DWORD
	v_or_b32_sdwa v42, v40, v38 dst_sel:DWORD dst_unused:UNUSED_PAD src0_sel:BYTE_0 src1_sel:DWORD
	v_or_b32_sdwa v43, v37, v20 dst_sel:WORD_1 dst_unused:UNUSED_PAD src0_sel:BYTE_0 src1_sel:DWORD
	v_lshlrev_b16 v40, 8, v40
	s_waitcnt vmcnt(3)
	v_xor_b32_e32 v18, v18, v41
	v_or_b32_sdwa v41, v42, v43 dst_sel:DWORD dst_unused:UNUSED_PAD src0_sel:WORD_0 src1_sel:DWORD
	v_and_b32_e32 v42, 0xffffff00, v18
	v_lshlrev_b16 v43, 8, v18
	v_lshrrev_b32_e32 v18, 16, v18
	v_xor_b32_e32 v19, v19, v41
	v_sub_nc_i16 v35, v42, v35 clamp
	v_sub_nc_i16 v39, v43, v39 clamp
	v_and_b32_e32 v41, 0xffffff00, v18
	v_lshlrev_b16 v18, 8, v18
	v_and_b32_e32 v42, 0xffffff00, v19
	v_lshlrev_b16 v43, 8, v19
	v_lshrrev_b32_e32 v19, 16, v19
	v_sub_nc_i16 v21, v41, v21 clamp
	v_sub_nc_i16 v18, v18, v36 clamp
	;; [unrolled: 1-line block ×3, first 2 shown]
	v_lshrrev_b32_e32 v38, 1, v34
	v_perm_b32 v35, v39, v35, 0xc0c0105
	v_sub_nc_i16 v39, v43, v40 clamp
	v_perm_b32 v18, v18, v21, 0xc0c0105
	v_and_b32_e32 v21, 0xffffff00, v19
	v_and_b32_e32 v38, 0x180, v38
	v_lshrrev_b32_e32 v40, 5, v34
	v_perm_b32 v36, v39, v36, 0xc0c0105
	v_lshl_or_b32 v18, v18, 16, v35
	v_sub_nc_i16 v20, v21, v20 clamp
	v_lshrrev_b32_e32 v21, 11, v34
	v_cmp_ne_u16_sdwa s2, v38, v29 src0_sel:BYTE_1 src1_sel:DWORD
	v_lshlrev_b16 v35, 8, v37
	v_lshrrev_b16 v37, 7, v38
	v_lshrrev_b32_e32 v39, 10, v34
	v_bfe_i32 v21, v21, 0, 1
	v_cndmask_b32_e64 v38, 0, -1, s2
	v_and_b32_e32 v40, 0x180, v40
	v_lshlrev_b16 v19, 8, v19
	v_bfe_i32 v37, v37, 0, 1
	v_lshlrev_b16 v21, 8, v21
	v_lshlrev_b16 v38, 8, v38
	v_bfe_i32 v39, v39, 0, 1
	v_lshrrev_b32_e32 v41, 15, v34
	v_cmp_ne_u16_sdwa s2, v40, v29 src0_sel:BYTE_1 src1_sel:DWORD
	v_sub_nc_i16 v19, v19, v35 clamp
	v_or_b32_sdwa v35, v37, v38 dst_sel:DWORD dst_unused:UNUSED_PAD src0_sel:BYTE_0 src1_sel:DWORD
	v_or_b32_sdwa v42, v39, v21 dst_sel:WORD_1 dst_unused:UNUSED_PAD src0_sel:BYTE_0 src1_sel:DWORD
	v_lshrrev_b16 v43, 7, v40
	v_cndmask_b32_e64 v40, 0, -1, s2
	v_bfe_i32 v41, v41, 0, 1
	v_perm_b32 v19, v19, v20, 0xc0c0105
	v_or_b32_sdwa v35, v35, v42 dst_sel:DWORD dst_unused:UNUSED_PAD src0_sel:WORD_0 src1_sel:DWORD
	v_bfe_i32 v42, v43, 0, 1
	v_lshlrev_b16 v40, 8, v40
	v_lshlrev_b16 v41, 8, v41
	v_bfe_i32 v43, v44, 0, 1
	v_mov_b32_e32 v20, 0
	s_waitcnt vmcnt(2)
	v_xor_b32_e32 v16, v16, v35
	v_or_b32_sdwa v44, v42, v40 dst_sel:DWORD dst_unused:UNUSED_PAD src0_sel:BYTE_0 src1_sel:DWORD
	v_lshl_or_b32 v19, v19, 16, v36
	v_or_b32_sdwa v35, v43, v41 dst_sel:WORD_1 dst_unused:UNUSED_PAD src0_sel:BYTE_0 src1_sel:DWORD
	v_dot4c_i32_i8 v20, v18, v7
	v_lshrrev_b32_e32 v7, 16, v16
	v_lshlrev_b16 v36, 8, v37
	v_lshlrev_b16 v39, 8, v39
	v_or_b32_sdwa v18, v44, v35 dst_sel:DWORD dst_unused:UNUSED_PAD src0_sel:WORD_0 src1_sel:DWORD
	v_and_b32_e32 v35, 0xffffff00, v16
	v_lshlrev_b16 v16, 8, v16
	v_and_b32_e32 v37, 0xffffff00, v7
	v_lshlrev_b16 v7, 8, v7
	v_xor_b32_e32 v17, v17, v18
	v_sub_nc_i16 v35, v35, v38 clamp
	v_sub_nc_i16 v16, v16, v36 clamp
	;; [unrolled: 1-line block ×4, first 2 shown]
	v_lshrrev_b32_e32 v21, 9, v34
	v_and_b32_e32 v36, 0xffffff00, v17
	v_lshlrev_b16 v37, 8, v17
	v_lshlrev_b16 v38, 8, v42
	v_perm_b32 v16, v16, v35, 0xc0c0105
	v_lshl_or_b32 v21, v45, 21, v21
	v_perm_b32 v7, v7, v18, 0xc0c0105
	v_sub_nc_i16 v18, v36, v40 clamp
	v_sub_nc_i16 v35, v37, v38 clamp
	v_dot4c_i32_i8 v20, v19, v8
	v_and_b32_e32 v8, 0x1800180, v21
	v_lshl_or_b32 v7, v7, 16, v16
	v_lshrrev_b32_e32 v16, 16, v17
	v_perm_b32 v17, v35, v18, 0xc0c0105
	v_bfe_u32 v18, v21, 24, 1
	v_cmp_ne_u16_sdwa s2, v8, v29 src0_sel:BYTE_1 src1_sel:DWORD
	v_lshrrev_b16 v19, 7, v8
	v_lshrrev_b32_e32 v21, 13, v34
	v_lshrrev_b32_e32 v35, 18, v34
	v_cmp_ne_u16_e32 vcc_lo, 0, v18
	v_cndmask_b32_e64 v8, 0, -1, s2
	v_bfe_i32 v19, v19, 0, 1
	v_lshl_or_b32 v21, v45, 17, v21
	v_bfe_i32 v35, v35, 0, 1
	v_cndmask_b32_e64 v18, 0, -1, vcc_lo
	v_lshlrev_b16 v8, 8, v8
	v_and_b32_e32 v37, 0xffffff00, v16
	v_and_b32_e32 v36, 0x1800180, v21
	v_bfe_u32 v21, v21, 24, 1
	v_lshlrev_b16 v18, 8, v18
	v_or_b32_sdwa v38, v19, v8 dst_sel:DWORD dst_unused:UNUSED_PAD src0_sel:BYTE_0 src1_sel:DWORD
	v_lshlrev_b16 v19, 8, v19
	v_cmp_ne_u16_sdwa s2, v36, v29 src0_sel:BYTE_1 src1_sel:DWORD
	v_cmp_ne_u16_e32 vcc_lo, 0, v21
	v_or_b32_sdwa v39, v35, v18 dst_sel:WORD_1 dst_unused:UNUSED_PAD src0_sel:BYTE_0 src1_sel:DWORD
	v_lshrrev_b16 v40, 7, v36
	v_lshlrev_b16 v35, 8, v35
	v_cndmask_b32_e64 v36, 0, -1, s2
	v_cndmask_b32_e64 v21, 0, -1, vcc_lo
	v_or_b32_sdwa v38, v38, v39 dst_sel:DWORD dst_unused:UNUSED_PAD src0_sel:WORD_0 src1_sel:DWORD
	v_lshrrev_b32_e32 v39, 22, v34
	v_bfe_i32 v40, v40, 0, 1
	v_lshlrev_b16 v36, 8, v36
	v_lshlrev_b16 v21, 8, v21
	s_waitcnt vmcnt(1)
	v_xor_b32_e32 v14, v14, v38
	v_bfe_i32 v38, v39, 0, 1
	v_lshlrev_b16 v39, 8, v43
	v_or_b32_sdwa v42, v40, v36 dst_sel:DWORD dst_unused:UNUSED_PAD src0_sel:BYTE_0 src1_sel:DWORD
	v_lshlrev_b16 v16, 8, v16
	v_lshrrev_b32_e32 v43, 16, v14
	v_or_b32_sdwa v44, v38, v21 dst_sel:WORD_1 dst_unused:UNUSED_PAD src0_sel:BYTE_0 src1_sel:DWORD
	v_and_b32_e32 v45, 0xffffff00, v14
	v_lshlrev_b16 v14, 8, v14
	v_sub_nc_i16 v16, v16, v39 clamp
	v_and_b32_e32 v46, 0xffffff00, v43
	v_lshlrev_b16 v43, 8, v43
	v_or_b32_sdwa v42, v42, v44 dst_sel:DWORD dst_unused:UNUSED_PAD src0_sel:WORD_0 src1_sel:DWORD
	v_sub_nc_i16 v8, v45, v8 clamp
	v_sub_nc_i16 v14, v14, v19 clamp
	;; [unrolled: 1-line block ×4, first 2 shown]
	v_xor_b32_e32 v15, v15, v42
	v_sub_nc_i16 v35, v37, v41 clamp
	v_perm_b32 v8, v14, v8, 0xc0c0105
	v_lshlrev_b16 v40, 8, v40
	v_perm_b32 v14, v19, v18, 0xc0c0105
	v_lshrrev_b32_e32 v18, 17, v34
	v_lshrrev_b32_e32 v19, 24, v34
	v_and_b32_e32 v39, 0xffffff00, v15
	v_lshrrev_b32_e32 v37, 16, v15
	v_lshl_or_b32 v8, v14, 16, v8
	v_lshlrev_b16 v15, 8, v15
	v_lshl_or_b32 v18, v19, 21, v18
	v_sub_nc_i16 v14, v39, v36 clamp
	v_and_b32_e32 v19, 0xffffff00, v37
	v_lshrrev_b32_e32 v39, 26, v34
	v_sub_nc_i16 v15, v15, v40 clamp
	v_and_b32_e32 v36, 0x1800180, v18
	v_bfe_u32 v18, v18, 24, 1
	v_sub_nc_i16 v19, v19, v21 clamp
	v_lshlrev_b16 v21, 8, v37
	v_lshlrev_b16 v37, 8, v38
	v_cmp_ne_u16_sdwa s2, v36, v29 src0_sel:BYTE_1 src1_sel:DWORD
	v_cmp_ne_u16_e32 vcc_lo, 0, v18
	v_lshrrev_b16 v38, 7, v36
	v_lshrrev_b32_e32 v40, 21, v34
	v_lshrrev_b32_e32 v42, 31, v34
	v_cndmask_b32_e64 v36, 0, -1, s2
	v_cndmask_b32_e64 v18, 0, -1, vcc_lo
	v_bfe_i32 v38, v38, 0, 1
	v_bfe_i32 v39, v39, 0, 1
	v_sub_nc_i16 v21, v21, v37 clamp
	v_lshlrev_b16 v36, 8, v36
	v_lshlrev_b16 v18, 8, v18
	v_lshrrev_b16 v37, 8, v40
	v_cmp_ne_u16_e32 vcc_lo, 0, v42
	v_lshrrev_b32_e32 v34, 30, v34
	v_or_b32_sdwa v41, v38, v36 dst_sel:DWORD dst_unused:UNUSED_PAD src0_sel:BYTE_0 src1_sel:DWORD
	v_or_b32_sdwa v43, v39, v18 dst_sel:WORD_1 dst_unused:UNUSED_PAD src0_sel:BYTE_0 src1_sel:DWORD
	v_bfe_i32 v37, v37, 0, 1
	v_lshrrev_b16 v40, 7, v40
	v_cndmask_b32_e64 v42, 0, -1, vcc_lo
	v_bfe_i32 v34, v34, 0, 1
	v_or_b32_sdwa v41, v41, v43 dst_sel:DWORD dst_unused:UNUSED_PAD src0_sel:WORD_0 src1_sel:DWORD
	v_lshlrev_b16 v37, 8, v37
	v_bfe_i32 v40, v40, 0, 1
	v_lshlrev_b16 v42, 8, v42
	v_perm_b32 v14, v15, v14, 0xc0c0105
	s_waitcnt vmcnt(0)
	v_xor_b32_e32 v12, v12, v41
	v_perm_b32 v15, v21, v19, 0xc0c0105
	v_or_b32_sdwa v19, v40, v37 dst_sel:DWORD dst_unused:UNUSED_PAD src0_sel:BYTE_0 src1_sel:DWORD
	v_or_b32_sdwa v21, v34, v42 dst_sel:WORD_1 dst_unused:UNUSED_PAD src0_sel:BYTE_0 src1_sel:DWORD
	v_lshlrev_b16 v38, 8, v38
	v_and_b32_e32 v41, 0xffffff00, v12
	v_lshlrev_b16 v43, 8, v12
	v_lshrrev_b32_e32 v12, 16, v12
	v_or_b32_sdwa v19, v19, v21 dst_sel:DWORD dst_unused:UNUSED_PAD src0_sel:WORD_0 src1_sel:DWORD
	v_mov_b32_e32 v44, 0
	v_sub_nc_i16 v21, v41, v36 clamp
	v_sub_nc_i16 v36, v43, v38 clamp
	v_and_b32_e32 v38, 0xffffff00, v12
	v_xor_b32_e32 v13, v13, v19
	v_lshl_or_b32 v14, v15, 16, v14
	v_dot4c_i32_i8 v44, v8, v3
	v_lshlrev_b16 v12, 8, v12
	v_sub_nc_i16 v8, v38, v18 clamp
	v_lshrrev_b32_e32 v15, 16, v13
	v_lshlrev_b16 v18, 8, v39
	v_perm_b32 v3, v36, v21, 0xc0c0105
	v_and_b32_e32 v19, 0xffffff00, v13
	v_lshlrev_b16 v13, 8, v13
	v_lshlrev_b16 v21, 8, v40
	v_and_b32_e32 v36, 0xffffff00, v15
	v_lshlrev_b16 v15, 8, v15
	v_lshlrev_b16 v34, 8, v34
	v_sub_nc_i16 v12, v12, v18 clamp
	v_sub_nc_i16 v18, v19, v37 clamp
	;; [unrolled: 1-line block ×5, first 2 shown]
	v_perm_b32 v8, v12, v8, 0xc0c0105
	v_perm_b32 v12, v16, v35, 0xc0c0105
	v_dot4c_i32_i8 v44, v14, v4
	v_perm_b32 v4, v13, v18, 0xc0c0105
	v_perm_b32 v13, v15, v19, 0xc0c0105
	v_lshl_or_b32 v3, v8, 16, v3
	v_lshl_or_b32 v8, v12, 16, v17
	v_dot4c_i32_i8 v20, v7, v9
	v_cmp_le_u32_e32 vcc_lo, s7, v27
	v_lshl_or_b32 v4, v13, 16, v4
	v_dot4c_i32_i8 v44, v3, v5
	v_bfe_u32 v5, v31, 4, 4
	v_dot4c_i32_i8 v20, v8, v2
	v_add_co_u32 v10, s2, 0x480, v10
	v_dot4c_i32_i8 v44, v4, v33
	v_and_b32_e32 v4, 15, v31
	v_add_co_ci_u32_e64 v11, null, 0, v11, s2
	s_or_b32 s14, vcc_lo, s14
	v_add_nc_u32_e32 v2, v44, v20
	v_lshrrev_b32_e32 v3, 31, v2
	v_add_nc_u32_e32 v2, v2, v3
	v_mul_lo_u32 v3, v20, v4
	v_mul_lo_u32 v4, v44, v5
	v_ashrrev_i32_e32 v2, 1, v2
	v_add3_u32 v2, v4, v3, v2
	v_ashrrev_i32_e32 v3, 31, v2
	v_lshrrev_b32_e32 v3, 30, v3
	v_add_nc_u32_e32 v2, v2, v3
	v_cvt_f32_f16_e32 v3, v32
	v_ashrrev_i32_e32 v2, 2, v2
	v_mul_f32_e32 v3, v3, v6
	v_cvt_f32_i32_e32 v2, v2
	v_fmac_f32_e32 v26, v3, v2
	s_andn2_b32 exec_lo, exec_lo, s14
	s_cbranch_execz .LBB183_16
.LBB183_14:                             ; =>This Inner Loop Header: Depth=1
	v_add_nc_u32_e32 v20, s15, v27
	s_getpc_b64 s[2:3]
	s_add_u32 s2, s2, _ZL9iq2s_grid@rel32@lo+4
	s_addc_u32 s3, s3, _ZL9iq2s_grid@rel32@hi+12
	v_mad_i64_i32 v[2:3], null, 0x52, v20, s[12:13]
	v_add_co_u32 v4, vcc_lo, v2, v30
	v_add_co_ci_u32_e64 v5, null, 0, v3, vcc_lo
	v_add_co_u32 v6, vcc_lo, v2, v28
	v_add_co_ci_u32_e64 v7, null, 0, v3, vcc_lo
	s_clause 0x4
	global_load_dword v8, v[4:5], off offset:2
	global_load_ubyte v9, v[6:7], off offset:66
	global_load_ubyte v31, v[6:7], off offset:74
	global_load_dword v34, v[4:5], off offset:34
	global_load_ushort v32, v[2:3], off
	s_andn2_b32 vcc_lo, exec_lo, s9
	s_waitcnt vmcnt(4)
	v_and_b32_e32 v3, 0xff, v8
	s_waitcnt vmcnt(3)
	v_lshlrev_b32_e32 v4, 8, v9
	v_bfe_u32 v5, v8, 8, 8
	v_lshlrev_b32_e32 v6, 6, v9
	v_lshrrev_b32_e32 v2, 24, v8
	v_bfe_u32 v7, v8, 16, 8
	v_lshlrev_b32_e32 v8, 4, v9
	v_lshlrev_b32_e32 v9, 2, v9
	v_and_or_b32 v12, 0x300, v4, v3
	v_and_or_b32 v13, 0x300, v6, v5
	;; [unrolled: 1-line block ×4, first 2 shown]
	v_lshlrev_b32_e32 v12, 3, v12
	v_lshlrev_b32_e32 v13, 3, v13
	s_clause 0x1
	global_load_dwordx4 v[6:9], v[10:11], off offset:-32
	global_load_dwordx4 v[2:5], v[10:11], off offset:-16
	v_lshlrev_b32_e32 v14, 3, v14
	v_lshlrev_b32_e32 v21, 3, v15
	global_load_dword v33, v[10:11], off
	s_clause 0x3
	global_load_dwordx2 v[18:19], v12, s[2:3]
	global_load_dwordx2 v[16:17], v13, s[2:3]
	;; [unrolled: 1-line block ×4, first 2 shown]
	s_waitcnt vmcnt(6)
	v_cvt_f32_f16_e32 v6, v6
	s_cbranch_vccnz .LBB183_13
; %bb.15:                               ;   in Loop: Header=BB183_14 Depth=1
	v_mad_i64_i32 v[20:21], null, 0x52, v20, s[28:29]
	v_add_co_u32 v35, vcc_lo, v20, v28
	v_add_co_ci_u32_e64 v36, null, 0, v21, vcc_lo
	v_add_co_u32 v37, vcc_lo, v20, v30
	v_add_co_ci_u32_e64 v38, null, 0, v21, vcc_lo
	s_clause 0x4
	global_load_dword v39, v[37:38], off offset:2
	global_load_ubyte v41, v[35:36], off offset:66
	global_load_dword v37, v[37:38], off offset:34
	global_load_ubyte v42, v[35:36], off offset:74
	global_load_ushort v20, v[20:21], off
	s_waitcnt vmcnt(3)
	v_lshlrev_b32_e32 v36, 8, v41
	v_and_b32_e32 v35, 0xff, v39
	s_waitcnt vmcnt(2)
	v_lshlrev_b32_e32 v43, 21, v37
	v_lshrrev_b32_e32 v38, 16, v37
	v_lshrrev_b32_e32 v40, 24, v39
	s_waitcnt vmcnt(0)
	v_cvt_f32_f16_e32 v20, v20
	v_and_or_b32 v35, 0x300, v36, v35
	v_and_b32_e32 v36, 0xff, v37
	v_mul_f32_e32 v20, v6, v20
	v_lshlrev_b32_e32 v35, 3, v35
	v_lshl_or_b32 v43, v36, 7, v43
	v_and_b32_e32 v44, 0x1800180, v43
	v_bfe_u32 v43, v43, 24, 1
	v_cmp_ne_u16_sdwa s16, v44, v29 src0_sel:BYTE_1 src1_sel:DWORD
	v_cmp_ne_u16_e32 vcc_lo, 0, v43
	v_lshrrev_b16 v43, 7, v44
	v_lshrrev_b32_e32 v44, 2, v37
	v_cndmask_b32_e64 v45, 0, -1, s16
	v_cndmask_b32_e64 v47, 0, -1, vcc_lo
	v_bfe_i32 v43, v43, 0, 1
	v_bfe_i32 v44, v44, 0, 1
	v_lshlrev_b16 v45, 8, v45
	v_lshlrev_b16 v47, 8, v47
	v_or_b32_sdwa v46, v43, v45 dst_sel:DWORD dst_unused:UNUSED_PAD src0_sel:BYTE_0 src1_sel:DWORD
	v_or_b32_sdwa v48, v44, v47 dst_sel:WORD_1 dst_unused:UNUSED_PAD src0_sel:BYTE_0 src1_sel:DWORD
	v_lshlrev_b16 v43, 8, v43
	v_lshlrev_b16 v44, 8, v44
	v_or_b32_sdwa v46, v46, v48 dst_sel:DWORD dst_unused:UNUSED_PAD src0_sel:WORD_0 src1_sel:DWORD
	v_lshlrev_b32_e32 v48, 17, v37
	v_lshl_or_b32 v36, v36, 3, v48
	v_and_b32_e32 v48, 0x1800180, v36
	v_bfe_u32 v36, v36, 24, 1
	v_cmp_ne_u16_sdwa s16, v48, v29 src0_sel:BYTE_1 src1_sel:DWORD
	v_cmp_ne_u16_e32 vcc_lo, 0, v36
	v_lshrrev_b16 v36, 7, v48
	v_lshrrev_b32_e32 v48, 6, v37
	v_cndmask_b32_e64 v51, 0, -1, vcc_lo
	v_bfe_i32 v49, v36, 0, 1
	v_cndmask_b32_e64 v36, 0, -1, s16
	v_bfe_i32 v48, v48, 0, 1
	v_lshlrev_b16 v51, 8, v51
	v_lshlrev_b16 v50, 8, v36
	v_or_b32_sdwa v52, v48, v51 dst_sel:WORD_1 dst_unused:UNUSED_PAD src0_sel:BYTE_0 src1_sel:DWORD
	v_or_b32_sdwa v36, v49, v50 dst_sel:DWORD dst_unused:UNUSED_PAD src0_sel:BYTE_0 src1_sel:DWORD
	v_or_b32_sdwa v52, v36, v52 dst_sel:DWORD dst_unused:UNUSED_PAD src0_sel:WORD_0 src1_sel:DWORD
	global_load_dwordx2 v[35:36], v35, s[2:3]
	s_waitcnt vmcnt(0)
	v_xor_b32_e32 v35, v35, v46
	v_xor_b32_e32 v36, v36, v52
	v_lshrrev_b32_e32 v46, 16, v35
	v_and_b32_e32 v53, 0xffffff00, v35
	v_lshlrev_b16 v35, 8, v35
	v_sub_nc_i16 v45, v53, v45 clamp
	v_sub_nc_i16 v35, v35, v43 clamp
	v_and_b32_e32 v43, 0xffffff00, v46
	v_perm_b32 v35, v35, v45, 0xc0c0105
	v_lshlrev_b16 v45, 8, v46
	v_sub_nc_i16 v43, v43, v47 clamp
	v_sub_nc_i16 v44, v45, v44 clamp
	v_lshlrev_b16 v45, 8, v49
	v_lshrrev_b32_e32 v49, 15, v37
	v_perm_b32 v43, v44, v43, 0xc0c0105
	v_and_b32_e32 v44, 0xffffff00, v36
	v_bfe_i32 v49, v49, 0, 1
	v_lshl_or_b32 v35, v43, 16, v35
	v_lshrrev_b32_e32 v43, 16, v36
	v_lshlrev_b16 v36, 8, v36
	v_sub_nc_i16 v44, v44, v50 clamp
	v_lshrrev_b32_e32 v50, 14, v37
	v_lshlrev_b16 v49, 8, v49
	v_sub_nc_i16 v36, v36, v45 clamp
	v_lshlrev_b16 v45, 8, v48
	v_bfe_i32 v50, v50, 0, 1
	v_perm_b32 v36, v36, v44, 0xc0c0105
	v_and_b32_e32 v44, 0xffffff00, v43
	v_lshlrev_b16 v43, 8, v43
	v_or_b32_sdwa v53, v50, v49 dst_sel:WORD_1 dst_unused:UNUSED_PAD src0_sel:BYTE_0 src1_sel:DWORD
	v_sub_nc_i16 v44, v44, v51 clamp
	v_sub_nc_i16 v43, v43, v45 clamp
	v_lshrrev_b32_e32 v45, 10, v37
	v_perm_b32 v43, v43, v44, 0xc0c0105
	v_lshrrev_b32_e32 v44, 11, v37
	v_bfe_i32 v45, v45, 0, 1
	v_lshl_or_b32 v36, v43, 16, v36
	v_mov_b32_e32 v43, 0
	v_bfe_i32 v44, v44, 0, 1
	v_dot4c_i32_i8 v43, v35, v7
	v_bfe_u32 v35, v39, 8, 8
	v_lshlrev_b16 v44, 8, v44
	v_dot4c_i32_i8 v43, v36, v8
	v_lshlrev_b32_e32 v36, 6, v41
	v_or_b32_sdwa v48, v45, v44 dst_sel:WORD_1 dst_unused:UNUSED_PAD src0_sel:BYTE_0 src1_sel:DWORD
	v_lshlrev_b16 v45, 8, v45
	v_and_or_b32 v35, 0x300, v36, v35
	v_lshrrev_b32_e32 v36, 1, v37
	v_lshlrev_b32_e32 v35, 3, v35
	v_and_b32_e32 v36, 0x180, v36
	v_cmp_ne_u16_sdwa s16, v36, v29 src0_sel:BYTE_1 src1_sel:DWORD
	v_lshrrev_b16 v36, 7, v36
	v_bfe_i32 v46, v36, 0, 1
	v_cndmask_b32_e64 v36, 0, -1, s16
	v_lshlrev_b16 v47, 8, v36
	v_or_b32_sdwa v36, v46, v47 dst_sel:DWORD dst_unused:UNUSED_PAD src0_sel:BYTE_0 src1_sel:DWORD
	v_lshlrev_b16 v46, 8, v46
	v_or_b32_sdwa v48, v36, v48 dst_sel:DWORD dst_unused:UNUSED_PAD src0_sel:WORD_0 src1_sel:DWORD
	v_lshrrev_b32_e32 v36, 5, v37
	v_and_b32_e32 v36, 0x180, v36
	v_cmp_ne_u16_sdwa s16, v36, v29 src0_sel:BYTE_1 src1_sel:DWORD
	v_lshrrev_b16 v36, 7, v36
	v_bfe_i32 v51, v36, 0, 1
	v_cndmask_b32_e64 v36, 0, -1, s16
	v_lshlrev_b16 v52, 8, v36
	v_or_b32_sdwa v36, v51, v52 dst_sel:DWORD dst_unused:UNUSED_PAD src0_sel:BYTE_0 src1_sel:DWORD
	v_or_b32_sdwa v53, v36, v53 dst_sel:DWORD dst_unused:UNUSED_PAD src0_sel:WORD_0 src1_sel:DWORD
	global_load_dwordx2 v[35:36], v35, s[2:3]
	s_waitcnt vmcnt(0)
	v_xor_b32_e32 v35, v35, v48
	v_xor_b32_e32 v36, v36, v53
	v_lshrrev_b32_e32 v48, 16, v35
	v_and_b32_e32 v54, 0xffffff00, v35
	v_lshlrev_b16 v35, 8, v35
	v_sub_nc_i16 v47, v54, v47 clamp
	v_sub_nc_i16 v35, v35, v46 clamp
	v_and_b32_e32 v46, 0xffffff00, v48
	v_perm_b32 v35, v35, v47, 0xc0c0105
	v_sub_nc_i16 v44, v46, v44 clamp
	v_lshlrev_b16 v46, 8, v48
	v_sub_nc_i16 v45, v46, v45 clamp
	v_lshlrev_b16 v46, 8, v51
	v_perm_b32 v44, v45, v44, 0xc0c0105
	v_and_b32_e32 v45, 0xffffff00, v36
	v_lshl_or_b32 v35, v44, 16, v35
	v_lshrrev_b32_e32 v44, 16, v36
	v_lshlrev_b16 v36, 8, v36
	v_sub_nc_i16 v45, v45, v52 clamp
	v_dot4c_i32_i8 v43, v35, v9
	v_bfe_u32 v35, v39, 16, 8
	v_sub_nc_i16 v36, v36, v46 clamp
	v_lshlrev_b16 v46, 8, v50
	v_perm_b32 v36, v36, v45, 0xc0c0105
	v_and_b32_e32 v45, 0xffffff00, v44
	v_lshlrev_b16 v44, 8, v44
	v_sub_nc_i16 v45, v45, v49 clamp
	v_sub_nc_i16 v44, v44, v46 clamp
	v_perm_b32 v44, v44, v45, 0xc0c0105
	v_lshl_or_b32 v36, v44, 16, v36
	v_dot4c_i32_i8 v43, v36, v2
	v_lshlrev_b32_e32 v36, 4, v41
	v_and_or_b32 v35, 0x300, v36, v35
	v_lshrrev_b32_e32 v36, 9, v37
	v_lshlrev_b32_e32 v35, 3, v35
	v_lshl_or_b32 v36, v38, 21, v36
	v_and_b32_e32 v39, 0x1800180, v36
	v_bfe_u32 v36, v36, 24, 1
	v_cmp_ne_u16_sdwa s16, v39, v29 src0_sel:BYTE_1 src1_sel:DWORD
	v_cmp_ne_u16_e32 vcc_lo, 0, v36
	v_lshrrev_b16 v36, 7, v39
	v_lshrrev_b32_e32 v39, 18, v37
	v_cndmask_b32_e64 v46, 0, -1, vcc_lo
	v_bfe_i32 v44, v36, 0, 1
	v_cndmask_b32_e64 v36, 0, -1, s16
	v_bfe_i32 v39, v39, 0, 1
	v_lshlrev_b16 v46, 8, v46
	v_lshlrev_b16 v45, 8, v36
	v_or_b32_sdwa v47, v39, v46 dst_sel:WORD_1 dst_unused:UNUSED_PAD src0_sel:BYTE_0 src1_sel:DWORD
	v_lshlrev_b16 v39, 8, v39
	v_or_b32_sdwa v36, v44, v45 dst_sel:DWORD dst_unused:UNUSED_PAD src0_sel:BYTE_0 src1_sel:DWORD
	v_lshlrev_b16 v44, 8, v44
	v_or_b32_sdwa v47, v36, v47 dst_sel:DWORD dst_unused:UNUSED_PAD src0_sel:WORD_0 src1_sel:DWORD
	v_lshrrev_b32_e32 v36, 13, v37
	v_lshl_or_b32 v36, v38, 17, v36
	v_and_b32_e32 v38, 0x1800180, v36
	v_bfe_u32 v36, v36, 24, 1
	v_cmp_ne_u16_sdwa s16, v38, v29 src0_sel:BYTE_1 src1_sel:DWORD
	v_cmp_ne_u16_e32 vcc_lo, 0, v36
	v_lshrrev_b16 v36, 7, v38
	v_lshrrev_b32_e32 v38, 22, v37
	v_cndmask_b32_e64 v50, 0, -1, vcc_lo
	v_bfe_i32 v48, v36, 0, 1
	v_cndmask_b32_e64 v36, 0, -1, s16
	v_bfe_i32 v38, v38, 0, 1
	v_lshlrev_b16 v50, 8, v50
	v_lshlrev_b16 v49, 8, v36
	v_or_b32_sdwa v51, v38, v50 dst_sel:WORD_1 dst_unused:UNUSED_PAD src0_sel:BYTE_0 src1_sel:DWORD
	v_lshlrev_b16 v38, 8, v38
	v_or_b32_sdwa v36, v48, v49 dst_sel:DWORD dst_unused:UNUSED_PAD src0_sel:BYTE_0 src1_sel:DWORD
	v_or_b32_sdwa v51, v36, v51 dst_sel:DWORD dst_unused:UNUSED_PAD src0_sel:WORD_0 src1_sel:DWORD
	global_load_dwordx2 v[35:36], v35, s[2:3]
	s_waitcnt vmcnt(0)
	v_xor_b32_e32 v35, v35, v47
	v_xor_b32_e32 v36, v36, v51
	v_lshrrev_b32_e32 v47, 16, v35
	v_and_b32_e32 v52, 0xffffff00, v35
	v_lshlrev_b16 v35, 8, v35
	v_sub_nc_i16 v45, v52, v45 clamp
	v_sub_nc_i16 v35, v35, v44 clamp
	v_and_b32_e32 v44, 0xffffff00, v47
	v_perm_b32 v35, v35, v45, 0xc0c0105
	v_lshlrev_b16 v45, 8, v47
	v_sub_nc_i16 v44, v44, v46 clamp
	v_lshrrev_b32_e32 v47, 31, v37
	v_sub_nc_i16 v39, v45, v39 clamp
	v_lshlrev_b16 v45, 8, v48
	v_perm_b32 v39, v39, v44, 0xc0c0105
	v_and_b32_e32 v44, 0xffffff00, v36
	v_lshl_or_b32 v35, v39, 16, v35
	v_lshrrev_b32_e32 v39, 16, v36
	v_lshlrev_b16 v36, 8, v36
	v_sub_nc_i16 v44, v44, v49 clamp
	v_sub_nc_i16 v36, v36, v45 clamp
	v_perm_b32 v36, v36, v44, 0xc0c0105
	v_and_b32_e32 v44, 0xffffff00, v39
	v_lshlrev_b16 v39, 8, v39
	v_sub_nc_i16 v44, v44, v50 clamp
	v_sub_nc_i16 v38, v39, v38 clamp
	v_lshrrev_b32_e32 v39, 24, v37
	v_perm_b32 v38, v38, v44, 0xc0c0105
	v_lshl_or_b32 v36, v38, 16, v36
	v_mov_b32_e32 v38, 0
	v_dot4c_i32_i8 v38, v35, v3
	v_lshlrev_b32_e32 v35, 2, v41
	v_dot4c_i32_i8 v38, v36, v4
	v_lshrrev_b32_e32 v36, 17, v37
	v_and_or_b32 v35, 0x300, v35, v40
	v_lshl_or_b32 v36, v39, 21, v36
	v_lshlrev_b32_e32 v35, 3, v35
	v_and_b32_e32 v39, 0x1800180, v36
	v_bfe_u32 v36, v36, 24, 1
	v_cmp_ne_u16_sdwa s16, v39, v29 src0_sel:BYTE_1 src1_sel:DWORD
	v_cmp_ne_u16_e32 vcc_lo, 0, v36
	v_lshrrev_b16 v36, 7, v39
	v_lshrrev_b32_e32 v39, 26, v37
	v_cndmask_b32_e64 v44, 0, -1, vcc_lo
	v_bfe_i32 v40, v36, 0, 1
	v_cndmask_b32_e64 v36, 0, -1, s16
	v_bfe_i32 v39, v39, 0, 1
	v_cmp_ne_u16_e32 vcc_lo, 0, v47
	v_lshlrev_b16 v44, 8, v44
	v_lshlrev_b16 v41, 8, v36
	v_cndmask_b32_e64 v48, 0, -1, vcc_lo
	v_or_b32_sdwa v45, v39, v44 dst_sel:WORD_1 dst_unused:UNUSED_PAD src0_sel:BYTE_0 src1_sel:DWORD
	v_lshlrev_b16 v39, 8, v39
	v_or_b32_sdwa v36, v40, v41 dst_sel:DWORD dst_unused:UNUSED_PAD src0_sel:BYTE_0 src1_sel:DWORD
	v_lshlrev_b16 v40, 8, v40
	v_lshlrev_b16 v48, 8, v48
	v_or_b32_sdwa v45, v36, v45 dst_sel:DWORD dst_unused:UNUSED_PAD src0_sel:WORD_0 src1_sel:DWORD
	v_lshrrev_b32_e32 v36, 21, v37
	v_lshrrev_b32_e32 v37, 30, v37
	v_lshrrev_b16 v46, 8, v36
	v_lshrrev_b16 v36, 7, v36
	v_bfe_i32 v37, v37, 0, 1
	v_bfe_i32 v46, v46, 0, 1
	;; [unrolled: 1-line block ×3, first 2 shown]
	v_or_b32_sdwa v49, v37, v48 dst_sel:WORD_1 dst_unused:UNUSED_PAD src0_sel:BYTE_0 src1_sel:DWORD
	v_lshlrev_b16 v37, 8, v37
	v_lshlrev_b16 v46, 8, v46
	v_or_b32_sdwa v36, v47, v46 dst_sel:DWORD dst_unused:UNUSED_PAD src0_sel:BYTE_0 src1_sel:DWORD
	v_or_b32_sdwa v49, v36, v49 dst_sel:DWORD dst_unused:UNUSED_PAD src0_sel:WORD_0 src1_sel:DWORD
	global_load_dwordx2 v[35:36], v35, s[2:3]
	s_waitcnt vmcnt(0)
	v_xor_b32_e32 v35, v35, v45
	v_xor_b32_e32 v36, v36, v49
	v_lshrrev_b32_e32 v45, 16, v35
	v_and_b32_e32 v50, 0xffffff00, v35
	v_lshlrev_b16 v35, 8, v35
	v_sub_nc_i16 v41, v50, v41 clamp
	v_sub_nc_i16 v35, v35, v40 clamp
	v_and_b32_e32 v40, 0xffffff00, v45
	v_perm_b32 v35, v35, v41, 0xc0c0105
	v_lshlrev_b16 v41, 8, v45
	v_sub_nc_i16 v40, v40, v44 clamp
	v_sub_nc_i16 v39, v41, v39 clamp
	v_lshlrev_b16 v41, 8, v47
	v_perm_b32 v39, v39, v40, 0xc0c0105
	v_and_b32_e32 v40, 0xffffff00, v36
	v_lshl_or_b32 v35, v39, 16, v35
	v_lshrrev_b32_e32 v39, 16, v36
	v_lshlrev_b16 v36, 8, v36
	v_sub_nc_i16 v40, v40, v46 clamp
	v_dot4c_i32_i8 v38, v35, v5
	v_lshrrev_b32_e32 v35, 4, v42
	v_sub_nc_i16 v36, v36, v41 clamp
	v_perm_b32 v36, v36, v40, 0xc0c0105
	v_and_b32_e32 v40, 0xffffff00, v39
	v_lshlrev_b16 v39, 8, v39
	v_sub_nc_i16 v40, v40, v48 clamp
	v_sub_nc_i16 v37, v39, v37 clamp
	v_perm_b32 v37, v37, v40, 0xc0c0105
	v_lshl_or_b32 v36, v37, 16, v36
	v_dot4c_i32_i8 v38, v36, v33
	v_and_b32_e32 v36, 15, v42
	v_add_nc_u32_e32 v37, v38, v43
	v_mul_lo_u32 v35, v38, v35
	v_mul_lo_u32 v36, v43, v36
	v_lshrrev_b32_e32 v38, 31, v37
	v_add_nc_u32_e32 v37, v37, v38
	v_ashrrev_i32_e32 v37, 1, v37
	v_add3_u32 v35, v35, v36, v37
	v_ashrrev_i32_e32 v36, 31, v35
	v_lshrrev_b32_e32 v36, 30, v36
	v_add_nc_u32_e32 v35, v35, v36
	v_ashrrev_i32_e32 v35, 2, v35
	v_cvt_f32_i32_e32 v21, v35
	v_fmac_f32_e32 v25, v20, v21
	s_branch .LBB183_13
.LBB183_16:
	s_or_b32 exec_lo, exec_lo, s14
.LBB183_17:
	s_or_b32 exec_lo, exec_lo, s11
	s_load_dword s2, s[4:5], 0x30
	s_waitcnt vmcnt(0) lgkmcnt(0)
	; wave barrier
	buffer_gl0_inv
	s_mov_b32 s3, exec_lo
	v_cmpx_eq_u32_e32 0, v1
	s_cbranch_execz .LBB183_44
; %bb.18:
	v_mbcnt_lo_u32_b32 v2, -1, 0
	v_xor_b32_e32 v1, 16, v2
	v_xor_b32_e32 v4, 8, v2
	;; [unrolled: 1-line block ×3, first 2 shown]
	v_cmp_gt_i32_e32 vcc_lo, 32, v1
	v_cndmask_b32_e32 v1, v2, v1, vcc_lo
	v_cmp_gt_i32_e32 vcc_lo, 32, v4
	v_lshlrev_b32_e32 v1, 2, v1
	v_cndmask_b32_e32 v4, v2, v4, vcc_lo
	v_cmp_gt_i32_e32 vcc_lo, 32, v5
	ds_bpermute_b32 v3, v1, v26
	v_lshlrev_b32_e32 v4, 2, v4
	v_cndmask_b32_e32 v5, v2, v5, vcc_lo
	v_lshlrev_b32_e32 v5, 2, v5
	s_waitcnt lgkmcnt(0)
	v_add_f32_e32 v3, v26, v3
	ds_bpermute_b32 v6, v4, v3
	s_waitcnt lgkmcnt(0)
	v_add_f32_e32 v3, v3, v6
	v_xor_b32_e32 v6, 2, v2
	ds_bpermute_b32 v7, v5, v3
	v_cmp_gt_i32_e32 vcc_lo, 32, v6
	v_cndmask_b32_e32 v6, v2, v6, vcc_lo
	v_lshlrev_b32_e32 v6, 2, v6
	s_waitcnt lgkmcnt(0)
	v_add_f32_e32 v3, v3, v7
	v_xor_b32_e32 v7, 1, v2
	ds_bpermute_b32 v8, v6, v3
	v_cmp_gt_i32_e32 vcc_lo, 32, v7
	v_cndmask_b32_e32 v2, v2, v7, vcc_lo
	v_cmp_ne_u32_e32 vcc_lo, 1, v24
	v_lshlrev_b32_e32 v7, 2, v2
	s_waitcnt lgkmcnt(0)
	v_add_f32_e32 v2, v3, v8
	ds_bpermute_b32 v3, v7, v2
	s_cbranch_vccnz .LBB183_20
; %bb.19:
	ds_bpermute_b32 v1, v1, v25
	s_waitcnt lgkmcnt(0)
	v_add_f32_e32 v1, v25, v1
	ds_bpermute_b32 v4, v4, v1
	s_waitcnt lgkmcnt(0)
	v_add_f32_e32 v1, v1, v4
	;; [unrolled: 3-line block ×5, first 2 shown]
.LBB183_20:
	v_cmp_eq_u32_e32 vcc_lo, 0, v0
	s_and_b32 exec_lo, exec_lo, vcc_lo
	s_cbranch_execz .LBB183_44
; %bb.21:
	s_waitcnt lgkmcnt(0)
	v_add_f32_e32 v1, v2, v3
	v_cmp_ne_u32_e32 vcc_lo, 1, v24
	v_add_f32_e32 v2, v23, v1
	v_cndmask_b32_e64 v1, v1, v2, s0
	s_cbranch_vccnz .LBB183_43
; %bb.22:
	v_add_f32_e32 v2, v22, v25
	s_cmp_lt_i32 s2, 2
	s_mov_b32 s0, 0
	v_cndmask_b32_e64 v2, v25, v2, s1
	s_cbranch_scc1 .LBB183_26
; %bb.23:
	s_cmp_gt_i32 s2, 2
	s_cbranch_scc0 .LBB183_27
; %bb.24:
	s_cmp_eq_u32 s2, 3
	s_cbranch_scc0 .LBB183_28
; %bb.25:
	v_max_f32_e32 v3, v2, v2
	s_mov_b32 s1, 0
	v_min_f32_e32 v3, 0x40e00000, v3
	v_mul_f32_e32 v4, 0xbfd9db23, v3
	v_mul_f32_e32 v5, 0x3fb8aa3b, v4
	v_cmp_ngt_f32_e32 vcc_lo, 0xc2ce8ed0, v4
	v_fma_f32 v6, 0x3fb8aa3b, v4, -v5
	v_rndne_f32_e32 v7, v5
	v_fmamk_f32 v6, v4, 0x32a5705f, v6
	v_sub_f32_e32 v5, v5, v7
	v_add_f32_e32 v5, v5, v6
	v_cvt_i32_f32_e32 v6, v7
	v_exp_f32_e32 v5, v5
	v_ldexp_f32 v5, v5, v6
	v_cndmask_b32_e32 v5, 0, v5, vcc_lo
	v_cmp_nlt_f32_e32 vcc_lo, 0x42b17218, v4
	v_cndmask_b32_e32 v4, 0x7f800000, v5, vcc_lo
	v_add_f32_e32 v4, 1.0, v4
	v_div_scale_f32 v5, null, v4, v4, v3
	v_div_scale_f32 v8, vcc_lo, v3, v4, v3
	v_rcp_f32_e32 v6, v5
	v_fma_f32 v7, -v5, v6, 1.0
	v_fmac_f32_e32 v6, v7, v6
	v_mul_f32_e32 v7, v8, v6
	v_fma_f32 v9, -v5, v7, v8
	v_fmac_f32_e32 v7, v9, v6
	v_max_f32_e32 v9, v1, v1
	v_fma_f32 v5, -v5, v7, v8
	v_min_f32_e32 v8, 0x40e00000, v9
	v_div_fmas_f32 v5, v5, v6, v7
	v_max_f32_e32 v6, 0xc0e00000, v8
	v_div_fixup_f32 v3, v5, v4, v3
	v_add_f32_e32 v4, 1.0, v6
	v_mul_f32_e32 v3, v4, v3
	s_branch .LBB183_29
.LBB183_26:
	s_mov_b32 s1, 0
                                        ; implicit-def: $vgpr3
	s_cbranch_execnz .LBB183_33
	s_branch .LBB183_34
.LBB183_27:
	s_mov_b32 s3, -1
	s_mov_b32 s1, 0
                                        ; implicit-def: $vgpr3
	s_branch .LBB183_30
.LBB183_28:
	s_mov_b32 s1, -1
                                        ; implicit-def: $vgpr3
.LBB183_29:
	s_mov_b32 s3, 0
.LBB183_30:
	s_and_b32 vcc_lo, exec_lo, s3
	s_cbranch_vccz .LBB183_32
; %bb.31:
	v_mul_f32_e32 v3, 0xbfb8aa3b, v2
	v_cmp_nlt_f32_e32 vcc_lo, 0x42ce8ed0, v2
	v_rndne_f32_e32 v4, v3
	v_fma_f32 v5, 0xbfb8aa3b, v2, -v3
	v_sub_f32_e32 v3, v3, v4
	v_fmamk_f32 v5, v2, 0xb2a5705f, v5
	v_cvt_i32_f32_e32 v4, v4
	v_add_f32_e32 v3, v3, v5
	v_exp_f32_e32 v3, v3
	v_ldexp_f32 v3, v3, v4
	v_cndmask_b32_e32 v3, 0, v3, vcc_lo
	v_cmp_ngt_f32_e32 vcc_lo, 0xc2b17218, v2
	v_cndmask_b32_e32 v3, 0x7f800000, v3, vcc_lo
	v_add_f32_e32 v3, 1.0, v3
	v_div_scale_f32 v4, null, v3, v3, v2
	v_rcp_f32_e32 v5, v4
	v_fma_f32 v6, -v4, v5, 1.0
	v_fmac_f32_e32 v5, v6, v5
	v_div_scale_f32 v6, vcc_lo, v2, v3, v2
	v_mul_f32_e32 v7, v6, v5
	v_fma_f32 v8, -v4, v7, v6
	v_fmac_f32_e32 v7, v8, v5
	v_fma_f32 v4, -v4, v7, v6
	v_div_fmas_f32 v4, v4, v5, v7
	v_div_fixup_f32 v3, v4, v3, v2
	v_mul_f32_e32 v3, v1, v3
.LBB183_32:
	s_branch .LBB183_34
.LBB183_33:
	s_cmp_lg_u32 s2, 1
	s_mov_b32 s0, -1
	s_cselect_b32 s1, -1, 0
.LBB183_34:
	s_andn2_b32 vcc_lo, exec_lo, s1
	s_cbranch_vccz .LBB183_36
; %bb.35:
	s_andn2_b32 vcc_lo, exec_lo, s0
	s_cbranch_vccz .LBB183_37
	s_branch .LBB183_42
.LBB183_36:
	v_mul_f32_e32 v3, v2, v1
	s_cbranch_execnz .LBB183_42
.LBB183_37:
	v_mul_f32_e32 v3, 0x3d372713, v2
	v_mul_f32_e32 v4, 0x3f4c422a, v2
	v_fma_f32 v3, v2, v3, 1.0
	v_mul_f32_e32 v3, v4, v3
                                        ; implicit-def: $vgpr4
	v_cmp_ngt_f32_e64 s0, 0x3f200000, |v3|
	s_and_saveexec_b32 s1, s0
	s_xor_b32 s0, exec_lo, s1
	s_cbranch_execz .LBB183_39
; %bb.38:
	v_add_f32_e64 v4, |v3|, |v3|
	v_mul_f32_e32 v5, 0x3fb8aa3b, v4
	v_cmp_ngt_f32_e32 vcc_lo, 0xc2ce8ed0, v4
	v_rndne_f32_e32 v6, v5
	v_fma_f32 v7, 0x3fb8aa3b, v4, -v5
	v_sub_f32_e32 v5, v5, v6
	v_fmamk_f32 v7, v4, 0x32a5705f, v7
	v_cvt_i32_f32_e32 v6, v6
	v_add_f32_e32 v5, v5, v7
	v_exp_f32_e32 v5, v5
	v_ldexp_f32 v5, v5, v6
	v_cndmask_b32_e32 v5, 0, v5, vcc_lo
	v_cmp_nlt_f32_e32 vcc_lo, 0x42b17218, v4
	v_cndmask_b32_e32 v4, 0x7f800000, v5, vcc_lo
	v_add_f32_e32 v4, 1.0, v4
	v_rcp_f32_e32 v4, v4
	v_fma_f32 v4, v4, -2.0, 1.0
.LBB183_39:
	s_andn2_saveexec_b32 s0, s0
	s_cbranch_execz .LBB183_41
; %bb.40:
	v_mul_f32_e32 v4, v3, v3
	s_mov_b32 s1, 0xbbbac73d
	v_fmaak_f32 v5, s1, v4, 0x3ca908c9
	v_fmaak_f32 v5, v4, v5, 0xbd5c1c4e
	;; [unrolled: 1-line block ×4, first 2 shown]
	v_mul_f32_e64 v5, |v3|, v5
	v_fma_f32 v4, v4, v5, |v3|
.LBB183_41:
	s_or_b32 exec_lo, exec_lo, s0
	v_bfi_b32 v3, 0x7fffffff, v4, v3
	v_mul_f32_e32 v2, 0.5, v2
	v_add_f32_e32 v3, 1.0, v3
	v_mul_f32_e32 v2, v2, v3
	v_mul_f32_e32 v3, v1, v2
.LBB183_42:
	v_mov_b32_e32 v1, v3
.LBB183_43:
	s_load_dwordx2 s[0:1], s[4:5], 0x38
	s_mul_i32 s2, s22, s10
	s_mul_i32 s3, s26, s8
	s_add_i32 s2, s2, s6
	v_lshlrev_b32_e32 v0, 2, v0
	s_add_i32 s2, s2, s3
	s_mov_b32 s3, 0
	s_lshl_b64 s[2:3], s[2:3], 2
	s_waitcnt lgkmcnt(0)
	s_add_u32 s0, s0, s2
	s_addc_u32 s1, s1, s3
	global_store_dword v0, v1, s[0:1]
.LBB183_44:
	s_endpgm
	.section	.rodata,"a",@progbits
	.p2align	6, 0x0
	.amdhsa_kernel _ZL13mul_mat_vec_qIL9ggml_type22ELi1ELb1ELb0EEvPKvS2_PKi31ggml_cuda_mm_fusion_args_devicePfj15HIP_vector_typeIjLj3EEjjjS8_jjjS8_jjjj
		.amdhsa_group_segment_fixed_size 0
		.amdhsa_private_segment_fixed_size 0
		.amdhsa_kernarg_size 144
		.amdhsa_user_sgpr_count 6
		.amdhsa_user_sgpr_private_segment_buffer 1
		.amdhsa_user_sgpr_dispatch_ptr 0
		.amdhsa_user_sgpr_queue_ptr 0
		.amdhsa_user_sgpr_kernarg_segment_ptr 1
		.amdhsa_user_sgpr_dispatch_id 0
		.amdhsa_user_sgpr_flat_scratch_init 0
		.amdhsa_user_sgpr_private_segment_size 0
		.amdhsa_wavefront_size32 1
		.amdhsa_uses_dynamic_stack 0
		.amdhsa_system_sgpr_private_segment_wavefront_offset 0
		.amdhsa_system_sgpr_workgroup_id_x 1
		.amdhsa_system_sgpr_workgroup_id_y 1
		.amdhsa_system_sgpr_workgroup_id_z 1
		.amdhsa_system_sgpr_workgroup_info 0
		.amdhsa_system_vgpr_workitem_id 1
		.amdhsa_next_free_vgpr 55
		.amdhsa_next_free_sgpr 40
		.amdhsa_reserve_vcc 1
		.amdhsa_reserve_flat_scratch 0
		.amdhsa_float_round_mode_32 0
		.amdhsa_float_round_mode_16_64 0
		.amdhsa_float_denorm_mode_32 3
		.amdhsa_float_denorm_mode_16_64 3
		.amdhsa_dx10_clamp 1
		.amdhsa_ieee_mode 1
		.amdhsa_fp16_overflow 0
		.amdhsa_workgroup_processor_mode 1
		.amdhsa_memory_ordered 1
		.amdhsa_forward_progress 1
		.amdhsa_shared_vgpr_count 0
		.amdhsa_exception_fp_ieee_invalid_op 0
		.amdhsa_exception_fp_denorm_src 0
		.amdhsa_exception_fp_ieee_div_zero 0
		.amdhsa_exception_fp_ieee_overflow 0
		.amdhsa_exception_fp_ieee_underflow 0
		.amdhsa_exception_fp_ieee_inexact 0
		.amdhsa_exception_int_div_zero 0
	.end_amdhsa_kernel
	.section	.text._ZL13mul_mat_vec_qIL9ggml_type22ELi1ELb1ELb0EEvPKvS2_PKi31ggml_cuda_mm_fusion_args_devicePfj15HIP_vector_typeIjLj3EEjjjS8_jjjS8_jjjj,"axG",@progbits,_ZL13mul_mat_vec_qIL9ggml_type22ELi1ELb1ELb0EEvPKvS2_PKi31ggml_cuda_mm_fusion_args_devicePfj15HIP_vector_typeIjLj3EEjjjS8_jjjS8_jjjj,comdat
.Lfunc_end183:
	.size	_ZL13mul_mat_vec_qIL9ggml_type22ELi1ELb1ELb0EEvPKvS2_PKi31ggml_cuda_mm_fusion_args_devicePfj15HIP_vector_typeIjLj3EEjjjS8_jjjS8_jjjj, .Lfunc_end183-_ZL13mul_mat_vec_qIL9ggml_type22ELi1ELb1ELb0EEvPKvS2_PKi31ggml_cuda_mm_fusion_args_devicePfj15HIP_vector_typeIjLj3EEjjjS8_jjjS8_jjjj
                                        ; -- End function
	.set _ZL13mul_mat_vec_qIL9ggml_type22ELi1ELb1ELb0EEvPKvS2_PKi31ggml_cuda_mm_fusion_args_devicePfj15HIP_vector_typeIjLj3EEjjjS8_jjjS8_jjjj.num_vgpr, 55
	.set _ZL13mul_mat_vec_qIL9ggml_type22ELi1ELb1ELb0EEvPKvS2_PKi31ggml_cuda_mm_fusion_args_devicePfj15HIP_vector_typeIjLj3EEjjjS8_jjjS8_jjjj.num_agpr, 0
	.set _ZL13mul_mat_vec_qIL9ggml_type22ELi1ELb1ELb0EEvPKvS2_PKi31ggml_cuda_mm_fusion_args_devicePfj15HIP_vector_typeIjLj3EEjjjS8_jjjS8_jjjj.numbered_sgpr, 40
	.set _ZL13mul_mat_vec_qIL9ggml_type22ELi1ELb1ELb0EEvPKvS2_PKi31ggml_cuda_mm_fusion_args_devicePfj15HIP_vector_typeIjLj3EEjjjS8_jjjS8_jjjj.num_named_barrier, 0
	.set _ZL13mul_mat_vec_qIL9ggml_type22ELi1ELb1ELb0EEvPKvS2_PKi31ggml_cuda_mm_fusion_args_devicePfj15HIP_vector_typeIjLj3EEjjjS8_jjjS8_jjjj.private_seg_size, 0
	.set _ZL13mul_mat_vec_qIL9ggml_type22ELi1ELb1ELb0EEvPKvS2_PKi31ggml_cuda_mm_fusion_args_devicePfj15HIP_vector_typeIjLj3EEjjjS8_jjjS8_jjjj.uses_vcc, 1
	.set _ZL13mul_mat_vec_qIL9ggml_type22ELi1ELb1ELb0EEvPKvS2_PKi31ggml_cuda_mm_fusion_args_devicePfj15HIP_vector_typeIjLj3EEjjjS8_jjjS8_jjjj.uses_flat_scratch, 0
	.set _ZL13mul_mat_vec_qIL9ggml_type22ELi1ELb1ELb0EEvPKvS2_PKi31ggml_cuda_mm_fusion_args_devicePfj15HIP_vector_typeIjLj3EEjjjS8_jjjS8_jjjj.has_dyn_sized_stack, 0
	.set _ZL13mul_mat_vec_qIL9ggml_type22ELi1ELb1ELb0EEvPKvS2_PKi31ggml_cuda_mm_fusion_args_devicePfj15HIP_vector_typeIjLj3EEjjjS8_jjjS8_jjjj.has_recursion, 0
	.set _ZL13mul_mat_vec_qIL9ggml_type22ELi1ELb1ELb0EEvPKvS2_PKi31ggml_cuda_mm_fusion_args_devicePfj15HIP_vector_typeIjLj3EEjjjS8_jjjS8_jjjj.has_indirect_call, 0
	.section	.AMDGPU.csdata,"",@progbits
; Kernel info:
; codeLenInByte = 6480
; TotalNumSgprs: 42
; NumVgprs: 55
; ScratchSize: 0
; MemoryBound: 0
; FloatMode: 240
; IeeeMode: 1
; LDSByteSize: 0 bytes/workgroup (compile time only)
; SGPRBlocks: 0
; VGPRBlocks: 6
; NumSGPRsForWavesPerEU: 42
; NumVGPRsForWavesPerEU: 55
; Occupancy: 16
; WaveLimiterHint : 0
; COMPUTE_PGM_RSRC2:SCRATCH_EN: 0
; COMPUTE_PGM_RSRC2:USER_SGPR: 6
; COMPUTE_PGM_RSRC2:TRAP_HANDLER: 0
; COMPUTE_PGM_RSRC2:TGID_X_EN: 1
; COMPUTE_PGM_RSRC2:TGID_Y_EN: 1
; COMPUTE_PGM_RSRC2:TGID_Z_EN: 1
; COMPUTE_PGM_RSRC2:TIDIG_COMP_CNT: 1
	.section	.text._ZL13mul_mat_vec_qIL9ggml_type22ELi1ELb0ELb0EEvPKvS2_PKi31ggml_cuda_mm_fusion_args_devicePfj15HIP_vector_typeIjLj3EEjjjS8_jjjS8_jjjj,"axG",@progbits,_ZL13mul_mat_vec_qIL9ggml_type22ELi1ELb0ELb0EEvPKvS2_PKi31ggml_cuda_mm_fusion_args_devicePfj15HIP_vector_typeIjLj3EEjjjS8_jjjS8_jjjj,comdat
	.globl	_ZL13mul_mat_vec_qIL9ggml_type22ELi1ELb0ELb0EEvPKvS2_PKi31ggml_cuda_mm_fusion_args_devicePfj15HIP_vector_typeIjLj3EEjjjS8_jjjS8_jjjj ; -- Begin function _ZL13mul_mat_vec_qIL9ggml_type22ELi1ELb0ELb0EEvPKvS2_PKi31ggml_cuda_mm_fusion_args_devicePfj15HIP_vector_typeIjLj3EEjjjS8_jjjS8_jjjj
	.p2align	8
	.type	_ZL13mul_mat_vec_qIL9ggml_type22ELi1ELb0ELb0EEvPKvS2_PKi31ggml_cuda_mm_fusion_args_devicePfj15HIP_vector_typeIjLj3EEjjjS8_jjjS8_jjjj,@function
_ZL13mul_mat_vec_qIL9ggml_type22ELi1ELb0ELb0EEvPKvS2_PKi31ggml_cuda_mm_fusion_args_devicePfj15HIP_vector_typeIjLj3EEjjjS8_jjjS8_jjjj: ; @_ZL13mul_mat_vec_qIL9ggml_type22ELi1ELb0ELb0EEvPKvS2_PKi31ggml_cuda_mm_fusion_args_devicePfj15HIP_vector_typeIjLj3EEjjjS8_jjjS8_jjjj
; %bb.0:
	s_clause 0x1
	s_load_dwordx2 s[0:1], s[4:5], 0x10
	s_load_dwordx4 s[16:19], s[4:5], 0x40
	s_mov_b32 s10, s7
	s_waitcnt lgkmcnt(0)
	s_cmp_lg_u64 s[0:1], 0
	s_cselect_b32 s7, -1, 0
	s_cmp_eq_u64 s[0:1], 0
	s_cbranch_scc1 .LBB184_5
; %bb.1:
	s_mov_b32 s11, 0
	s_lshl_b64 s[2:3], s[10:11], 2
	s_add_u32 s0, s0, s2
	s_addc_u32 s1, s1, s3
	s_load_dword s20, s[0:1], 0x0
	s_clause 0x1
	s_load_dwordx4 s[0:3], s[4:5], 0x68
	s_load_dword s21, s[4:5], 0x50
	s_cbranch_execnz .LBB184_3
.LBB184_2:
	s_load_dwordx2 s[12:13], s[4:5], 0x5c
	s_waitcnt lgkmcnt(0)
	s_mul_hi_u32 s9, s12, s10
	s_add_i32 s9, s10, s9
	s_lshr_b32 s20, s9, s13
.LBB184_3:
	s_load_dword s11, s[4:5], 0x78
	s_andn2_b32 vcc_lo, exec_lo, s7
	s_cbranch_vccnz .LBB184_6
; %bb.4:
	s_mul_hi_u32 s7, s17, s10
	s_add_i32 s7, s10, s7
	s_lshr_b32 s7, s7, s18
	s_mul_i32 s7, s7, s19
	s_sub_i32 s17, s10, s7
	s_branch .LBB184_7
.LBB184_5:
                                        ; implicit-def: $sgpr20
	s_clause 0x1
	s_load_dwordx4 s[0:3], s[4:5], 0x68
	s_load_dword s21, s[4:5], 0x50
	s_branch .LBB184_2
.LBB184_6:
	s_mov_b32 s17, s10
.LBB184_7:
	s_load_dwordx4 s[12:15], s[4:5], 0x80
	v_lshl_or_b32 v2, v1, 5, v0
	v_mov_b32_e32 v13, 0
	s_lshr_b32 s9, s16, 8
	s_mov_b32 s7, exec_lo
	v_lshrrev_b32_e32 v12, 3, v2
	v_cmpx_gt_u32_e64 s9, v12
	s_cbranch_execz .LBB184_11
; %bb.8:
	v_lshrrev_b32_e32 v2, 3, v2
	s_waitcnt lgkmcnt(0)
	s_mul_i32 s1, s17, s1
	v_and_b32_e32 v14, 7, v0
	s_mul_hi_u32 s17, s1, 36
	s_mul_i32 s16, s1, 36
	s_mul_i32 s1, s13, s8
	v_mad_u64_u32 v[2:3], null, 0x120, v2, s[16:17]
	s_load_dwordx4 s[16:19], s[4:5], 0x0
	v_lshlrev_b32_e32 v4, 1, v14
	s_mul_i32 s21, s21, s6
	v_mov_b32_e32 v15, 0
	v_mov_b32_e32 v13, 0
	s_mul_i32 s0, s20, s0
	v_mad_u64_u32 v[2:3], null, s1, 36, v[2:3]
	s_mul_hi_u32 s1, s3, s8
	v_lshlrev_b32_e32 v16, 1, v4
	s_add_i32 s1, s8, s1
	s_mov_b32 s3, 0
	s_lshr_b32 s1, s1, s11
	v_mad_u64_u32 v[2:3], null, v14, 36, v[2:3]
	s_mul_i32 s1, s1, s12
	s_add_i32 s1, s1, s21
	s_add_i32 s11, s0, s1
	s_waitcnt lgkmcnt(0)
	v_add_co_u32 v2, vcc_lo, s18, v2
	v_add_co_ci_u32_e64 v3, null, s19, v3, vcc_lo
	v_add_co_u32 v10, vcc_lo, v2, 32
	v_add_co_ci_u32_e64 v11, null, 0, v3, vcc_lo
.LBB184_9:                              ; =>This Inner Loop Header: Depth=1
	v_add_nc_u32_e32 v17, s11, v12
	s_clause 0x1
	global_load_dwordx4 v[2:5], v[10:11], off offset:-32
	global_load_dwordx4 v[6:9], v[10:11], off offset:-16
	s_getpc_b64 s[0:1]
	s_add_u32 s0, s0, _ZL9iq2s_grid@rel32@lo+4
	s_addc_u32 s1, s1, _ZL9iq2s_grid@rel32@hi+12
	v_add_nc_u32_e32 v12, 4, v12
	v_mad_i64_i32 v[18:19], null, 0x52, v17, s[16:17]
	v_add_co_u32 v20, vcc_lo, v18, v16
	v_add_co_ci_u32_e64 v21, null, 0, v19, vcc_lo
	v_add_co_u32 v22, vcc_lo, v18, v14
	v_add_co_ci_u32_e64 v23, null, 0, v19, vcc_lo
	s_clause 0x4
	global_load_dword v24, v[20:21], off offset:2
	global_load_ubyte v17, v[22:23], off offset:74
	global_load_dword v20, v[20:21], off offset:34
	global_load_ubyte v21, v[22:23], off offset:66
	global_load_ushort v26, v[18:19], off
	s_waitcnt vmcnt(6)
	v_cvt_f32_f16_e32 v2, v2
	s_waitcnt vmcnt(4)
	v_and_b32_e32 v22, 0xff, v24
	v_bfe_u32 v31, v24, 8, 8
	s_waitcnt vmcnt(2)
	v_lshrrev_b32_e32 v48, 31, v20
	s_waitcnt vmcnt(1)
	v_lshlrev_b32_e32 v23, 8, v21
	v_and_b32_e32 v25, 0xff, v20
	v_lshlrev_b32_e32 v27, 21, v20
	v_lshlrev_b32_e32 v29, 17, v20
	;; [unrolled: 1-line block ×3, first 2 shown]
	v_lshrrev_b32_e32 v18, 24, v24
	v_bfe_u32 v24, v24, 16, 8
	v_lshlrev_b32_e32 v39, 4, v21
	v_lshlrev_b32_e32 v21, 2, v21
	v_lshrrev_b32_e32 v19, 16, v20
	v_lshrrev_b32_e32 v28, 2, v20
	;; [unrolled: 1-line block ×18, first 2 shown]
	v_and_or_b32 v22, 0x300, v23, v22
	v_cmp_ne_u16_e32 vcc_lo, 0, v48
	v_lshl_or_b32 v23, v25, 7, v27
	v_lshl_or_b32 v25, v25, 3, v29
	v_and_or_b32 v29, 0x300, v32, v31
	v_and_or_b32 v24, 0x300, v39, v24
	;; [unrolled: 1-line block ×3, first 2 shown]
	v_bfe_i32 v27, v28, 0, 1
	v_bfe_i32 v28, v30, 0, 1
	v_and_b32_e32 v30, 0x180, v33
	v_and_b32_e32 v33, 0x180, v36
	v_lshl_or_b32 v36, v19, 21, v40
	v_lshl_or_b32 v19, v19, 17, v42
	;; [unrolled: 1-line block ×3, first 2 shown]
	v_bfe_i32 v42, v20, 0, 1
	v_cndmask_b32_e64 v20, 0, -1, vcc_lo
	v_lshlrev_b32_e32 v22, 3, v22
	v_bfe_i32 v32, v35, 0, 1
	v_bfe_i32 v35, v38, 0, 1
	;; [unrolled: 1-line block ×3, first 2 shown]
	v_and_b32_e32 v43, 0x1800180, v23
	v_bfe_u32 v44, v23, 24, 1
	v_lshlrev_b32_e32 v23, 3, v29
	v_lshlrev_b32_e32 v24, 3, v24
	v_bfe_i32 v39, v46, 0, 1
	v_and_b32_e32 v45, 0x1800180, v25
	v_bfe_u32 v46, v25, 24, 1
	v_lshlrev_b32_e32 v25, 3, v18
	v_and_b32_e32 v49, 0x1800180, v19
	v_bfe_u32 v50, v19, 24, 1
	v_and_b32_e32 v51, 0x1800180, v21
	v_bfe_u32 v52, v21, 24, 1
	v_lshlrev_b16 v53, 8, v20
	s_clause 0x3
	global_load_dwordx2 v[18:19], v22, s[0:1]
	global_load_dwordx2 v[20:21], v23, s[0:1]
	;; [unrolled: 1-line block ×4, first 2 shown]
	v_cmp_ne_u16_e32 vcc_lo, 0, v44
	v_and_b32_e32 v48, 0x1800180, v36
	v_bfe_u32 v36, v36, 24, 1
	v_cmp_ne_u16_sdwa s0, v43, v15 src0_sel:BYTE_1 src1_sel:DWORD
	v_lshrrev_b16 v54, 7, v43
	v_cndmask_b32_e64 v44, 0, -1, vcc_lo
	v_cmp_ne_u16_e32 vcc_lo, 0, v46
	v_lshrrev_b16 v55, 7, v45
	v_cndmask_b32_e64 v43, 0, -1, s0
	v_cmp_ne_u16_sdwa s0, v45, v15 src0_sel:BYTE_1 src1_sel:DWORD
	v_lshlrev_b16 v44, 8, v44
	v_cndmask_b32_e64 v46, 0, -1, vcc_lo
	v_cmp_ne_u16_e32 vcc_lo, 0, v36
	v_lshlrev_b16 v43, 8, v43
	v_cndmask_b32_e64 v45, 0, -1, s0
	v_cmp_ne_u16_sdwa s12, v30, v15 src0_sel:BYTE_1 src1_sel:DWORD
	v_lshlrev_b16 v46, 8, v46
	v_cndmask_b32_e64 v36, 0, -1, vcc_lo
	v_cmp_ne_u16_e32 vcc_lo, 0, v50
	v_lshlrev_b16 v45, 8, v45
	v_or_b32_sdwa v60, v27, v44 dst_sel:WORD_1 dst_unused:UNUSED_PAD src0_sel:BYTE_0 src1_sel:DWORD
	v_bfe_i32 v31, v34, 0, 1
	v_lshrrev_b16 v29, 7, v30
	v_cndmask_b32_e64 v50, 0, -1, vcc_lo
	v_cmp_ne_u16_e32 vcc_lo, 0, v52
	v_bfe_i32 v52, v54, 0, 1
	v_bfe_i32 v54, v55, 0, 1
	v_cndmask_b32_e64 v30, 0, -1, s12
	v_cmp_ne_u16_sdwa s12, v33, v15 src0_sel:BYTE_1 src1_sel:DWORD
	v_bfe_i32 v34, v37, 0, 1
	v_or_b32_sdwa v55, v52, v43 dst_sel:DWORD dst_unused:UNUSED_PAD src0_sel:BYTE_0 src1_sel:DWORD
	v_or_b32_sdwa v61, v54, v45 dst_sel:DWORD dst_unused:UNUSED_PAD src0_sel:BYTE_0 src1_sel:DWORD
	v_bfe_i32 v37, v41, 0, 1
	v_lshrrev_b16 v40, 8, v47
	v_lshrrev_b16 v41, 7, v47
	v_or_b32_sdwa v55, v55, v60 dst_sel:DWORD dst_unused:UNUSED_PAD src0_sel:WORD_0 src1_sel:DWORD
	v_or_b32_sdwa v60, v28, v46 dst_sel:WORD_1 dst_unused:UNUSED_PAD src0_sel:BYTE_0 src1_sel:DWORD
	v_lshlrev_b16 v31, 8, v31
	v_lshrrev_b16 v47, 7, v33
	v_cndmask_b32_e64 v33, 0, -1, s12
	v_bfe_i32 v29, v29, 0, 1
	v_lshlrev_b16 v30, 8, v30
	v_cmp_ne_u16_sdwa s0, v48, v15 src0_sel:BYTE_1 src1_sel:DWORD
	v_or_b32_sdwa v60, v61, v60 dst_sel:DWORD dst_unused:UNUSED_PAD src0_sel:WORD_0 src1_sel:DWORD
	v_lshlrev_b16 v34, 8, v34
	v_or_b32_sdwa v56, v32, v31 dst_sel:WORD_1 dst_unused:UNUSED_PAD src0_sel:BYTE_0 src1_sel:DWORD
	v_bfe_i32 v47, v47, 0, 1
	v_lshlrev_b16 v33, 8, v33
	v_lshrrev_b16 v58, 7, v48
	v_cndmask_b32_e64 v48, 0, -1, s0
	v_cmp_ne_u16_sdwa s0, v49, v15 src0_sel:BYTE_1 src1_sel:DWORD
	v_or_b32_sdwa v57, v35, v34 dst_sel:WORD_1 dst_unused:UNUSED_PAD src0_sel:BYTE_0 src1_sel:DWORD
	v_lshrrev_b16 v59, 7, v49
	v_bfe_i32 v58, v58, 0, 1
	v_lshlrev_b16 v48, 8, v48
	v_cndmask_b32_e64 v49, 0, -1, s0
	v_lshlrev_b16 v36, 8, v36
	v_bfe_i32 v40, v40, 0, 1
	v_cmp_ne_u16_sdwa s0, v51, v15 src0_sel:BYTE_1 src1_sel:DWORD
	v_bfe_i32 v59, v59, 0, 1
	v_lshlrev_b16 v49, 8, v49
	v_lshlrev_b16 v50, 8, v50
	v_bfe_i32 v41, v41, 0, 1
	v_lshrrev_b16 v51, 7, v51
	v_cndmask_b32_e64 v61, 0, -1, s0
	v_lshlrev_b16 v40, 8, v40
	v_lshlrev_b16 v52, 8, v52
	;; [unrolled: 1-line block ×3, first 2 shown]
	v_bfe_i32 v51, v51, 0, 1
	v_lshlrev_b16 v61, 8, v61
	v_lshlrev_b16 v27, 8, v27
	;; [unrolled: 1-line block ×5, first 2 shown]
	v_cmp_le_u32_e64 s0, s9, v12
	s_or_b32 s3, s0, s3
	s_waitcnt vmcnt(3)
	v_xor_b32_e32 v19, v19, v60
	v_or_b32_sdwa v60, v29, v30 dst_sel:DWORD dst_unused:UNUSED_PAD src0_sel:BYTE_0 src1_sel:DWORD
	v_xor_b32_e32 v18, v18, v55
	v_cndmask_b32_e64 v55, 0, -1, vcc_lo
	v_lshlrev_b16 v29, 8, v29
	v_or_b32_sdwa v56, v60, v56 dst_sel:DWORD dst_unused:UNUSED_PAD src0_sel:WORD_0 src1_sel:DWORD
	v_or_b32_sdwa v60, v47, v33 dst_sel:DWORD dst_unused:UNUSED_PAD src0_sel:BYTE_0 src1_sel:DWORD
	v_lshlrev_b16 v55, 8, v55
	v_lshlrev_b16 v47, 8, v47
	s_waitcnt vmcnt(2)
	v_xor_b32_e32 v20, v20, v56
	v_or_b32_sdwa v57, v60, v57 dst_sel:DWORD dst_unused:UNUSED_PAD src0_sel:WORD_0 src1_sel:DWORD
	v_or_b32_sdwa v60, v58, v48 dst_sel:DWORD dst_unused:UNUSED_PAD src0_sel:BYTE_0 src1_sel:DWORD
	v_or_b32_sdwa v56, v37, v36 dst_sel:WORD_1 dst_unused:UNUSED_PAD src0_sel:BYTE_0 src1_sel:DWORD
	v_lshlrev_b16 v37, 8, v37
	v_xor_b32_e32 v21, v21, v57
	v_or_b32_sdwa v57, v59, v49 dst_sel:DWORD dst_unused:UNUSED_PAD src0_sel:BYTE_0 src1_sel:DWORD
	v_or_b32_sdwa v56, v60, v56 dst_sel:DWORD dst_unused:UNUSED_PAD src0_sel:WORD_0 src1_sel:DWORD
	v_or_b32_sdwa v60, v38, v50 dst_sel:WORD_1 dst_unused:UNUSED_PAD src0_sel:BYTE_0 src1_sel:DWORD
	v_lshlrev_b16 v38, 8, v38
	s_waitcnt vmcnt(1)
	v_xor_b32_e32 v22, v22, v56
	v_or_b32_sdwa v57, v57, v60 dst_sel:DWORD dst_unused:UNUSED_PAD src0_sel:WORD_0 src1_sel:DWORD
	v_or_b32_sdwa v60, v42, v53 dst_sel:WORD_1 dst_unused:UNUSED_PAD src0_sel:BYTE_0 src1_sel:DWORD
	v_or_b32_sdwa v56, v41, v40 dst_sel:DWORD dst_unused:UNUSED_PAD src0_sel:BYTE_0 src1_sel:DWORD
	v_lshlrev_b16 v41, 8, v41
	v_lshlrev_b16 v42, 8, v42
	v_xor_b32_e32 v23, v23, v57
	v_or_b32_sdwa v57, v51, v61 dst_sel:DWORD dst_unused:UNUSED_PAD src0_sel:BYTE_0 src1_sel:DWORD
	v_or_b32_sdwa v56, v56, v60 dst_sel:DWORD dst_unused:UNUSED_PAD src0_sel:WORD_0 src1_sel:DWORD
	v_or_b32_sdwa v60, v39, v55 dst_sel:WORD_1 dst_unused:UNUSED_PAD src0_sel:BYTE_0 src1_sel:DWORD
	v_lshlrev_b16 v51, 8, v51
	v_lshlrev_b16 v39, 8, v39
	s_waitcnt vmcnt(0)
	v_xor_b32_e32 v25, v25, v56
	v_or_b32_sdwa v57, v57, v60 dst_sel:DWORD dst_unused:UNUSED_PAD src0_sel:WORD_0 src1_sel:DWORD
	global_load_dword v60, v[10:11], off
	v_mov_b32_e32 v56, 0
	v_add_co_u32 v10, vcc_lo, 0x480, v10
	v_xor_b32_e32 v24, v24, v57
	v_lshlrev_b16 v57, 8, v58
	v_lshlrev_b16 v58, 8, v59
	v_and_b32_e32 v59, 0xffffff00, v18
	v_add_co_ci_u32_e64 v11, null, 0, v11, vcc_lo
	v_sub_nc_i16 v43, v59, v43 clamp
	v_lshlrev_b16 v59, 8, v18
	v_lshrrev_b32_e32 v18, 16, v18
	v_sub_nc_i16 v52, v59, v52 clamp
	v_and_b32_e32 v59, 0xffffff00, v19
	v_perm_b32 v43, v52, v43, 0xc0c0105
	v_sub_nc_i16 v45, v59, v45 clamp
	v_lshlrev_b16 v59, 8, v19
	v_lshrrev_b32_e32 v19, 16, v19
	v_and_b32_e32 v52, 0xffffff00, v18
	v_lshlrev_b16 v18, 8, v18
	v_sub_nc_i16 v54, v59, v54 clamp
	v_and_b32_e32 v59, 0xffffff00, v20
	v_sub_nc_i16 v44, v52, v44 clamp
	v_and_b32_e32 v52, 0xffffff00, v19
	v_lshlrev_b16 v19, 8, v19
	v_perm_b32 v45, v54, v45, 0xc0c0105
	v_sub_nc_i16 v30, v59, v30 clamp
	v_lshlrev_b16 v59, 8, v20
	v_lshrrev_b32_e32 v20, 16, v20
	v_sub_nc_i16 v46, v52, v46 clamp
	v_sub_nc_i16 v18, v18, v27 clamp
	;; [unrolled: 1-line block ×4, first 2 shown]
	v_and_b32_e32 v59, 0xffffff00, v21
	v_and_b32_e32 v27, 0xffffff00, v20
	v_lshlrev_b16 v20, 8, v20
	v_perm_b32 v18, v18, v44, 0xc0c0105
	v_perm_b32 v29, v29, v30, 0xc0c0105
	v_sub_nc_i16 v33, v59, v33 clamp
	v_lshlrev_b16 v59, 8, v21
	v_lshrrev_b32_e32 v21, 16, v21
	v_sub_nc_i16 v20, v20, v32 clamp
	v_sub_nc_i16 v27, v27, v31 clamp
	v_perm_b32 v19, v19, v46, 0xc0c0105
	v_sub_nc_i16 v47, v59, v47 clamp
	v_and_b32_e32 v59, 0xffffff00, v22
	v_and_b32_e32 v54, 0xffffff00, v21
	v_lshlrev_b16 v21, 8, v21
	v_lshl_or_b32 v18, v18, 16, v43
	v_perm_b32 v32, v47, v33, 0xc0c0105
	v_sub_nc_i16 v48, v59, v48 clamp
	v_lshlrev_b16 v59, 8, v22
	v_lshrrev_b32_e32 v22, 16, v22
	v_sub_nc_i16 v21, v21, v35 clamp
	v_sub_nc_i16 v33, v54, v34 clamp
	v_perm_b32 v20, v20, v27, 0xc0c0105
	v_sub_nc_i16 v57, v59, v57 clamp
	v_and_b32_e32 v59, 0xffffff00, v23
	v_and_b32_e32 v52, 0xffffff00, v22
	v_lshlrev_b16 v22, 8, v22
	v_lshl_or_b32 v19, v19, 16, v45
	v_perm_b32 v34, v57, v48, 0xc0c0105
	v_sub_nc_i16 v49, v59, v49 clamp
	v_lshlrev_b16 v59, 8, v23
	v_lshrrev_b32_e32 v23, 16, v23
	v_sub_nc_i16 v35, v52, v36 clamp
	v_sub_nc_i16 v22, v22, v37 clamp
	v_dot4c_i32_i8 v56, v18, v3
	v_sub_nc_i16 v58, v59, v58 clamp
	v_and_b32_e32 v59, 0xffffff00, v24
	v_and_b32_e32 v28, 0xffffff00, v23
	v_lshlrev_b16 v23, 8, v23
	v_perm_b32 v22, v22, v35, 0xc0c0105
	v_perm_b32 v36, v58, v49, 0xc0c0105
	v_sub_nc_i16 v59, v59, v61 clamp
	v_lshlrev_b16 v61, 8, v24
	v_lshrrev_b32_e32 v24, 16, v24
	v_sub_nc_i16 v28, v28, v50 clamp
	v_sub_nc_i16 v23, v23, v38 clamp
	v_lshl_or_b32 v22, v22, 16, v34
	v_sub_nc_i16 v51, v61, v51 clamp
	v_and_b32_e32 v61, 0xffffff00, v25
	v_and_b32_e32 v30, 0xffffff00, v24
	v_lshlrev_b16 v24, 8, v24
	v_perm_b32 v23, v23, v28, 0xc0c0105
	v_perm_b32 v37, v51, v59, 0xc0c0105
	v_sub_nc_i16 v40, v61, v40 clamp
	v_lshlrev_b16 v61, 8, v25
	v_lshrrev_b32_e32 v25, 16, v25
	v_sub_nc_i16 v30, v30, v55 clamp
	v_sub_nc_i16 v24, v24, v39 clamp
	v_lshl_or_b32 v23, v23, 16, v36
	v_sub_nc_i16 v41, v61, v41 clamp
	v_mov_b32_e32 v61, 0
	v_and_b32_e32 v31, 0xffffff00, v25
	v_lshlrev_b16 v25, 8, v25
	v_perm_b32 v24, v24, v30, 0xc0c0105
	v_perm_b32 v38, v41, v40, 0xc0c0105
	v_dot4c_i32_i8 v61, v22, v7
	v_sub_nc_i16 v31, v31, v53 clamp
	v_sub_nc_i16 v25, v25, v42 clamp
	v_perm_b32 v21, v21, v33, 0xc0c0105
	v_lshl_or_b32 v3, v20, 16, v29
	v_lshl_or_b32 v7, v24, 16, v37
	v_dot4c_i32_i8 v56, v19, v4
	v_perm_b32 v25, v25, v31, 0xc0c0105
	v_dot4c_i32_i8 v61, v23, v8
	v_lshl_or_b32 v4, v21, 16, v32
	v_dot4c_i32_i8 v56, v3, v5
	v_lshl_or_b32 v8, v25, 16, v38
	v_dot4c_i32_i8 v61, v7, v9
	v_dot4c_i32_i8 v56, v4, v6
	v_and_b32_e32 v4, 15, v17
	v_lshrrev_b32_e32 v6, 4, v17
	v_mul_lo_u32 v4, v56, v4
	s_waitcnt vmcnt(0)
	v_dot4c_i32_i8 v61, v8, v60
	v_add_nc_u32_e32 v3, v61, v56
	v_lshrrev_b32_e32 v5, 31, v3
	v_add_nc_u32_e32 v3, v3, v5
	v_mul_lo_u32 v5, v61, v6
	v_ashrrev_i32_e32 v3, 1, v3
	v_add3_u32 v3, v5, v4, v3
	v_ashrrev_i32_e32 v4, 31, v3
	v_lshrrev_b32_e32 v4, 30, v4
	v_add_nc_u32_e32 v3, v3, v4
	v_cvt_f32_f16_e32 v4, v26
	v_ashrrev_i32_e32 v3, 2, v3
	v_mul_f32_e32 v2, v4, v2
	v_cvt_f32_i32_e32 v3, v3
	v_fmac_f32_e32 v13, v2, v3
	s_andn2_b32 exec_lo, exec_lo, s3
	s_cbranch_execnz .LBB184_9
; %bb.10:
	s_or_b32 exec_lo, exec_lo, s3
.LBB184_11:
	s_or_b32 exec_lo, exec_lo, s7
	s_waitcnt lgkmcnt(0)
	; wave barrier
	buffer_gl0_inv
	s_mov_b32 s0, exec_lo
	v_cmpx_eq_u32_e32 0, v1
	s_cbranch_execz .LBB184_14
; %bb.12:
	v_mbcnt_lo_u32_b32 v1, -1, 0
	v_xor_b32_e32 v2, 16, v1
	v_xor_b32_e32 v3, 8, v1
	;; [unrolled: 1-line block ×3, first 2 shown]
	v_cmp_gt_i32_e32 vcc_lo, 32, v2
	v_cndmask_b32_e32 v2, v1, v2, vcc_lo
	v_cmp_gt_i32_e32 vcc_lo, 32, v3
	v_lshlrev_b32_e32 v2, 2, v2
	v_cndmask_b32_e32 v3, v1, v3, vcc_lo
	v_cmp_gt_i32_e32 vcc_lo, 32, v4
	ds_bpermute_b32 v2, v2, v13
	v_lshlrev_b32_e32 v3, 2, v3
	v_cndmask_b32_e32 v4, v1, v4, vcc_lo
	v_lshlrev_b32_e32 v4, 2, v4
	s_waitcnt lgkmcnt(0)
	v_add_f32_e32 v2, v13, v2
	ds_bpermute_b32 v3, v3, v2
	s_waitcnt lgkmcnt(0)
	v_add_f32_e32 v2, v2, v3
	ds_bpermute_b32 v3, v4, v2
	v_xor_b32_e32 v4, 2, v1
	v_cmp_gt_i32_e32 vcc_lo, 32, v4
	v_cndmask_b32_e32 v4, v1, v4, vcc_lo
	v_lshlrev_b32_e32 v4, 2, v4
	s_waitcnt lgkmcnt(0)
	v_add_f32_e32 v2, v2, v3
	ds_bpermute_b32 v3, v4, v2
	v_xor_b32_e32 v4, 1, v1
	v_cmp_gt_i32_e32 vcc_lo, 32, v4
	v_cndmask_b32_e32 v1, v1, v4, vcc_lo
	v_cmp_eq_u32_e32 vcc_lo, 0, v0
	v_lshlrev_b32_e32 v4, 2, v1
	s_waitcnt lgkmcnt(0)
	v_add_f32_e32 v1, v2, v3
	ds_bpermute_b32 v2, v4, v1
	s_and_b32 exec_lo, exec_lo, vcc_lo
	s_cbranch_execz .LBB184_14
; %bb.13:
	s_load_dwordx2 s[0:1], s[4:5], 0x38
	s_mul_i32 s2, s2, s10
	s_mul_i32 s3, s14, s8
	s_add_i32 s2, s2, s6
	s_waitcnt lgkmcnt(0)
	v_add_f32_e32 v0, v1, v2
	s_add_i32 s2, s2, s3
	s_mov_b32 s3, 0
	v_mov_b32_e32 v1, 0
	s_lshl_b64 s[2:3], s[2:3], 2
	s_add_u32 s0, s0, s2
	s_addc_u32 s1, s1, s3
	global_store_dword v1, v0, s[0:1]
.LBB184_14:
	s_endpgm
	.section	.rodata,"a",@progbits
	.p2align	6, 0x0
	.amdhsa_kernel _ZL13mul_mat_vec_qIL9ggml_type22ELi1ELb0ELb0EEvPKvS2_PKi31ggml_cuda_mm_fusion_args_devicePfj15HIP_vector_typeIjLj3EEjjjS8_jjjS8_jjjj
		.amdhsa_group_segment_fixed_size 0
		.amdhsa_private_segment_fixed_size 0
		.amdhsa_kernarg_size 144
		.amdhsa_user_sgpr_count 6
		.amdhsa_user_sgpr_private_segment_buffer 1
		.amdhsa_user_sgpr_dispatch_ptr 0
		.amdhsa_user_sgpr_queue_ptr 0
		.amdhsa_user_sgpr_kernarg_segment_ptr 1
		.amdhsa_user_sgpr_dispatch_id 0
		.amdhsa_user_sgpr_flat_scratch_init 0
		.amdhsa_user_sgpr_private_segment_size 0
		.amdhsa_wavefront_size32 1
		.amdhsa_uses_dynamic_stack 0
		.amdhsa_system_sgpr_private_segment_wavefront_offset 0
		.amdhsa_system_sgpr_workgroup_id_x 1
		.amdhsa_system_sgpr_workgroup_id_y 1
		.amdhsa_system_sgpr_workgroup_id_z 1
		.amdhsa_system_sgpr_workgroup_info 0
		.amdhsa_system_vgpr_workitem_id 1
		.amdhsa_next_free_vgpr 62
		.amdhsa_next_free_sgpr 22
		.amdhsa_reserve_vcc 1
		.amdhsa_reserve_flat_scratch 0
		.amdhsa_float_round_mode_32 0
		.amdhsa_float_round_mode_16_64 0
		.amdhsa_float_denorm_mode_32 3
		.amdhsa_float_denorm_mode_16_64 3
		.amdhsa_dx10_clamp 1
		.amdhsa_ieee_mode 1
		.amdhsa_fp16_overflow 0
		.amdhsa_workgroup_processor_mode 1
		.amdhsa_memory_ordered 1
		.amdhsa_forward_progress 1
		.amdhsa_shared_vgpr_count 0
		.amdhsa_exception_fp_ieee_invalid_op 0
		.amdhsa_exception_fp_denorm_src 0
		.amdhsa_exception_fp_ieee_div_zero 0
		.amdhsa_exception_fp_ieee_overflow 0
		.amdhsa_exception_fp_ieee_underflow 0
		.amdhsa_exception_fp_ieee_inexact 0
		.amdhsa_exception_int_div_zero 0
	.end_amdhsa_kernel
	.section	.text._ZL13mul_mat_vec_qIL9ggml_type22ELi1ELb0ELb0EEvPKvS2_PKi31ggml_cuda_mm_fusion_args_devicePfj15HIP_vector_typeIjLj3EEjjjS8_jjjS8_jjjj,"axG",@progbits,_ZL13mul_mat_vec_qIL9ggml_type22ELi1ELb0ELb0EEvPKvS2_PKi31ggml_cuda_mm_fusion_args_devicePfj15HIP_vector_typeIjLj3EEjjjS8_jjjS8_jjjj,comdat
.Lfunc_end184:
	.size	_ZL13mul_mat_vec_qIL9ggml_type22ELi1ELb0ELb0EEvPKvS2_PKi31ggml_cuda_mm_fusion_args_devicePfj15HIP_vector_typeIjLj3EEjjjS8_jjjS8_jjjj, .Lfunc_end184-_ZL13mul_mat_vec_qIL9ggml_type22ELi1ELb0ELb0EEvPKvS2_PKi31ggml_cuda_mm_fusion_args_devicePfj15HIP_vector_typeIjLj3EEjjjS8_jjjS8_jjjj
                                        ; -- End function
	.set _ZL13mul_mat_vec_qIL9ggml_type22ELi1ELb0ELb0EEvPKvS2_PKi31ggml_cuda_mm_fusion_args_devicePfj15HIP_vector_typeIjLj3EEjjjS8_jjjS8_jjjj.num_vgpr, 62
	.set _ZL13mul_mat_vec_qIL9ggml_type22ELi1ELb0ELb0EEvPKvS2_PKi31ggml_cuda_mm_fusion_args_devicePfj15HIP_vector_typeIjLj3EEjjjS8_jjjS8_jjjj.num_agpr, 0
	.set _ZL13mul_mat_vec_qIL9ggml_type22ELi1ELb0ELb0EEvPKvS2_PKi31ggml_cuda_mm_fusion_args_devicePfj15HIP_vector_typeIjLj3EEjjjS8_jjjS8_jjjj.numbered_sgpr, 22
	.set _ZL13mul_mat_vec_qIL9ggml_type22ELi1ELb0ELb0EEvPKvS2_PKi31ggml_cuda_mm_fusion_args_devicePfj15HIP_vector_typeIjLj3EEjjjS8_jjjS8_jjjj.num_named_barrier, 0
	.set _ZL13mul_mat_vec_qIL9ggml_type22ELi1ELb0ELb0EEvPKvS2_PKi31ggml_cuda_mm_fusion_args_devicePfj15HIP_vector_typeIjLj3EEjjjS8_jjjS8_jjjj.private_seg_size, 0
	.set _ZL13mul_mat_vec_qIL9ggml_type22ELi1ELb0ELb0EEvPKvS2_PKi31ggml_cuda_mm_fusion_args_devicePfj15HIP_vector_typeIjLj3EEjjjS8_jjjS8_jjjj.uses_vcc, 1
	.set _ZL13mul_mat_vec_qIL9ggml_type22ELi1ELb0ELb0EEvPKvS2_PKi31ggml_cuda_mm_fusion_args_devicePfj15HIP_vector_typeIjLj3EEjjjS8_jjjS8_jjjj.uses_flat_scratch, 0
	.set _ZL13mul_mat_vec_qIL9ggml_type22ELi1ELb0ELb0EEvPKvS2_PKi31ggml_cuda_mm_fusion_args_devicePfj15HIP_vector_typeIjLj3EEjjjS8_jjjS8_jjjj.has_dyn_sized_stack, 0
	.set _ZL13mul_mat_vec_qIL9ggml_type22ELi1ELb0ELb0EEvPKvS2_PKi31ggml_cuda_mm_fusion_args_devicePfj15HIP_vector_typeIjLj3EEjjjS8_jjjS8_jjjj.has_recursion, 0
	.set _ZL13mul_mat_vec_qIL9ggml_type22ELi1ELb0ELb0EEvPKvS2_PKi31ggml_cuda_mm_fusion_args_devicePfj15HIP_vector_typeIjLj3EEjjjS8_jjjS8_jjjj.has_indirect_call, 0
	.section	.AMDGPU.csdata,"",@progbits
; Kernel info:
; codeLenInByte = 3052
; TotalNumSgprs: 24
; NumVgprs: 62
; ScratchSize: 0
; MemoryBound: 0
; FloatMode: 240
; IeeeMode: 1
; LDSByteSize: 0 bytes/workgroup (compile time only)
; SGPRBlocks: 0
; VGPRBlocks: 7
; NumSGPRsForWavesPerEU: 24
; NumVGPRsForWavesPerEU: 62
; Occupancy: 16
; WaveLimiterHint : 0
; COMPUTE_PGM_RSRC2:SCRATCH_EN: 0
; COMPUTE_PGM_RSRC2:USER_SGPR: 6
; COMPUTE_PGM_RSRC2:TRAP_HANDLER: 0
; COMPUTE_PGM_RSRC2:TGID_X_EN: 1
; COMPUTE_PGM_RSRC2:TGID_Y_EN: 1
; COMPUTE_PGM_RSRC2:TGID_Z_EN: 1
; COMPUTE_PGM_RSRC2:TIDIG_COMP_CNT: 1
	.section	.text._ZL13mul_mat_vec_qIL9ggml_type22ELi2ELb0ELb0EEvPKvS2_PKi31ggml_cuda_mm_fusion_args_devicePfj15HIP_vector_typeIjLj3EEjjjS8_jjjS8_jjjj,"axG",@progbits,_ZL13mul_mat_vec_qIL9ggml_type22ELi2ELb0ELb0EEvPKvS2_PKi31ggml_cuda_mm_fusion_args_devicePfj15HIP_vector_typeIjLj3EEjjjS8_jjjS8_jjjj,comdat
	.globl	_ZL13mul_mat_vec_qIL9ggml_type22ELi2ELb0ELb0EEvPKvS2_PKi31ggml_cuda_mm_fusion_args_devicePfj15HIP_vector_typeIjLj3EEjjjS8_jjjS8_jjjj ; -- Begin function _ZL13mul_mat_vec_qIL9ggml_type22ELi2ELb0ELb0EEvPKvS2_PKi31ggml_cuda_mm_fusion_args_devicePfj15HIP_vector_typeIjLj3EEjjjS8_jjjS8_jjjj
	.p2align	8
	.type	_ZL13mul_mat_vec_qIL9ggml_type22ELi2ELb0ELb0EEvPKvS2_PKi31ggml_cuda_mm_fusion_args_devicePfj15HIP_vector_typeIjLj3EEjjjS8_jjjS8_jjjj,@function
_ZL13mul_mat_vec_qIL9ggml_type22ELi2ELb0ELb0EEvPKvS2_PKi31ggml_cuda_mm_fusion_args_devicePfj15HIP_vector_typeIjLj3EEjjjS8_jjjS8_jjjj: ; @_ZL13mul_mat_vec_qIL9ggml_type22ELi2ELb0ELb0EEvPKvS2_PKi31ggml_cuda_mm_fusion_args_devicePfj15HIP_vector_typeIjLj3EEjjjS8_jjjS8_jjjj
; %bb.0:
	s_clause 0x5
	s_load_dword s9, s[4:5], 0x40
	s_load_dwordx4 s[0:3], s[4:5], 0x50
	s_load_dword s11, s[4:5], 0x60
	s_load_dwordx4 s[12:15], s[4:5], 0x68
	;; [unrolled: 2-line block ×3, first 2 shown]
	v_lshl_or_b32 v2, v1, 5, v0
	v_mov_b32_e32 v6, 0
	v_mov_b32_e32 v8, 0
	v_lshrrev_b32_e32 v7, 3, v2
	s_waitcnt lgkmcnt(0)
	s_lshr_b32 s10, s9, 8
	s_mov_b32 s9, exec_lo
	v_cmpx_gt_u32_e64 s10, v7
	s_cbranch_execz .LBB185_4
; %bb.1:
	s_mul_i32 s13, s13, s7
	s_mul_hi_u32 s3, s3, s7
	s_mul_hi_u32 s27, s13, 36
	s_mul_i32 s26, s13, 36
	s_add_i32 s3, s7, s3
	v_mad_u64_u32 v[2:3], null, 0x120, v7, s[26:27]
	s_load_dwordx4 s[20:23], s[4:5], 0x0
	s_lshr_b32 s3, s3, s11
	v_and_b32_e32 v9, 7, v0
	s_mul_i32 s3, s3, s12
	s_mul_i32 s12, s17, s8
	s_mul_hi_u32 s15, s15, s8
	v_mad_u64_u32 v[2:3], null, s12, 36, v[2:3]
	s_add_i32 s13, s8, s15
	v_lshlrev_b32_e32 v6, 1, v9
	s_lshr_b32 s11, s13, s24
	s_mul_hi_u32 s13, s12, 36
	s_mul_i32 s12, s12, 36
	s_mul_i32 s0, s0, s6
	v_mad_u64_u32 v[4:5], null, v9, 36, v[2:3]
	v_mov_b32_e32 v10, 0
	v_lshl_add_u32 v11, v7, 3, s1
	v_lshlrev_b32_e32 v12, 1, v6
	v_mov_b32_e32 v6, 0
	s_waitcnt lgkmcnt(0)
	s_add_u32 s12, s22, s12
	s_addc_u32 s13, s23, s13
	v_add_co_u32 v4, vcc_lo, s22, v4
	s_add_u32 s12, s12, s26
	s_addc_u32 s13, s13, s27
	v_add_co_ci_u32_e64 v5, null, s23, v5, vcc_lo
	v_mad_u64_u32 v[2:3], null, v9, 36, s[12:13]
	v_add_co_u32 v4, vcc_lo, v4, 32
	v_add_co_ci_u32_e64 v5, null, 0, v5, vcc_lo
	v_mov_b32_e32 v8, 0
	s_mul_i32 s11, s11, s16
	s_add_i32 s3, s3, s0
	s_add_i32 s11, s11, s3
	s_mov_b32 s3, 0
.LBB185_2:                              ; =>This Inner Loop Header: Depth=1
	v_add_nc_u32_e32 v17, s11, v7
	global_load_dwordx4 v[13:16], v[4:5], off offset:-32
	s_getpc_b64 s[0:1]
	s_add_u32 s0, s0, _ZL9iq2s_grid@rel32@lo+4
	s_addc_u32 s1, s1, _ZL9iq2s_grid@rel32@hi+12
	v_add_nc_u32_e32 v7, 4, v7
	v_mad_i64_i32 v[17:18], null, 0x52, v17, s[20:21]
	v_add_co_u32 v19, vcc_lo, v17, v12
	v_add_co_ci_u32_e64 v20, null, 0, v18, vcc_lo
	v_add_co_u32 v21, vcc_lo, v17, v9
	v_add_co_ci_u32_e64 v22, null, 0, v18, vcc_lo
	s_clause 0x4
	global_load_dword v23, v[19:20], off offset:2
	global_load_ubyte v29, v[21:22], off offset:74
	global_load_dword v19, v[19:20], off offset:34
	global_load_ubyte v20, v[21:22], off offset:66
	global_load_ushort v30, v[17:18], off
	s_waitcnt vmcnt(5)
	v_cvt_f32_f16_e32 v13, v13
	s_waitcnt vmcnt(4)
	v_and_b32_e32 v21, 0xff, v23
	v_bfe_u32 v31, v23, 8, 8
	s_waitcnt vmcnt(2)
	v_lshrrev_b32_e32 v48, 31, v19
	s_waitcnt vmcnt(1)
	v_lshlrev_b32_e32 v22, 8, v20
	v_and_b32_e32 v24, 0xff, v19
	v_lshlrev_b32_e32 v25, 21, v19
	v_lshrrev_b32_e32 v26, 2, v19
	v_lshlrev_b32_e32 v32, 6, v20
	v_lshrrev_b32_e32 v17, 24, v23
	v_bfe_u32 v23, v23, 16, 8
	v_lshlrev_b32_e32 v39, 4, v20
	v_lshlrev_b32_e32 v27, 17, v19
	;; [unrolled: 1-line block ×3, first 2 shown]
	v_lshrrev_b32_e32 v18, 16, v19
	v_lshrrev_b32_e32 v28, 6, v19
	;; [unrolled: 1-line block ×17, first 2 shown]
	v_and_or_b32 v21, 0x300, v22, v21
	v_cmp_ne_u16_e32 vcc_lo, 0, v48
	v_lshl_or_b32 v22, v24, 7, v25
	v_bfe_i32 v25, v26, 0, 1
	v_and_or_b32 v26, 0x300, v32, v31
	v_and_or_b32 v23, 0x300, v39, v23
	v_lshl_or_b32 v24, v24, 3, v27
	v_and_or_b32 v17, 0x300, v20, v17
	v_bfe_i32 v27, v28, 0, 1
	v_and_b32_e32 v28, 0x180, v33
	v_and_b32_e32 v33, 0x180, v36
	v_lshl_or_b32 v36, v18, 21, v40
	v_lshl_or_b32 v18, v18, 17, v42
	;; [unrolled: 1-line block ×3, first 2 shown]
	v_bfe_i32 v42, v19, 0, 1
	v_cndmask_b32_e64 v19, 0, -1, vcc_lo
	v_lshlrev_b32_e32 v21, 3, v21
	v_bfe_i32 v32, v35, 0, 1
	v_bfe_i32 v35, v38, 0, 1
	;; [unrolled: 1-line block ×3, first 2 shown]
	v_and_b32_e32 v43, 0x1800180, v22
	v_bfe_u32 v44, v22, 24, 1
	v_lshlrev_b32_e32 v22, 3, v26
	v_lshlrev_b32_e32 v23, 3, v23
	v_bfe_i32 v39, v46, 0, 1
	v_and_b32_e32 v45, 0x1800180, v24
	v_bfe_u32 v46, v24, 24, 1
	v_lshlrev_b32_e32 v24, 3, v17
	v_and_b32_e32 v49, 0x1800180, v18
	v_bfe_u32 v50, v18, 24, 1
	v_and_b32_e32 v51, 0x1800180, v20
	v_bfe_u32 v52, v20, 24, 1
	v_lshlrev_b16 v53, 8, v19
	s_clause 0x3
	global_load_dwordx2 v[17:18], v21, s[0:1]
	global_load_dwordx2 v[19:20], v22, s[0:1]
	global_load_dwordx2 v[21:22], v23, s[0:1]
	global_load_dwordx2 v[23:24], v24, s[0:1]
	v_cmp_ne_u16_e32 vcc_lo, 0, v44
	v_and_b32_e32 v48, 0x1800180, v36
	v_bfe_u32 v36, v36, 24, 1
	v_cmp_ne_u16_sdwa s0, v43, v10 src0_sel:BYTE_1 src1_sel:DWORD
	v_lshrrev_b16 v54, 7, v43
	v_cndmask_b32_e64 v44, 0, -1, vcc_lo
	v_cmp_ne_u16_e32 vcc_lo, 0, v46
	v_lshrrev_b16 v55, 7, v45
	v_cndmask_b32_e64 v43, 0, -1, s0
	v_cmp_ne_u16_sdwa s0, v45, v10 src0_sel:BYTE_1 src1_sel:DWORD
	v_lshlrev_b16 v44, 8, v44
	v_cndmask_b32_e64 v46, 0, -1, vcc_lo
	v_cmp_ne_u16_e32 vcc_lo, 0, v36
	v_lshlrev_b16 v43, 8, v43
	v_cndmask_b32_e64 v45, 0, -1, s0
	v_cmp_ne_u16_sdwa s12, v28, v10 src0_sel:BYTE_1 src1_sel:DWORD
	v_lshlrev_b16 v46, 8, v46
	v_cndmask_b32_e64 v36, 0, -1, vcc_lo
	v_cmp_ne_u16_e32 vcc_lo, 0, v50
	v_lshlrev_b16 v45, 8, v45
	v_or_b32_sdwa v60, v25, v44 dst_sel:WORD_1 dst_unused:UNUSED_PAD src0_sel:BYTE_0 src1_sel:DWORD
	v_bfe_i32 v31, v34, 0, 1
	v_lshrrev_b16 v26, 7, v28
	v_cndmask_b32_e64 v50, 0, -1, vcc_lo
	v_cmp_ne_u16_e32 vcc_lo, 0, v52
	v_bfe_i32 v52, v54, 0, 1
	v_bfe_i32 v54, v55, 0, 1
	v_cndmask_b32_e64 v28, 0, -1, s12
	v_cmp_ne_u16_sdwa s12, v33, v10 src0_sel:BYTE_1 src1_sel:DWORD
	v_bfe_i32 v34, v37, 0, 1
	v_or_b32_sdwa v55, v52, v43 dst_sel:DWORD dst_unused:UNUSED_PAD src0_sel:BYTE_0 src1_sel:DWORD
	v_or_b32_sdwa v61, v54, v45 dst_sel:DWORD dst_unused:UNUSED_PAD src0_sel:BYTE_0 src1_sel:DWORD
	v_bfe_i32 v37, v41, 0, 1
	v_lshrrev_b16 v40, 8, v47
	v_lshrrev_b16 v41, 7, v47
	v_or_b32_sdwa v55, v55, v60 dst_sel:DWORD dst_unused:UNUSED_PAD src0_sel:WORD_0 src1_sel:DWORD
	v_or_b32_sdwa v60, v27, v46 dst_sel:WORD_1 dst_unused:UNUSED_PAD src0_sel:BYTE_0 src1_sel:DWORD
	v_lshlrev_b16 v31, 8, v31
	v_lshrrev_b16 v47, 7, v33
	v_cndmask_b32_e64 v33, 0, -1, s12
	v_bfe_i32 v26, v26, 0, 1
	v_lshlrev_b16 v28, 8, v28
	v_cmp_ne_u16_sdwa s0, v48, v10 src0_sel:BYTE_1 src1_sel:DWORD
	v_or_b32_sdwa v60, v61, v60 dst_sel:DWORD dst_unused:UNUSED_PAD src0_sel:WORD_0 src1_sel:DWORD
	v_lshlrev_b16 v34, 8, v34
	v_or_b32_sdwa v56, v32, v31 dst_sel:WORD_1 dst_unused:UNUSED_PAD src0_sel:BYTE_0 src1_sel:DWORD
	v_bfe_i32 v47, v47, 0, 1
	v_lshlrev_b16 v33, 8, v33
	v_lshrrev_b16 v58, 7, v48
	v_cndmask_b32_e64 v48, 0, -1, s0
	v_cmp_ne_u16_sdwa s0, v49, v10 src0_sel:BYTE_1 src1_sel:DWORD
	v_or_b32_sdwa v57, v35, v34 dst_sel:WORD_1 dst_unused:UNUSED_PAD src0_sel:BYTE_0 src1_sel:DWORD
	v_lshrrev_b16 v59, 7, v49
	v_bfe_i32 v58, v58, 0, 1
	v_lshlrev_b16 v48, 8, v48
	v_cndmask_b32_e64 v49, 0, -1, s0
	v_lshlrev_b16 v36, 8, v36
	v_bfe_i32 v59, v59, 0, 1
	v_lshlrev_b16 v50, 8, v50
	v_bfe_i32 v40, v40, 0, 1
	v_lshlrev_b16 v49, 8, v49
	v_cmp_ne_u16_sdwa s0, v51, v10 src0_sel:BYTE_1 src1_sel:DWORD
	v_bfe_i32 v41, v41, 0, 1
	v_lshrrev_b16 v51, 7, v51
	v_lshlrev_b16 v40, 8, v40
	v_lshlrev_b16 v54, 8, v54
	v_cndmask_b32_e64 v61, 0, -1, s0
	v_cmp_le_u32_e64 s0, s10, v7
	s_or_b32 s3, s0, s3
	s_waitcnt vmcnt(3)
	v_xor_b32_e32 v17, v17, v55
	v_xor_b32_e32 v55, v18, v60
	v_or_b32_sdwa v60, v26, v28 dst_sel:DWORD dst_unused:UNUSED_PAD src0_sel:BYTE_0 src1_sel:DWORD
	v_cndmask_b32_e64 v18, 0, -1, vcc_lo
	v_or_b32_sdwa v56, v60, v56 dst_sel:DWORD dst_unused:UNUSED_PAD src0_sel:WORD_0 src1_sel:DWORD
	v_or_b32_sdwa v60, v47, v33 dst_sel:DWORD dst_unused:UNUSED_PAD src0_sel:BYTE_0 src1_sel:DWORD
	s_waitcnt vmcnt(2)
	v_xor_b32_e32 v56, v19, v56
	v_or_b32_sdwa v57, v60, v57 dst_sel:DWORD dst_unused:UNUSED_PAD src0_sel:WORD_0 src1_sel:DWORD
	v_or_b32_sdwa v60, v58, v48 dst_sel:DWORD dst_unused:UNUSED_PAD src0_sel:BYTE_0 src1_sel:DWORD
	v_or_b32_sdwa v19, v37, v36 dst_sel:WORD_1 dst_unused:UNUSED_PAD src0_sel:BYTE_0 src1_sel:DWORD
	v_lshlrev_b16 v58, 8, v58
	v_xor_b32_e32 v57, v20, v57
	v_or_b32_sdwa v20, v59, v49 dst_sel:DWORD dst_unused:UNUSED_PAD src0_sel:BYTE_0 src1_sel:DWORD
	v_or_b32_sdwa v19, v60, v19 dst_sel:DWORD dst_unused:UNUSED_PAD src0_sel:WORD_0 src1_sel:DWORD
	v_or_b32_sdwa v60, v38, v50 dst_sel:WORD_1 dst_unused:UNUSED_PAD src0_sel:BYTE_0 src1_sel:DWORD
	v_lshlrev_b16 v59, 8, v59
	v_lshlrev_b16 v38, 8, v38
	s_waitcnt vmcnt(1)
	v_xor_b32_e32 v62, v21, v19
	v_or_b32_sdwa v20, v20, v60 dst_sel:DWORD dst_unused:UNUSED_PAD src0_sel:WORD_0 src1_sel:DWORD
	v_or_b32_sdwa v60, v42, v53 dst_sel:WORD_1 dst_unused:UNUSED_PAD src0_sel:BYTE_0 src1_sel:DWORD
	v_lshlrev_b16 v19, 8, v41
	v_bfe_i32 v21, v51, 0, 1
	v_lshlrev_b16 v42, 8, v42
	v_xor_b32_e32 v63, v22, v20
	v_lshlrev_b16 v20, 8, v26
	v_lshlrev_b16 v22, 8, v61
	v_or_b32_sdwa v26, v41, v40 dst_sel:DWORD dst_unused:UNUSED_PAD src0_sel:BYTE_0 src1_sel:DWORD
	v_lshlrev_b16 v41, 8, v18
	v_lshlrev_b16 v18, 8, v47
	;; [unrolled: 1-line block ×3, first 2 shown]
	v_or_b32_sdwa v51, v21, v22 dst_sel:DWORD dst_unused:UNUSED_PAD src0_sel:BYTE_0 src1_sel:DWORD
	v_or_b32_sdwa v26, v26, v60 dst_sel:DWORD dst_unused:UNUSED_PAD src0_sel:WORD_0 src1_sel:DWORD
	v_or_b32_sdwa v52, v39, v41 dst_sel:WORD_1 dst_unused:UNUSED_PAD src0_sel:BYTE_0 src1_sel:DWORD
	v_lshlrev_b16 v21, 8, v21
	v_lshlrev_b16 v39, 8, v39
	v_or_b32_sdwa v51, v51, v52 dst_sel:DWORD dst_unused:UNUSED_PAD src0_sel:WORD_0 src1_sel:DWORD
	s_waitcnt vmcnt(0)
	v_xor_b32_e32 v52, v24, v26
	v_lshlrev_b16 v24, 8, v17
	v_lshrrev_b32_e32 v26, 16, v17
	v_xor_b32_e32 v51, v23, v51
	v_and_b32_e32 v23, 0xffffff00, v17
	v_and_b32_e32 v17, 0xffffff00, v55
	v_sub_nc_i16 v24, v24, v47 clamp
	v_and_b32_e32 v47, 0xffffff00, v56
	v_sub_nc_i16 v23, v23, v43 clamp
	v_lshlrev_b16 v43, 8, v55
	v_sub_nc_i16 v45, v17, v45 clamp
	v_lshlrev_b16 v17, 8, v56
	;; [unrolled: 2-line block ×3, first 2 shown]
	v_sub_nc_i16 v43, v43, v54 clamp
	v_and_b32_e32 v54, 0xffffff00, v57
	v_sub_nc_i16 v60, v17, v20 clamp
	v_and_b32_e32 v17, 0xffffff00, v62
	v_lshlrev_b16 v20, 8, v62
	v_sub_nc_i16 v47, v47, v18 clamp
	v_and_b32_e32 v18, 0xffffff00, v63
	v_sub_nc_i16 v33, v54, v33 clamp
	v_sub_nc_i16 v48, v17, v48 clamp
	v_lshlrev_b16 v17, 8, v63
	v_sub_nc_i16 v54, v20, v58 clamp
	v_and_b32_e32 v20, 0xffffff00, v51
	v_sub_nc_i16 v49, v18, v49 clamp
	v_lshlrev_b16 v18, 8, v51
	v_sub_nc_i16 v58, v17, v59 clamp
	v_perm_b32 v65, v24, v23, 0xc0c0105
	v_sub_nc_i16 v59, v20, v22 clamp
	v_lshrrev_b32_e32 v22, 16, v55
	v_sub_nc_i16 v61, v18, v21 clamp
	v_lshlrev_b16 v21, 8, v25
	v_lshlrev_b16 v23, 8, v26
	v_perm_b32 v43, v43, v45, 0xc0c0105
	v_lshrrev_b32_e32 v24, 16, v56
	v_and_b32_e32 v18, 0xffffff00, v26
	v_mad_u64_u32 v[25:26], null, v11, 36, v[2:3]
	v_sub_nc_i16 v55, v23, v21 clamp
	v_and_b32_e32 v21, 0xffffff00, v22
	v_lshlrev_b16 v22, 8, v22
	v_lshlrev_b16 v23, 8, v32
	v_and_b32_e32 v17, 0xffffff00, v52
	v_lshlrev_b16 v20, 8, v52
	v_sub_nc_i16 v45, v21, v46 clamp
	v_lshlrev_b16 v21, 8, v27
	v_lshrrev_b32_e32 v27, 16, v57
	v_perm_b32 v46, v60, v28, 0xc0c0105
	v_lshlrev_b16 v28, 8, v35
	v_sub_nc_i16 v40, v17, v40 clamp
	v_sub_nc_i16 v32, v22, v21 clamp
	v_and_b32_e32 v21, 0xffffff00, v24
	v_lshlrev_b16 v22, 8, v24
	v_and_b32_e32 v24, 0xffffff00, v27
	v_lshlrev_b16 v27, 8, v27
	v_sub_nc_i16 v64, v20, v19 clamp
	v_sub_nc_i16 v44, v18, v44 clamp
	global_load_dwordx4 v[17:20], v[4:5], off offset:-16
	v_sub_nc_i16 v31, v21, v31 clamp
	v_sub_nc_i16 v35, v27, v28 clamp
	v_lshrrev_b32_e32 v28, 16, v62
	v_lshlrev_b16 v27, 8, v37
	v_perm_b32 v37, v54, v48, 0xc0c0105
	v_sub_nc_i16 v56, v22, v23 clamp
	v_perm_b32 v33, v47, v33, 0xc0c0105
	v_and_b32_e32 v48, 0xffffff00, v28
	v_lshlrev_b16 v28, 8, v28
	v_sub_nc_i16 v34, v24, v34 clamp
	s_clause 0x1
	global_load_dwordx4 v[21:24], v[25:26], off
	global_load_dword v47, v[25:26], off offset:32
	v_sub_nc_i16 v36, v48, v36 clamp
	v_sub_nc_i16 v48, v28, v27 clamp
	global_load_dwordx4 v[25:28], v[25:26], off offset:16
	v_lshrrev_b32_e32 v54, 16, v63
	v_lshrrev_b32_e32 v51, 16, v51
	v_perm_b32 v49, v58, v49, 0xc0c0105
	v_perm_b32 v58, v61, v59, 0xc0c0105
	v_lshrrev_b32_e32 v52, 16, v52
	v_and_b32_e32 v57, 0xffffff00, v54
	v_lshlrev_b16 v54, 8, v54
	v_and_b32_e32 v59, 0xffffff00, v51
	v_lshlrev_b16 v51, 8, v51
	v_and_b32_e32 v60, 0xffffff00, v52
	v_sub_nc_i16 v50, v57, v50 clamp
	global_load_dword v57, v[4:5], off
	v_sub_nc_i16 v38, v54, v38 clamp
	v_sub_nc_i16 v41, v59, v41 clamp
	;; [unrolled: 1-line block ×3, first 2 shown]
	v_perm_b32 v44, v55, v44, 0xc0c0105
	v_perm_b32 v34, v35, v34, 0xc0c0105
	v_perm_b32 v35, v48, v36, 0xc0c0105
	v_mov_b32_e32 v54, 0
	v_mov_b32_e32 v59, 0
	;; [unrolled: 1-line block ×3, first 2 shown]
	v_sub_nc_i16 v53, v60, v53 clamp
	v_mov_b32_e32 v60, 0
	v_lshlrev_b16 v52, 8, v52
	v_perm_b32 v32, v32, v45, 0xc0c0105
	v_perm_b32 v36, v38, v50, 0xc0c0105
	;; [unrolled: 1-line block ×3, first 2 shown]
	v_lshl_or_b32 v41, v44, 16, v65
	v_lshl_or_b32 v33, v34, 16, v33
	;; [unrolled: 1-line block ×3, first 2 shown]
	v_sub_nc_i16 v42, v52, v42 clamp
	v_perm_b32 v31, v56, v31, 0xc0c0105
	v_lshl_or_b32 v32, v32, 16, v43
	v_lshl_or_b32 v35, v36, 16, v49
	v_dot4c_i32_i8 v54, v41, v14
	v_perm_b32 v40, v64, v40, 0xc0c0105
	v_perm_b32 v39, v42, v53, 0xc0c0105
	v_lshl_or_b32 v31, v31, 16, v46
	v_lshl_or_b32 v36, v38, 16, v58
	v_dot4c_i32_i8 v54, v32, v15
	v_and_b32_e32 v14, 15, v29
	v_lshl_or_b32 v37, v39, 16, v40
	v_add_co_u32 v4, vcc_lo, 0x480, v4
	v_dot4c_i32_i8 v54, v31, v16
	v_add_nc_u32_e32 v11, 32, v11
	v_add_co_ci_u32_e64 v5, null, 0, v5, vcc_lo
	s_waitcnt vmcnt(4)
	v_dot4c_i32_i8 v59, v34, v18
	v_dot4c_i32_i8 v54, v33, v17
	v_lshrrev_b32_e32 v17, 4, v29
	v_dot4c_i32_i8 v59, v35, v19
	v_mul_lo_u32 v18, v54, v14
	v_dot4c_i32_i8 v59, v36, v20
	s_waitcnt vmcnt(3)
	v_dot4c_i32_i8 v51, v41, v22
	s_waitcnt vmcnt(1)
	v_dot4c_i32_i8 v60, v34, v26
	v_dot4c_i32_i8 v51, v32, v23
	;; [unrolled: 1-line block ×6, first 2 shown]
	s_waitcnt vmcnt(0)
	v_dot4c_i32_i8 v59, v37, v57
	v_dot4c_i32_i8 v60, v37, v47
	v_mul_lo_u32 v14, v51, v14
	v_add_nc_u32_e32 v15, v59, v54
	v_mul_lo_u32 v22, v59, v17
	v_add_nc_u32_e32 v16, v60, v51
	v_mul_lo_u32 v17, v60, v17
	v_lshrrev_b32_e32 v19, 31, v15
	v_lshrrev_b32_e32 v20, 31, v16
	v_add_nc_u32_e32 v15, v15, v19
	v_add_nc_u32_e32 v16, v16, v20
	v_ashrrev_i32_e32 v15, 1, v15
	v_ashrrev_i32_e32 v16, 1, v16
	v_add3_u32 v15, v22, v18, v15
	v_add3_u32 v14, v17, v14, v16
	v_ashrrev_i32_e32 v16, 31, v15
	v_ashrrev_i32_e32 v17, 31, v14
	v_lshrrev_b32_e32 v16, 30, v16
	v_lshrrev_b32_e32 v17, 30, v17
	v_add_nc_u32_e32 v15, v15, v16
	v_cvt_f32_f16_e32 v16, v21
	v_add_nc_u32_e32 v14, v14, v17
	v_cvt_f32_f16_e32 v17, v30
	v_ashrrev_i32_e32 v15, 2, v15
	v_ashrrev_i32_e32 v14, 2, v14
	v_mul_f32_e32 v13, v17, v13
	v_mul_f32_e32 v16, v17, v16
	v_cvt_f32_i32_e32 v15, v15
	v_cvt_f32_i32_e32 v14, v14
	v_fmac_f32_e32 v8, v13, v15
	v_fmac_f32_e32 v6, v16, v14
	s_andn2_b32 exec_lo, exec_lo, s3
	s_cbranch_execnz .LBB185_2
; %bb.3:
	s_or_b32 exec_lo, exec_lo, s3
.LBB185_4:
	s_or_b32 exec_lo, exec_lo, s9
	s_mov_b32 s1, 0
	; wave barrier
	buffer_gl0_inv
	s_mov_b32 s0, exec_lo
	v_cmpx_eq_u32_e32 0, v1
	s_cbranch_execz .LBB185_9
; %bb.5:
	v_mbcnt_lo_u32_b32 v5, -1, 0
	s_load_dwordx2 s[4:5], s[4:5], 0x38
	s_mul_i32 s0, s14, s7
	s_mul_i32 s3, s18, s8
	s_add_i32 s0, s0, s6
	v_xor_b32_e32 v1, 16, v5
	v_xor_b32_e32 v2, 8, v5
	;; [unrolled: 1-line block ×3, first 2 shown]
	s_add_i32 s0, s0, s3
	s_lshl_b64 s[0:1], s[0:1], 2
	v_cmp_gt_i32_e32 vcc_lo, 32, v1
	v_cndmask_b32_e32 v1, v5, v1, vcc_lo
	v_cmp_gt_i32_e32 vcc_lo, 32, v2
	v_lshlrev_b32_e32 v1, 2, v1
	v_cndmask_b32_e32 v2, v5, v2, vcc_lo
	s_waitcnt lgkmcnt(0)
	s_add_u32 s0, s4, s0
	s_addc_u32 s1, s5, s1
	ds_bpermute_b32 v3, v1, v8
	v_lshlrev_b32_e32 v2, 2, v2
	s_waitcnt lgkmcnt(0)
	v_add_f32_e32 v4, v8, v3
	v_xor_b32_e32 v3, 4, v5
	ds_bpermute_b32 v7, v2, v4
	v_cmp_gt_i32_e32 vcc_lo, 32, v3
	v_cndmask_b32_e32 v3, v5, v3, vcc_lo
	v_lshlrev_b32_e32 v3, 2, v3
	s_waitcnt lgkmcnt(0)
	v_add_f32_e32 v7, v4, v7
	v_xor_b32_e32 v4, 2, v5
	ds_bpermute_b32 v8, v3, v7
	v_cmp_gt_i32_e32 vcc_lo, 32, v4
	v_cndmask_b32_e32 v4, v5, v4, vcc_lo
	v_cmp_gt_i32_e32 vcc_lo, 32, v9
	v_lshlrev_b32_e32 v4, 2, v4
	v_cndmask_b32_e32 v5, v5, v9, vcc_lo
	v_cmp_eq_u32_e32 vcc_lo, 0, v0
	v_lshlrev_b32_e32 v5, 2, v5
	s_waitcnt lgkmcnt(0)
	v_add_f32_e32 v7, v7, v8
	ds_bpermute_b32 v8, v4, v7
	s_waitcnt lgkmcnt(0)
	v_add_f32_e32 v7, v7, v8
	ds_bpermute_b32 v8, v5, v7
	s_and_saveexec_b32 s3, vcc_lo
	s_cbranch_execz .LBB185_7
; %bb.6:
	s_waitcnt lgkmcnt(0)
	v_add_f32_e32 v0, v7, v8
	v_mov_b32_e32 v7, 0
	global_store_dword v7, v0, s[0:1]
.LBB185_7:
	s_or_b32 exec_lo, exec_lo, s3
	ds_bpermute_b32 v0, v1, v6
	s_waitcnt lgkmcnt(0)
	v_add_f32_e32 v0, v6, v0
	ds_bpermute_b32 v1, v2, v0
	s_waitcnt lgkmcnt(0)
	v_add_f32_e32 v0, v0, v1
	;; [unrolled: 3-line block ×4, first 2 shown]
	ds_bpermute_b32 v1, v5, v0
	s_and_b32 exec_lo, exec_lo, vcc_lo
	s_cbranch_execz .LBB185_9
; %bb.8:
	s_mov_b32 s3, 0
	s_waitcnt lgkmcnt(0)
	v_add_f32_e32 v0, v0, v1
	s_lshl_b64 s[2:3], s[2:3], 2
	v_mov_b32_e32 v1, 0
	s_add_u32 s0, s0, s2
	s_addc_u32 s1, s1, s3
	global_store_dword v1, v0, s[0:1]
.LBB185_9:
	s_endpgm
	.section	.rodata,"a",@progbits
	.p2align	6, 0x0
	.amdhsa_kernel _ZL13mul_mat_vec_qIL9ggml_type22ELi2ELb0ELb0EEvPKvS2_PKi31ggml_cuda_mm_fusion_args_devicePfj15HIP_vector_typeIjLj3EEjjjS8_jjjS8_jjjj
		.amdhsa_group_segment_fixed_size 0
		.amdhsa_private_segment_fixed_size 0
		.amdhsa_kernarg_size 144
		.amdhsa_user_sgpr_count 6
		.amdhsa_user_sgpr_private_segment_buffer 1
		.amdhsa_user_sgpr_dispatch_ptr 0
		.amdhsa_user_sgpr_queue_ptr 0
		.amdhsa_user_sgpr_kernarg_segment_ptr 1
		.amdhsa_user_sgpr_dispatch_id 0
		.amdhsa_user_sgpr_flat_scratch_init 0
		.amdhsa_user_sgpr_private_segment_size 0
		.amdhsa_wavefront_size32 1
		.amdhsa_uses_dynamic_stack 0
		.amdhsa_system_sgpr_private_segment_wavefront_offset 0
		.amdhsa_system_sgpr_workgroup_id_x 1
		.amdhsa_system_sgpr_workgroup_id_y 1
		.amdhsa_system_sgpr_workgroup_id_z 1
		.amdhsa_system_sgpr_workgroup_info 0
		.amdhsa_system_vgpr_workitem_id 1
		.amdhsa_next_free_vgpr 66
		.amdhsa_next_free_sgpr 28
		.amdhsa_reserve_vcc 1
		.amdhsa_reserve_flat_scratch 0
		.amdhsa_float_round_mode_32 0
		.amdhsa_float_round_mode_16_64 0
		.amdhsa_float_denorm_mode_32 3
		.amdhsa_float_denorm_mode_16_64 3
		.amdhsa_dx10_clamp 1
		.amdhsa_ieee_mode 1
		.amdhsa_fp16_overflow 0
		.amdhsa_workgroup_processor_mode 1
		.amdhsa_memory_ordered 1
		.amdhsa_forward_progress 1
		.amdhsa_shared_vgpr_count 0
		.amdhsa_exception_fp_ieee_invalid_op 0
		.amdhsa_exception_fp_denorm_src 0
		.amdhsa_exception_fp_ieee_div_zero 0
		.amdhsa_exception_fp_ieee_overflow 0
		.amdhsa_exception_fp_ieee_underflow 0
		.amdhsa_exception_fp_ieee_inexact 0
		.amdhsa_exception_int_div_zero 0
	.end_amdhsa_kernel
	.section	.text._ZL13mul_mat_vec_qIL9ggml_type22ELi2ELb0ELb0EEvPKvS2_PKi31ggml_cuda_mm_fusion_args_devicePfj15HIP_vector_typeIjLj3EEjjjS8_jjjS8_jjjj,"axG",@progbits,_ZL13mul_mat_vec_qIL9ggml_type22ELi2ELb0ELb0EEvPKvS2_PKi31ggml_cuda_mm_fusion_args_devicePfj15HIP_vector_typeIjLj3EEjjjS8_jjjS8_jjjj,comdat
.Lfunc_end185:
	.size	_ZL13mul_mat_vec_qIL9ggml_type22ELi2ELb0ELb0EEvPKvS2_PKi31ggml_cuda_mm_fusion_args_devicePfj15HIP_vector_typeIjLj3EEjjjS8_jjjS8_jjjj, .Lfunc_end185-_ZL13mul_mat_vec_qIL9ggml_type22ELi2ELb0ELb0EEvPKvS2_PKi31ggml_cuda_mm_fusion_args_devicePfj15HIP_vector_typeIjLj3EEjjjS8_jjjS8_jjjj
                                        ; -- End function
	.set _ZL13mul_mat_vec_qIL9ggml_type22ELi2ELb0ELb0EEvPKvS2_PKi31ggml_cuda_mm_fusion_args_devicePfj15HIP_vector_typeIjLj3EEjjjS8_jjjS8_jjjj.num_vgpr, 66
	.set _ZL13mul_mat_vec_qIL9ggml_type22ELi2ELb0ELb0EEvPKvS2_PKi31ggml_cuda_mm_fusion_args_devicePfj15HIP_vector_typeIjLj3EEjjjS8_jjjS8_jjjj.num_agpr, 0
	.set _ZL13mul_mat_vec_qIL9ggml_type22ELi2ELb0ELb0EEvPKvS2_PKi31ggml_cuda_mm_fusion_args_devicePfj15HIP_vector_typeIjLj3EEjjjS8_jjjS8_jjjj.numbered_sgpr, 28
	.set _ZL13mul_mat_vec_qIL9ggml_type22ELi2ELb0ELb0EEvPKvS2_PKi31ggml_cuda_mm_fusion_args_devicePfj15HIP_vector_typeIjLj3EEjjjS8_jjjS8_jjjj.num_named_barrier, 0
	.set _ZL13mul_mat_vec_qIL9ggml_type22ELi2ELb0ELb0EEvPKvS2_PKi31ggml_cuda_mm_fusion_args_devicePfj15HIP_vector_typeIjLj3EEjjjS8_jjjS8_jjjj.private_seg_size, 0
	.set _ZL13mul_mat_vec_qIL9ggml_type22ELi2ELb0ELb0EEvPKvS2_PKi31ggml_cuda_mm_fusion_args_devicePfj15HIP_vector_typeIjLj3EEjjjS8_jjjS8_jjjj.uses_vcc, 1
	.set _ZL13mul_mat_vec_qIL9ggml_type22ELi2ELb0ELb0EEvPKvS2_PKi31ggml_cuda_mm_fusion_args_devicePfj15HIP_vector_typeIjLj3EEjjjS8_jjjS8_jjjj.uses_flat_scratch, 0
	.set _ZL13mul_mat_vec_qIL9ggml_type22ELi2ELb0ELb0EEvPKvS2_PKi31ggml_cuda_mm_fusion_args_devicePfj15HIP_vector_typeIjLj3EEjjjS8_jjjS8_jjjj.has_dyn_sized_stack, 0
	.set _ZL13mul_mat_vec_qIL9ggml_type22ELi2ELb0ELb0EEvPKvS2_PKi31ggml_cuda_mm_fusion_args_devicePfj15HIP_vector_typeIjLj3EEjjjS8_jjjS8_jjjj.has_recursion, 0
	.set _ZL13mul_mat_vec_qIL9ggml_type22ELi2ELb0ELb0EEvPKvS2_PKi31ggml_cuda_mm_fusion_args_devicePfj15HIP_vector_typeIjLj3EEjjjS8_jjjS8_jjjj.has_indirect_call, 0
	.section	.AMDGPU.csdata,"",@progbits
; Kernel info:
; codeLenInByte = 3248
; TotalNumSgprs: 30
; NumVgprs: 66
; ScratchSize: 0
; MemoryBound: 0
; FloatMode: 240
; IeeeMode: 1
; LDSByteSize: 0 bytes/workgroup (compile time only)
; SGPRBlocks: 0
; VGPRBlocks: 8
; NumSGPRsForWavesPerEU: 30
; NumVGPRsForWavesPerEU: 66
; Occupancy: 12
; WaveLimiterHint : 0
; COMPUTE_PGM_RSRC2:SCRATCH_EN: 0
; COMPUTE_PGM_RSRC2:USER_SGPR: 6
; COMPUTE_PGM_RSRC2:TRAP_HANDLER: 0
; COMPUTE_PGM_RSRC2:TGID_X_EN: 1
; COMPUTE_PGM_RSRC2:TGID_Y_EN: 1
; COMPUTE_PGM_RSRC2:TGID_Z_EN: 1
; COMPUTE_PGM_RSRC2:TIDIG_COMP_CNT: 1
	.section	.text._ZL13mul_mat_vec_qIL9ggml_type22ELi3ELb0ELb0EEvPKvS2_PKi31ggml_cuda_mm_fusion_args_devicePfj15HIP_vector_typeIjLj3EEjjjS8_jjjS8_jjjj,"axG",@progbits,_ZL13mul_mat_vec_qIL9ggml_type22ELi3ELb0ELb0EEvPKvS2_PKi31ggml_cuda_mm_fusion_args_devicePfj15HIP_vector_typeIjLj3EEjjjS8_jjjS8_jjjj,comdat
	.globl	_ZL13mul_mat_vec_qIL9ggml_type22ELi3ELb0ELb0EEvPKvS2_PKi31ggml_cuda_mm_fusion_args_devicePfj15HIP_vector_typeIjLj3EEjjjS8_jjjS8_jjjj ; -- Begin function _ZL13mul_mat_vec_qIL9ggml_type22ELi3ELb0ELb0EEvPKvS2_PKi31ggml_cuda_mm_fusion_args_devicePfj15HIP_vector_typeIjLj3EEjjjS8_jjjS8_jjjj
	.p2align	8
	.type	_ZL13mul_mat_vec_qIL9ggml_type22ELi3ELb0ELb0EEvPKvS2_PKi31ggml_cuda_mm_fusion_args_devicePfj15HIP_vector_typeIjLj3EEjjjS8_jjjS8_jjjj,@function
_ZL13mul_mat_vec_qIL9ggml_type22ELi3ELb0ELb0EEvPKvS2_PKi31ggml_cuda_mm_fusion_args_devicePfj15HIP_vector_typeIjLj3EEjjjS8_jjjS8_jjjj: ; @_ZL13mul_mat_vec_qIL9ggml_type22ELi3ELb0ELb0EEvPKvS2_PKi31ggml_cuda_mm_fusion_args_devicePfj15HIP_vector_typeIjLj3EEjjjS8_jjjS8_jjjj
; %bb.0:
	s_clause 0x5
	s_load_dword s9, s[4:5], 0x40
	s_load_dwordx4 s[0:3], s[4:5], 0x50
	s_load_dword s11, s[4:5], 0x60
	s_load_dwordx4 s[12:15], s[4:5], 0x68
	;; [unrolled: 2-line block ×3, first 2 shown]
	v_lshl_or_b32 v2, v1, 5, v0
	v_mov_b32_e32 v6, 0
	v_mov_b32_e32 v7, 0
	;; [unrolled: 1-line block ×3, first 2 shown]
	v_lshrrev_b32_e32 v8, 3, v2
	s_waitcnt lgkmcnt(0)
	s_lshr_b32 s10, s9, 8
	s_mov_b32 s9, exec_lo
	v_cmpx_gt_u32_e64 s10, v8
	s_cbranch_execz .LBB186_4
; %bb.1:
	s_mul_i32 s13, s13, s7
	s_load_dwordx4 s[20:23], s[4:5], 0x0
	s_mul_hi_u32 s27, s13, 36
	s_mul_i32 s26, s13, 36
	s_mul_i32 s17, s17, s8
	v_mad_u64_u32 v[2:3], null, 0x120, v8, s[26:27]
	v_and_b32_e32 v10, 7, v0
	s_mul_hi_u32 s3, s3, s7
	s_mul_hi_u32 s15, s15, s8
	s_add_i32 s3, s7, s3
	s_add_i32 s15, s8, s15
	s_mul_i32 s19, s17, 36
	v_mad_u64_u32 v[2:3], null, s17, 36, v[2:3]
	s_lshr_b32 s3, s3, s11
	s_mul_hi_u32 s13, s17, 36
	s_lshr_b32 s11, s15, s24
	s_mul_i32 s3, s3, s12
	v_lshlrev_b32_e32 v6, 3, v8
	v_lshlrev_b32_e32 v7, 1, v10
	v_mad_u64_u32 v[4:5], null, v10, 36, v[2:3]
	s_waitcnt lgkmcnt(0)
	s_add_u32 s12, s22, s19
	s_addc_u32 s13, s23, s13
	s_add_u32 s12, s12, s26
	s_addc_u32 s13, s13, s27
	s_mul_i32 s0, s0, s6
	v_mad_u64_u32 v[2:3], null, v10, 36, s[12:13]
	v_add_co_u32 v4, vcc_lo, s22, v4
	v_add_co_ci_u32_e64 v5, null, s23, v5, vcc_lo
	v_mov_b32_e32 v11, 0
	v_add_co_u32 v4, vcc_lo, v4, 16
	v_add_nc_u32_e32 v12, s1, v6
	v_lshl_add_u32 v13, s1, 1, v6
	v_add_co_ci_u32_e64 v5, null, 0, v5, vcc_lo
	v_lshlrev_b32_e32 v14, 1, v7
	v_mov_b32_e32 v6, 0
	v_mov_b32_e32 v7, 0
	;; [unrolled: 1-line block ×3, first 2 shown]
	s_mul_i32 s11, s11, s16
	s_add_i32 s3, s3, s0
	s_add_i32 s11, s11, s3
	s_mov_b32 s3, 0
.LBB186_2:                              ; =>This Inner Loop Header: Depth=1
	v_add_nc_u32_e32 v15, s11, v8
	s_getpc_b64 s[0:1]
	s_add_u32 s0, s0, _ZL9iq2s_grid@rel32@lo+4
	s_addc_u32 s1, s1, _ZL9iq2s_grid@rel32@hi+12
	v_add_nc_u32_e32 v8, 4, v8
	v_mad_i64_i32 v[16:17], null, 0x52, v15, s[20:21]
	v_add_co_u32 v18, vcc_lo, v16, v14
	v_add_co_ci_u32_e64 v19, null, 0, v17, vcc_lo
	v_add_co_u32 v20, vcc_lo, v16, v10
	v_add_co_ci_u32_e64 v21, null, 0, v17, vcc_lo
	s_clause 0x4
	global_load_dword v22, v[18:19], off offset:2
	global_load_ubyte v15, v[20:21], off offset:74
	global_load_dword v18, v[18:19], off offset:34
	global_load_ubyte v19, v[20:21], off offset:66
	global_load_ushort v40, v[16:17], off
	s_waitcnt vmcnt(4)
	v_and_b32_e32 v20, 0xff, v22
	v_bfe_u32 v28, v22, 8, 8
	s_waitcnt vmcnt(2)
	v_lshrrev_b32_e32 v46, 31, v18
	s_waitcnt vmcnt(1)
	v_lshlrev_b32_e32 v21, 8, v19
	v_and_b32_e32 v23, 0xff, v18
	v_lshlrev_b32_e32 v24, 21, v18
	v_lshlrev_b32_e32 v26, 17, v18
	;; [unrolled: 1-line block ×3, first 2 shown]
	v_lshrrev_b32_e32 v16, 24, v22
	v_bfe_u32 v22, v22, 16, 8
	v_lshlrev_b32_e32 v36, 4, v19
	v_lshlrev_b32_e32 v19, 2, v19
	v_lshrrev_b32_e32 v17, 16, v18
	v_lshrrev_b32_e32 v25, 2, v18
	v_lshrrev_b32_e32 v27, 6, v18
	v_lshrrev_b32_e32 v30, 1, v18
	v_lshrrev_b32_e32 v31, 11, v18
	v_lshrrev_b32_e32 v32, 10, v18
	v_lshrrev_b32_e32 v33, 5, v18
	v_lshrrev_b32_e32 v34, 15, v18
	v_lshrrev_b32_e32 v35, 14, v18
	v_lshrrev_b32_e32 v37, 9, v18
	v_lshrrev_b32_e32 v38, 18, v18
	v_lshrrev_b32_e32 v39, 13, v18
	v_lshrrev_b32_e32 v41, 22, v18
	v_lshrrev_b32_e32 v42, 17, v18
	v_lshrrev_b32_e32 v43, 24, v18
	v_lshrrev_b32_e32 v44, 26, v18
	v_lshrrev_b32_e32 v45, 21, v18
	v_lshrrev_b32_e32 v18, 30, v18
	v_and_or_b32 v20, 0x300, v21, v20
	v_cmp_ne_u16_e32 vcc_lo, 0, v46
	v_lshl_or_b32 v21, v23, 7, v24
	v_lshl_or_b32 v23, v23, 3, v26
	v_and_or_b32 v26, 0x300, v29, v28
	v_and_or_b32 v22, 0x300, v36, v22
	;; [unrolled: 1-line block ×3, first 2 shown]
	v_and_b32_e32 v29, 0x180, v33
	v_lshl_or_b32 v33, v17, 21, v37
	v_lshl_or_b32 v17, v17, 17, v39
	;; [unrolled: 1-line block ×3, first 2 shown]
	v_bfe_i32 v39, v18, 0, 1
	v_cndmask_b32_e64 v18, 0, -1, vcc_lo
	v_lshlrev_b32_e32 v20, 3, v20
	v_bfe_i32 v24, v25, 0, 1
	v_bfe_i32 v25, v27, 0, 1
	v_and_b32_e32 v27, 0x180, v30
	v_bfe_i32 v30, v32, 0, 1
	v_bfe_i32 v32, v35, 0, 1
	v_bfe_i32 v35, v41, 0, 1
	v_and_b32_e32 v41, 0x1800180, v21
	v_bfe_u32 v42, v21, 24, 1
	v_lshlrev_b32_e32 v21, 3, v26
	v_lshlrev_b32_e32 v22, 3, v22
	v_bfe_i32 v28, v31, 0, 1
	v_bfe_i32 v31, v34, 0, 1
	;; [unrolled: 1-line block ×4, first 2 shown]
	v_and_b32_e32 v43, 0x1800180, v23
	v_bfe_u32 v44, v23, 24, 1
	v_lshlrev_b32_e32 v23, 3, v16
	v_and_b32_e32 v47, 0x1800180, v17
	v_bfe_u32 v48, v17, 24, 1
	v_and_b32_e32 v49, 0x1800180, v19
	v_bfe_u32 v50, v19, 24, 1
	v_lshlrev_b16 v51, 8, v18
	s_clause 0x3
	global_load_dwordx2 v[16:17], v20, s[0:1]
	global_load_dwordx2 v[18:19], v21, s[0:1]
	;; [unrolled: 1-line block ×4, first 2 shown]
	v_cmp_ne_u16_sdwa s0, v41, v11 src0_sel:BYTE_1 src1_sel:DWORD
	v_cmp_ne_u16_e32 vcc_lo, 0, v42
	v_lshrrev_b16 v52, 7, v41
	v_cmp_ne_u16_sdwa s12, v27, v11 src0_sel:BYTE_1 src1_sel:DWORD
	v_lshrrev_b16 v53, 7, v43
	v_cndmask_b32_e64 v41, 0, -1, s0
	v_cndmask_b32_e64 v42, 0, -1, vcc_lo
	v_cmp_ne_u16_sdwa s0, v43, v11 src0_sel:BYTE_1 src1_sel:DWORD
	v_cmp_ne_u16_e32 vcc_lo, 0, v44
	v_bfe_i32 v52, v52, 0, 1
	v_lshlrev_b16 v41, 8, v41
	v_lshlrev_b16 v42, 8, v42
	v_cndmask_b32_e64 v43, 0, -1, s0
	v_cndmask_b32_e64 v44, 0, -1, vcc_lo
	v_lshrrev_b16 v26, 7, v27
	v_cndmask_b32_e64 v27, 0, -1, s12
	v_cmp_ne_u16_sdwa s12, v29, v11 src0_sel:BYTE_1 src1_sel:DWORD
	v_and_b32_e32 v46, 0x1800180, v33
	v_bfe_u32 v33, v33, 24, 1
	v_bfe_i32 v53, v53, 0, 1
	v_lshlrev_b16 v43, 8, v43
	v_lshlrev_b16 v44, 8, v44
	v_or_b32_sdwa v59, v52, v41 dst_sel:DWORD dst_unused:UNUSED_PAD src0_sel:BYTE_0 src1_sel:DWORD
	v_or_b32_sdwa v60, v24, v42 dst_sel:WORD_1 dst_unused:UNUSED_PAD src0_sel:BYTE_0 src1_sel:DWORD
	v_lshrrev_b16 v36, 8, v45
	v_lshrrev_b16 v37, 7, v45
	;; [unrolled: 1-line block ×3, first 2 shown]
	v_cndmask_b32_e64 v29, 0, -1, s12
	v_cmp_ne_u16_sdwa s0, v46, v11 src0_sel:BYTE_1 src1_sel:DWORD
	v_cmp_ne_u16_e32 vcc_lo, 0, v33
	v_or_b32_sdwa v61, v53, v43 dst_sel:DWORD dst_unused:UNUSED_PAD src0_sel:BYTE_0 src1_sel:DWORD
	v_or_b32_sdwa v59, v59, v60 dst_sel:DWORD dst_unused:UNUSED_PAD src0_sel:WORD_0 src1_sel:DWORD
	v_or_b32_sdwa v60, v25, v44 dst_sel:WORD_1 dst_unused:UNUSED_PAD src0_sel:BYTE_0 src1_sel:DWORD
	v_lshlrev_b16 v31, 8, v31
	v_bfe_i32 v45, v45, 0, 1
	v_lshlrev_b16 v29, 8, v29
	v_lshrrev_b16 v56, 7, v46
	v_cndmask_b32_e64 v46, 0, -1, s0
	v_cndmask_b32_e64 v33, 0, -1, vcc_lo
	v_cmp_ne_u16_sdwa s0, v47, v11 src0_sel:BYTE_1 src1_sel:DWORD
	v_cmp_ne_u16_e32 vcc_lo, 0, v48
	v_or_b32_sdwa v60, v61, v60 dst_sel:DWORD dst_unused:UNUSED_PAD src0_sel:WORD_0 src1_sel:DWORD
	v_lshlrev_b16 v28, 8, v28
	v_bfe_i32 v36, v36, 0, 1
	v_bfe_i32 v26, v26, 0, 1
	v_lshlrev_b16 v27, 8, v27
	v_or_b32_sdwa v55, v32, v31 dst_sel:WORD_1 dst_unused:UNUSED_PAD src0_sel:BYTE_0 src1_sel:DWORD
	v_lshrrev_b16 v57, 7, v47
	v_cndmask_b32_e64 v47, 0, -1, s0
	v_cndmask_b32_e64 v48, 0, -1, vcc_lo
	v_cmp_ne_u16_sdwa s0, v49, v11 src0_sel:BYTE_1 src1_sel:DWORD
	v_cmp_ne_u16_e32 vcc_lo, 0, v50
	v_bfe_i32 v37, v37, 0, 1
	v_or_b32_sdwa v54, v30, v28 dst_sel:WORD_1 dst_unused:UNUSED_PAD src0_sel:BYTE_0 src1_sel:DWORD
	v_lshrrev_b16 v58, 7, v49
	v_cndmask_b32_e64 v49, 0, -1, s0
	v_cndmask_b32_e64 v50, 0, -1, vcc_lo
	v_lshlrev_b16 v36, 8, v36
	v_bfe_i32 v57, v57, 0, 1
	v_lshlrev_b16 v47, 8, v47
	v_lshlrev_b16 v48, 8, v48
	v_or_b32_sdwa v61, v39, v51 dst_sel:WORD_1 dst_unused:UNUSED_PAD src0_sel:BYTE_0 src1_sel:DWORD
	v_bfe_i32 v58, v58, 0, 1
	v_lshlrev_b16 v49, 8, v49
	v_lshlrev_b16 v50, 8, v50
	v_bfe_i32 v56, v56, 0, 1
	v_lshlrev_b16 v46, 8, v46
	v_lshlrev_b16 v33, 8, v33
	s_waitcnt vmcnt(3)
	v_xor_b32_e32 v60, v17, v60
	v_or_b32_sdwa v17, v45, v29 dst_sel:DWORD dst_unused:UNUSED_PAD src0_sel:BYTE_0 src1_sel:DWORD
	v_xor_b32_e32 v59, v16, v59
	v_or_b32_sdwa v16, v26, v27 dst_sel:DWORD dst_unused:UNUSED_PAD src0_sel:BYTE_0 src1_sel:DWORD
	v_or_b32_sdwa v17, v17, v55 dst_sel:DWORD dst_unused:UNUSED_PAD src0_sel:WORD_0 src1_sel:DWORD
	v_or_b32_sdwa v55, v56, v46 dst_sel:DWORD dst_unused:UNUSED_PAD src0_sel:BYTE_0 src1_sel:DWORD
	v_or_b32_sdwa v16, v16, v54 dst_sel:DWORD dst_unused:UNUSED_PAD src0_sel:WORD_0 src1_sel:DWORD
	v_or_b32_sdwa v54, v37, v36 dst_sel:DWORD dst_unused:UNUSED_PAD src0_sel:BYTE_0 src1_sel:DWORD
	s_waitcnt vmcnt(2)
	v_xor_b32_e32 v63, v19, v17
	v_or_b32_sdwa v17, v57, v47 dst_sel:DWORD dst_unused:UNUSED_PAD src0_sel:BYTE_0 src1_sel:DWORD
	v_or_b32_sdwa v19, v35, v48 dst_sel:WORD_1 dst_unused:UNUSED_PAD src0_sel:BYTE_0 src1_sel:DWORD
	v_xor_b32_e32 v62, v18, v16
	v_or_b32_sdwa v18, v54, v61 dst_sel:DWORD dst_unused:UNUSED_PAD src0_sel:WORD_0 src1_sel:DWORD
	v_or_b32_sdwa v54, v58, v49 dst_sel:DWORD dst_unused:UNUSED_PAD src0_sel:BYTE_0 src1_sel:DWORD
	v_or_b32_sdwa v16, v34, v33 dst_sel:WORD_1 dst_unused:UNUSED_PAD src0_sel:BYTE_0 src1_sel:DWORD
	v_or_b32_sdwa v17, v17, v19 dst_sel:DWORD dst_unused:UNUSED_PAD src0_sel:WORD_0 src1_sel:DWORD
	v_or_b32_sdwa v19, v38, v50 dst_sel:WORD_1 dst_unused:UNUSED_PAD src0_sel:BYTE_0 src1_sel:DWORD
	s_waitcnt vmcnt(0)
	v_xor_b32_e32 v64, v23, v18
	v_lshlrev_b16 v23, 8, v45
	v_or_b32_sdwa v16, v55, v16 dst_sel:DWORD dst_unused:UNUSED_PAD src0_sel:WORD_0 src1_sel:DWORD
	v_xor_b32_e32 v55, v21, v17
	v_or_b32_sdwa v19, v54, v19 dst_sel:DWORD dst_unused:UNUSED_PAD src0_sel:WORD_0 src1_sel:DWORD
	v_lshlrev_b16 v21, 8, v37
	v_lshlrev_b16 v37, 8, v56
	v_xor_b32_e32 v54, v20, v16
	v_lshlrev_b16 v20, 8, v24
	v_xor_b32_e32 v61, v22, v19
	v_lshlrev_b16 v22, 8, v26
	v_lshlrev_b16 v26, 8, v53
	v_and_b32_e32 v53, 0xffffff00, v59
	v_lshlrev_b16 v24, 8, v52
	v_lshlrev_b16 v45, 8, v57
	;; [unrolled: 1-line block ×3, first 2 shown]
	global_load_dwordx4 v[16:19], v[4:5], off offset:-16
	v_sub_nc_i16 v41, v53, v41 clamp
	v_lshlrev_b16 v53, 8, v59
	v_sub_nc_i16 v24, v53, v24 clamp
	v_and_b32_e32 v53, 0xffffff00, v60
	v_perm_b32 v41, v24, v41, 0xc0c0105
	v_sub_nc_i16 v43, v53, v43 clamp
	v_lshlrev_b16 v53, 8, v60
	v_lshlrev_b16 v24, 8, v25
	v_lshrrev_b32_e32 v25, 16, v62
	v_sub_nc_i16 v26, v53, v26 clamp
	v_and_b32_e32 v53, 0xffffff00, v62
	v_perm_b32 v43, v26, v43, 0xc0c0105
	v_sub_nc_i16 v27, v53, v27 clamp
	v_lshlrev_b16 v53, 8, v62
	v_sub_nc_i16 v53, v53, v22 clamp
	v_and_b32_e32 v22, 0xffffff00, v63
	v_perm_b32 v53, v53, v27, 0xc0c0105
	v_sub_nc_i16 v56, v22, v29 clamp
	v_lshlrev_b16 v22, 8, v63
	v_lshrrev_b32_e32 v29, 16, v60
	v_lshrrev_b32_e32 v27, 16, v54
	v_sub_nc_i16 v57, v22, v23 clamp
	v_and_b32_e32 v22, 0xffffff00, v54
	v_lshlrev_b16 v26, 8, v29
	v_lshrrev_b32_e32 v23, 16, v59
	v_perm_b32 v56, v57, v56, 0xc0c0105
	v_sub_nc_i16 v46, v22, v46 clamp
	v_lshlrev_b16 v22, 8, v54
	v_sub_nc_i16 v62, v26, v24 clamp
	v_and_b32_e32 v24, 0xffffff00, v25
	v_lshrrev_b32_e32 v26, 16, v63
	v_lshlrev_b16 v25, 8, v25
	v_sub_nc_i16 v58, v22, v37 clamp
	v_and_b32_e32 v22, 0xffffff00, v55
	v_sub_nc_i16 v66, v24, v28 clamp
	v_lshlrev_b16 v24, 8, v30
	v_lshrrev_b32_e32 v30, 16, v55
	v_perm_b32 v46, v58, v46, 0xc0c0105
	v_sub_nc_i16 v47, v22, v47 clamp
	v_lshlrev_b16 v22, 8, v55
	v_sub_nc_i16 v63, v25, v24 clamp
	v_and_b32_e32 v24, 0xffffff00, v26
	v_lshlrev_b16 v26, 8, v26
	v_lshlrev_b16 v25, 8, v34
	v_sub_nc_i16 v45, v22, v45 clamp
	v_and_b32_e32 v22, 0xffffff00, v61
	v_sub_nc_i16 v57, v24, v31 clamp
	v_lshlrev_b16 v24, 8, v32
	v_lshlrev_b16 v31, 8, v35
	v_perm_b32 v45, v45, v47, 0xc0c0105
	v_sub_nc_i16 v49, v22, v49 clamp
	v_lshlrev_b16 v22, 8, v61
	v_sub_nc_i16 v54, v26, v24 clamp
	v_and_b32_e32 v24, 0xffffff00, v27
	v_lshlrev_b16 v26, 8, v27
	v_and_b32_e32 v27, 0xffffff00, v30
	v_sub_nc_i16 v52, v22, v52 clamp
	v_and_b32_e32 v22, 0xffffff00, v64
	v_lshlrev_b16 v30, 8, v30
	v_sub_nc_i16 v55, v24, v33 clamp
	v_sub_nc_i16 v47, v27, v48 clamp
	v_lshrrev_b32_e32 v33, 16, v64
	v_sub_nc_i16 v65, v22, v36 clamp
	v_lshlrev_b16 v22, 8, v64
	v_sub_nc_i16 v48, v30, v31 clamp
	v_lshrrev_b32_e32 v31, 16, v61
	v_mad_u64_u32 v[36:37], null, v13, 36, v[2:3]
	v_sub_nc_i16 v59, v22, v21 clamp
	v_and_b32_e32 v21, 0xffffff00, v23
	v_lshlrev_b16 v22, 8, v23
	v_and_b32_e32 v23, 0xffffff00, v29
	v_and_b32_e32 v32, 0xffffff00, v31
	v_mad_u64_u32 v[28:29], null, v12, 36, v[2:3]
	v_lshlrev_b16 v30, 8, v38
	v_sub_nc_i16 v44, v23, v44 clamp
	v_lshlrev_b16 v31, 8, v31
	v_sub_nc_i16 v50, v32, v50 clamp
	v_lshlrev_b16 v32, 8, v39
	v_and_b32_e32 v34, 0xffffff00, v33
	v_lshlrev_b16 v33, 8, v33
	v_sub_nc_i16 v42, v21, v42 clamp
	v_sub_nc_i16 v60, v22, v20 clamp
	global_load_dwordx4 v[20:23], v[4:5], off
	v_sub_nc_i16 v58, v26, v25 clamp
	s_clause 0x1
	global_load_dwordx4 v[24:27], v[28:29], off
	global_load_dword v67, v[28:29], off offset:32
	v_perm_b32 v49, v52, v49, 0xc0c0105
	v_sub_nc_i16 v52, v31, v30 clamp
	v_sub_nc_i16 v51, v34, v51 clamp
	;; [unrolled: 1-line block ×3, first 2 shown]
	v_perm_b32 v44, v62, v44, 0xc0c0105
	s_clause 0x3
	global_load_dwordx4 v[32:35], v[36:37], off
	global_load_dword v62, v[36:37], off offset:32
	global_load_dwordx4 v[28:31], v[28:29], off offset:16
	global_load_dwordx4 v[36:39], v[36:37], off offset:16
	v_perm_b32 v47, v48, v47, 0xc0c0105
	global_load_dword v48, v[4:5], off offset:16
	v_perm_b32 v42, v60, v42, 0xc0c0105
	v_perm_b32 v54, v54, v57, 0xc0c0105
	;; [unrolled: 1-line block ×4, first 2 shown]
	v_mov_b32_e32 v52, 0
	v_mov_b32_e32 v57, 0
	v_lshl_or_b32 v41, v42, 16, v41
	v_mov_b32_e32 v42, 0
	v_lshl_or_b32 v43, v44, 16, v43
	v_mov_b32_e32 v44, 0
	v_mov_b32_e32 v58, 0
	v_lshl_or_b32 v54, v54, 16, v56
	v_mov_b32_e32 v56, 0
	v_lshl_or_b32 v46, v55, 16, v46
	v_perm_b32 v60, v63, v66, 0xc0c0105
	v_lshl_or_b32 v45, v47, 16, v45
	v_perm_b32 v59, v59, v65, 0xc0c0105
	v_perm_b32 v51, v61, v51, 0xc0c0105
	v_lshl_or_b32 v49, v50, 16, v49
	v_lshl_or_b32 v53, v60, 16, v53
	v_lshrrev_b32_e32 v47, 4, v15
	v_and_b32_e32 v15, 15, v15
	v_lshl_or_b32 v50, v51, 16, v59
	v_add_co_u32 v4, vcc_lo, 0x480, v4
	v_add_co_ci_u32_e64 v5, null, 0, v5, vcc_lo
	v_cmp_le_u32_e32 vcc_lo, s10, v8
	v_add_nc_u32_e32 v12, 32, v12
	v_add_nc_u32_e32 v13, 32, v13
	s_or_b32 s3, vcc_lo, s3
	s_waitcnt vmcnt(8)
	v_dot4c_i32_i8 v52, v41, v17
	v_cvt_f32_f16_e32 v16, v16
	v_dot4c_i32_i8 v52, v43, v18
	v_dot4c_i32_i8 v52, v53, v19
	s_waitcnt vmcnt(7)
	v_dot4c_i32_i8 v57, v46, v21
	v_dot4c_i32_i8 v52, v54, v20
	s_waitcnt vmcnt(6)
	v_dot4c_i32_i8 v42, v41, v25
	v_cvt_f32_f16_e32 v24, v24
	v_dot4c_i32_i8 v57, v45, v22
	v_mul_lo_u32 v17, v52, v15
	v_dot4c_i32_i8 v42, v43, v26
	s_waitcnt vmcnt(4)
	v_dot4c_i32_i8 v58, v41, v33
	v_dot4c_i32_i8 v57, v49, v23
	s_waitcnt vmcnt(2)
	v_dot4c_i32_i8 v44, v46, v29
	s_waitcnt vmcnt(1)
	v_dot4c_i32_i8 v56, v46, v37
	v_dot4c_i32_i8 v42, v53, v27
	v_dot4c_i32_i8 v58, v43, v34
	s_waitcnt vmcnt(0)
	v_dot4c_i32_i8 v57, v50, v48
	v_dot4c_i32_i8 v44, v45, v30
	;; [unrolled: 1-line block ×5, first 2 shown]
	v_add_nc_u32_e32 v19, v57, v52
	v_dot4c_i32_i8 v44, v49, v31
	v_dot4c_i32_i8 v56, v49, v39
	v_mul_lo_u32 v18, v57, v47
	v_dot4c_i32_i8 v58, v54, v36
	v_lshrrev_b32_e32 v25, 31, v19
	v_dot4c_i32_i8 v44, v50, v67
	v_dot4c_i32_i8 v56, v50, v62
	v_mul_lo_u32 v22, v42, v15
	v_mul_lo_u32 v15, v58, v15
	v_add_nc_u32_e32 v19, v19, v25
	v_add_nc_u32_e32 v20, v44, v42
	;; [unrolled: 1-line block ×3, first 2 shown]
	v_mul_lo_u32 v23, v44, v47
	v_mul_lo_u32 v25, v56, v47
	v_ashrrev_i32_e32 v19, 1, v19
	v_lshrrev_b32_e32 v26, 31, v20
	v_lshrrev_b32_e32 v27, 31, v21
	v_add3_u32 v17, v18, v17, v19
	v_add_nc_u32_e32 v20, v20, v26
	v_add_nc_u32_e32 v21, v21, v27
	v_cvt_f32_f16_e32 v19, v32
	v_ashrrev_i32_e32 v20, 1, v20
	v_ashrrev_i32_e32 v21, 1, v21
	v_add3_u32 v18, v23, v22, v20
	v_add3_u32 v15, v25, v15, v21
	v_ashrrev_i32_e32 v20, 31, v17
	v_cvt_f32_f16_e32 v23, v40
	v_ashrrev_i32_e32 v21, 31, v18
	v_ashrrev_i32_e32 v22, 31, v15
	v_lshrrev_b32_e32 v20, 30, v20
	v_mul_f32_e32 v16, v23, v16
	v_mul_f32_e32 v19, v23, v19
	v_lshrrev_b32_e32 v21, 30, v21
	v_lshrrev_b32_e32 v22, 30, v22
	v_add_nc_u32_e32 v17, v17, v20
	v_mul_f32_e32 v20, v23, v24
	v_add_nc_u32_e32 v18, v18, v21
	v_add_nc_u32_e32 v15, v15, v22
	v_ashrrev_i32_e32 v17, 2, v17
	v_ashrrev_i32_e32 v18, 2, v18
	;; [unrolled: 1-line block ×3, first 2 shown]
	v_cvt_f32_i32_e32 v17, v17
	v_cvt_f32_i32_e32 v18, v18
	;; [unrolled: 1-line block ×3, first 2 shown]
	v_fmac_f32_e32 v9, v16, v17
	v_fmac_f32_e32 v7, v20, v18
	;; [unrolled: 1-line block ×3, first 2 shown]
	s_andn2_b32 exec_lo, exec_lo, s3
	s_cbranch_execnz .LBB186_2
; %bb.3:
	s_or_b32 exec_lo, exec_lo, s3
.LBB186_4:
	s_or_b32 exec_lo, exec_lo, s9
	s_mov_b32 s1, 0
	; wave barrier
	buffer_gl0_inv
	s_mov_b32 s0, exec_lo
	v_cmpx_eq_u32_e32 0, v1
	s_cbranch_execz .LBB186_11
; %bb.5:
	v_mbcnt_lo_u32_b32 v5, -1, 0
	s_load_dwordx2 s[4:5], s[4:5], 0x38
	s_mul_i32 s0, s14, s7
	s_mul_i32 s3, s18, s8
	s_add_i32 s0, s0, s6
	v_xor_b32_e32 v1, 16, v5
	v_xor_b32_e32 v2, 8, v5
	;; [unrolled: 1-line block ×3, first 2 shown]
	s_add_i32 s0, s0, s3
	s_lshl_b64 s[0:1], s[0:1], 2
	v_cmp_gt_i32_e32 vcc_lo, 32, v1
	v_cndmask_b32_e32 v1, v5, v1, vcc_lo
	v_cmp_gt_i32_e32 vcc_lo, 32, v2
	v_lshlrev_b32_e32 v1, 2, v1
	v_cndmask_b32_e32 v2, v5, v2, vcc_lo
	s_waitcnt lgkmcnt(0)
	s_add_u32 s0, s4, s0
	s_addc_u32 s1, s5, s1
	ds_bpermute_b32 v3, v1, v9
	v_lshlrev_b32_e32 v2, 2, v2
	s_waitcnt lgkmcnt(0)
	v_add_f32_e32 v4, v9, v3
	v_xor_b32_e32 v3, 4, v5
	ds_bpermute_b32 v8, v2, v4
	v_cmp_gt_i32_e32 vcc_lo, 32, v3
	v_cndmask_b32_e32 v3, v5, v3, vcc_lo
	v_lshlrev_b32_e32 v3, 2, v3
	s_waitcnt lgkmcnt(0)
	v_add_f32_e32 v8, v4, v8
	v_xor_b32_e32 v4, 2, v5
	ds_bpermute_b32 v9, v3, v8
	v_cmp_gt_i32_e32 vcc_lo, 32, v4
	v_cndmask_b32_e32 v4, v5, v4, vcc_lo
	v_cmp_gt_i32_e32 vcc_lo, 32, v10
	v_lshlrev_b32_e32 v4, 2, v4
	v_cndmask_b32_e32 v5, v5, v10, vcc_lo
	v_cmp_eq_u32_e32 vcc_lo, 0, v0
	v_lshlrev_b32_e32 v5, 2, v5
	s_waitcnt lgkmcnt(0)
	v_add_f32_e32 v8, v8, v9
	ds_bpermute_b32 v9, v4, v8
	s_waitcnt lgkmcnt(0)
	v_add_f32_e32 v8, v8, v9
	ds_bpermute_b32 v9, v5, v8
	s_and_saveexec_b32 s3, vcc_lo
	s_cbranch_execz .LBB186_7
; %bb.6:
	s_waitcnt lgkmcnt(0)
	v_add_f32_e32 v0, v8, v9
	v_mov_b32_e32 v8, 0
	global_store_dword v8, v0, s[0:1]
.LBB186_7:
	s_or_b32 exec_lo, exec_lo, s3
	ds_bpermute_b32 v0, v1, v7
	s_waitcnt lgkmcnt(0)
	v_add_f32_e32 v0, v7, v0
	ds_bpermute_b32 v7, v2, v0
	s_waitcnt lgkmcnt(0)
	v_add_f32_e32 v0, v0, v7
	;; [unrolled: 3-line block ×4, first 2 shown]
	ds_bpermute_b32 v7, v5, v0
	s_and_saveexec_b32 s4, vcc_lo
	s_cbranch_execz .LBB186_9
; %bb.8:
	s_mov_b32 s3, 0
	s_waitcnt lgkmcnt(0)
	v_add_f32_e32 v0, v0, v7
	s_lshl_b64 s[6:7], s[2:3], 2
	v_mov_b32_e32 v7, 0
	s_add_u32 s6, s0, s6
	s_addc_u32 s7, s1, s7
	global_store_dword v7, v0, s[6:7]
.LBB186_9:
	s_or_b32 exec_lo, exec_lo, s4
	ds_bpermute_b32 v0, v1, v6
	s_waitcnt lgkmcnt(0)
	v_add_f32_e32 v0, v6, v0
	ds_bpermute_b32 v1, v2, v0
	s_waitcnt lgkmcnt(0)
	v_add_f32_e32 v0, v0, v1
	;; [unrolled: 3-line block ×4, first 2 shown]
	ds_bpermute_b32 v1, v5, v0
	s_and_b32 exec_lo, exec_lo, vcc_lo
	s_cbranch_execz .LBB186_11
; %bb.10:
	s_lshl_b32 s2, s2, 1
	s_mov_b32 s3, 0
	s_waitcnt lgkmcnt(0)
	v_add_f32_e32 v0, v0, v1
	s_lshl_b64 s[2:3], s[2:3], 2
	v_mov_b32_e32 v1, 0
	s_add_u32 s0, s0, s2
	s_addc_u32 s1, s1, s3
	global_store_dword v1, v0, s[0:1]
.LBB186_11:
	s_endpgm
	.section	.rodata,"a",@progbits
	.p2align	6, 0x0
	.amdhsa_kernel _ZL13mul_mat_vec_qIL9ggml_type22ELi3ELb0ELb0EEvPKvS2_PKi31ggml_cuda_mm_fusion_args_devicePfj15HIP_vector_typeIjLj3EEjjjS8_jjjS8_jjjj
		.amdhsa_group_segment_fixed_size 0
		.amdhsa_private_segment_fixed_size 0
		.amdhsa_kernarg_size 144
		.amdhsa_user_sgpr_count 6
		.amdhsa_user_sgpr_private_segment_buffer 1
		.amdhsa_user_sgpr_dispatch_ptr 0
		.amdhsa_user_sgpr_queue_ptr 0
		.amdhsa_user_sgpr_kernarg_segment_ptr 1
		.amdhsa_user_sgpr_dispatch_id 0
		.amdhsa_user_sgpr_flat_scratch_init 0
		.amdhsa_user_sgpr_private_segment_size 0
		.amdhsa_wavefront_size32 1
		.amdhsa_uses_dynamic_stack 0
		.amdhsa_system_sgpr_private_segment_wavefront_offset 0
		.amdhsa_system_sgpr_workgroup_id_x 1
		.amdhsa_system_sgpr_workgroup_id_y 1
		.amdhsa_system_sgpr_workgroup_id_z 1
		.amdhsa_system_sgpr_workgroup_info 0
		.amdhsa_system_vgpr_workitem_id 1
		.amdhsa_next_free_vgpr 68
		.amdhsa_next_free_sgpr 28
		.amdhsa_reserve_vcc 1
		.amdhsa_reserve_flat_scratch 0
		.amdhsa_float_round_mode_32 0
		.amdhsa_float_round_mode_16_64 0
		.amdhsa_float_denorm_mode_32 3
		.amdhsa_float_denorm_mode_16_64 3
		.amdhsa_dx10_clamp 1
		.amdhsa_ieee_mode 1
		.amdhsa_fp16_overflow 0
		.amdhsa_workgroup_processor_mode 1
		.amdhsa_memory_ordered 1
		.amdhsa_forward_progress 1
		.amdhsa_shared_vgpr_count 0
		.amdhsa_exception_fp_ieee_invalid_op 0
		.amdhsa_exception_fp_denorm_src 0
		.amdhsa_exception_fp_ieee_div_zero 0
		.amdhsa_exception_fp_ieee_overflow 0
		.amdhsa_exception_fp_ieee_underflow 0
		.amdhsa_exception_fp_ieee_inexact 0
		.amdhsa_exception_int_div_zero 0
	.end_amdhsa_kernel
	.section	.text._ZL13mul_mat_vec_qIL9ggml_type22ELi3ELb0ELb0EEvPKvS2_PKi31ggml_cuda_mm_fusion_args_devicePfj15HIP_vector_typeIjLj3EEjjjS8_jjjS8_jjjj,"axG",@progbits,_ZL13mul_mat_vec_qIL9ggml_type22ELi3ELb0ELb0EEvPKvS2_PKi31ggml_cuda_mm_fusion_args_devicePfj15HIP_vector_typeIjLj3EEjjjS8_jjjS8_jjjj,comdat
.Lfunc_end186:
	.size	_ZL13mul_mat_vec_qIL9ggml_type22ELi3ELb0ELb0EEvPKvS2_PKi31ggml_cuda_mm_fusion_args_devicePfj15HIP_vector_typeIjLj3EEjjjS8_jjjS8_jjjj, .Lfunc_end186-_ZL13mul_mat_vec_qIL9ggml_type22ELi3ELb0ELb0EEvPKvS2_PKi31ggml_cuda_mm_fusion_args_devicePfj15HIP_vector_typeIjLj3EEjjjS8_jjjS8_jjjj
                                        ; -- End function
	.set _ZL13mul_mat_vec_qIL9ggml_type22ELi3ELb0ELb0EEvPKvS2_PKi31ggml_cuda_mm_fusion_args_devicePfj15HIP_vector_typeIjLj3EEjjjS8_jjjS8_jjjj.num_vgpr, 68
	.set _ZL13mul_mat_vec_qIL9ggml_type22ELi3ELb0ELb0EEvPKvS2_PKi31ggml_cuda_mm_fusion_args_devicePfj15HIP_vector_typeIjLj3EEjjjS8_jjjS8_jjjj.num_agpr, 0
	.set _ZL13mul_mat_vec_qIL9ggml_type22ELi3ELb0ELb0EEvPKvS2_PKi31ggml_cuda_mm_fusion_args_devicePfj15HIP_vector_typeIjLj3EEjjjS8_jjjS8_jjjj.numbered_sgpr, 28
	.set _ZL13mul_mat_vec_qIL9ggml_type22ELi3ELb0ELb0EEvPKvS2_PKi31ggml_cuda_mm_fusion_args_devicePfj15HIP_vector_typeIjLj3EEjjjS8_jjjS8_jjjj.num_named_barrier, 0
	.set _ZL13mul_mat_vec_qIL9ggml_type22ELi3ELb0ELb0EEvPKvS2_PKi31ggml_cuda_mm_fusion_args_devicePfj15HIP_vector_typeIjLj3EEjjjS8_jjjS8_jjjj.private_seg_size, 0
	.set _ZL13mul_mat_vec_qIL9ggml_type22ELi3ELb0ELb0EEvPKvS2_PKi31ggml_cuda_mm_fusion_args_devicePfj15HIP_vector_typeIjLj3EEjjjS8_jjjS8_jjjj.uses_vcc, 1
	.set _ZL13mul_mat_vec_qIL9ggml_type22ELi3ELb0ELb0EEvPKvS2_PKi31ggml_cuda_mm_fusion_args_devicePfj15HIP_vector_typeIjLj3EEjjjS8_jjjS8_jjjj.uses_flat_scratch, 0
	.set _ZL13mul_mat_vec_qIL9ggml_type22ELi3ELb0ELb0EEvPKvS2_PKi31ggml_cuda_mm_fusion_args_devicePfj15HIP_vector_typeIjLj3EEjjjS8_jjjS8_jjjj.has_dyn_sized_stack, 0
	.set _ZL13mul_mat_vec_qIL9ggml_type22ELi3ELb0ELb0EEvPKvS2_PKi31ggml_cuda_mm_fusion_args_devicePfj15HIP_vector_typeIjLj3EEjjjS8_jjjS8_jjjj.has_recursion, 0
	.set _ZL13mul_mat_vec_qIL9ggml_type22ELi3ELb0ELb0EEvPKvS2_PKi31ggml_cuda_mm_fusion_args_devicePfj15HIP_vector_typeIjLj3EEjjjS8_jjjS8_jjjj.has_indirect_call, 0
	.section	.AMDGPU.csdata,"",@progbits
; Kernel info:
; codeLenInByte = 3540
; TotalNumSgprs: 30
; NumVgprs: 68
; ScratchSize: 0
; MemoryBound: 0
; FloatMode: 240
; IeeeMode: 1
; LDSByteSize: 0 bytes/workgroup (compile time only)
; SGPRBlocks: 0
; VGPRBlocks: 8
; NumSGPRsForWavesPerEU: 30
; NumVGPRsForWavesPerEU: 68
; Occupancy: 12
; WaveLimiterHint : 0
; COMPUTE_PGM_RSRC2:SCRATCH_EN: 0
; COMPUTE_PGM_RSRC2:USER_SGPR: 6
; COMPUTE_PGM_RSRC2:TRAP_HANDLER: 0
; COMPUTE_PGM_RSRC2:TGID_X_EN: 1
; COMPUTE_PGM_RSRC2:TGID_Y_EN: 1
; COMPUTE_PGM_RSRC2:TGID_Z_EN: 1
; COMPUTE_PGM_RSRC2:TIDIG_COMP_CNT: 1
	.section	.text._ZL13mul_mat_vec_qIL9ggml_type22ELi4ELb0ELb0EEvPKvS2_PKi31ggml_cuda_mm_fusion_args_devicePfj15HIP_vector_typeIjLj3EEjjjS8_jjjS8_jjjj,"axG",@progbits,_ZL13mul_mat_vec_qIL9ggml_type22ELi4ELb0ELb0EEvPKvS2_PKi31ggml_cuda_mm_fusion_args_devicePfj15HIP_vector_typeIjLj3EEjjjS8_jjjS8_jjjj,comdat
	.globl	_ZL13mul_mat_vec_qIL9ggml_type22ELi4ELb0ELb0EEvPKvS2_PKi31ggml_cuda_mm_fusion_args_devicePfj15HIP_vector_typeIjLj3EEjjjS8_jjjS8_jjjj ; -- Begin function _ZL13mul_mat_vec_qIL9ggml_type22ELi4ELb0ELb0EEvPKvS2_PKi31ggml_cuda_mm_fusion_args_devicePfj15HIP_vector_typeIjLj3EEjjjS8_jjjS8_jjjj
	.p2align	8
	.type	_ZL13mul_mat_vec_qIL9ggml_type22ELi4ELb0ELb0EEvPKvS2_PKi31ggml_cuda_mm_fusion_args_devicePfj15HIP_vector_typeIjLj3EEjjjS8_jjjS8_jjjj,@function
_ZL13mul_mat_vec_qIL9ggml_type22ELi4ELb0ELb0EEvPKvS2_PKi31ggml_cuda_mm_fusion_args_devicePfj15HIP_vector_typeIjLj3EEjjjS8_jjjS8_jjjj: ; @_ZL13mul_mat_vec_qIL9ggml_type22ELi4ELb0ELb0EEvPKvS2_PKi31ggml_cuda_mm_fusion_args_devicePfj15HIP_vector_typeIjLj3EEjjjS8_jjjS8_jjjj
; %bb.0:
	s_clause 0x5
	s_load_dword s9, s[4:5], 0x40
	s_load_dwordx4 s[0:3], s[4:5], 0x50
	s_load_dword s11, s[4:5], 0x60
	s_load_dwordx4 s[12:15], s[4:5], 0x68
	;; [unrolled: 2-line block ×3, first 2 shown]
	v_lshl_or_b32 v2, v1, 5, v0
	v_mov_b32_e32 v7, 0
	v_mov_b32_e32 v8, 0
	;; [unrolled: 1-line block ×4, first 2 shown]
	v_lshrrev_b32_e32 v10, 3, v2
	s_waitcnt lgkmcnt(0)
	s_lshr_b32 s10, s9, 8
	s_mov_b32 s9, exec_lo
	v_cmpx_gt_u32_e64 s10, v10
	s_cbranch_execz .LBB187_4
; %bb.1:
	s_mul_i32 s13, s13, s7
	s_load_dwordx4 s[20:23], s[4:5], 0x0
	s_mul_hi_u32 s27, s13, 36
	s_mul_i32 s26, s13, 36
	s_mul_i32 s17, s17, s8
	v_mad_u64_u32 v[2:3], null, 0x120, v10, s[26:27]
	v_and_b32_e32 v12, 7, v0
	s_mul_hi_u32 s3, s3, s7
	s_mul_hi_u32 s15, s15, s8
	v_lshlrev_b32_e32 v6, 3, v10
	s_add_i32 s3, s7, s3
	s_add_i32 s15, s8, s15
	v_mad_u64_u32 v[2:3], null, s17, 36, v[2:3]
	s_mul_i32 s13, s17, 36
	s_lshr_b32 s3, s3, s11
	s_mul_hi_u32 s19, s17, 36
	s_lshr_b32 s11, s15, s24
	s_mul_i32 s3, s3, s12
	v_lshlrev_b32_e32 v9, 1, v12
	v_mad_u64_u32 v[7:8], null, v12, 36, v[2:3]
	s_waitcnt lgkmcnt(0)
	s_add_u32 s12, s22, s13
	s_addc_u32 s13, s23, s19
	s_add_u32 s12, s12, s26
	s_addc_u32 s13, s13, s27
	s_mul_i32 s0, s0, s6
	v_mad_u64_u32 v[2:3], null, v12, 36, s[12:13]
	v_mad_u64_u32 v[4:5], null, s1, 3, v[6:7]
	v_add_co_u32 v5, vcc_lo, s22, v7
	v_add_co_ci_u32_e64 v7, null, s23, v8, vcc_lo
	v_mov_b32_e32 v13, 0
	v_add_co_u32 v5, vcc_lo, v5, 16
	v_add_nc_u32_e32 v14, s1, v6
	v_lshl_add_u32 v15, s1, 1, v6
	v_add_co_ci_u32_e64 v6, null, 0, v7, vcc_lo
	v_lshlrev_b32_e32 v16, 1, v9
	v_mov_b32_e32 v7, 0
	v_mov_b32_e32 v8, 0
	;; [unrolled: 1-line block ×4, first 2 shown]
	s_mul_i32 s11, s11, s16
	s_add_i32 s3, s3, s0
	s_add_i32 s11, s11, s3
	s_mov_b32 s3, 0
.LBB187_2:                              ; =>This Inner Loop Header: Depth=1
	v_add_nc_u32_e32 v17, s11, v10
	s_getpc_b64 s[0:1]
	s_add_u32 s0, s0, _ZL9iq2s_grid@rel32@lo+4
	s_addc_u32 s1, s1, _ZL9iq2s_grid@rel32@hi+12
	v_add_nc_u32_e32 v10, 4, v10
	v_mad_i64_i32 v[18:19], null, 0x52, v17, s[20:21]
	v_add_co_u32 v20, vcc_lo, v18, v16
	v_add_co_ci_u32_e64 v21, null, 0, v19, vcc_lo
	v_add_co_u32 v22, vcc_lo, v18, v12
	v_add_co_ci_u32_e64 v23, null, 0, v19, vcc_lo
	s_clause 0x4
	global_load_dword v24, v[20:21], off offset:2
	global_load_ubyte v17, v[22:23], off offset:74
	global_load_dword v20, v[20:21], off offset:34
	global_load_ubyte v21, v[22:23], off offset:66
	global_load_ushort v38, v[18:19], off
	s_waitcnt vmcnt(4)
	v_and_b32_e32 v22, 0xff, v24
	v_bfe_u32 v30, v24, 8, 8
	s_waitcnt vmcnt(2)
	v_lshrrev_b32_e32 v48, 31, v20
	s_waitcnt vmcnt(1)
	v_lshlrev_b32_e32 v23, 8, v21
	v_and_b32_e32 v25, 0xff, v20
	v_lshlrev_b32_e32 v26, 21, v20
	v_lshlrev_b32_e32 v28, 17, v20
	;; [unrolled: 1-line block ×3, first 2 shown]
	v_lshrrev_b32_e32 v18, 24, v24
	v_bfe_u32 v24, v24, 16, 8
	v_lshlrev_b32_e32 v39, 4, v21
	v_lshlrev_b32_e32 v21, 2, v21
	v_lshrrev_b32_e32 v19, 16, v20
	v_lshrrev_b32_e32 v27, 2, v20
	;; [unrolled: 1-line block ×18, first 2 shown]
	v_and_or_b32 v22, 0x300, v23, v22
	v_cmp_ne_u16_e32 vcc_lo, 0, v48
	v_lshl_or_b32 v23, v25, 7, v26
	v_lshl_or_b32 v25, v25, 3, v28
	v_and_or_b32 v28, 0x300, v31, v30
	v_and_or_b32 v24, 0x300, v39, v24
	;; [unrolled: 1-line block ×3, first 2 shown]
	v_bfe_i32 v26, v27, 0, 1
	v_bfe_i32 v27, v29, 0, 1
	v_and_b32_e32 v29, 0x180, v32
	v_and_b32_e32 v32, 0x180, v35
	v_lshl_or_b32 v35, v19, 21, v40
	v_lshl_or_b32 v19, v19, 17, v42
	;; [unrolled: 1-line block ×3, first 2 shown]
	v_bfe_i32 v42, v20, 0, 1
	v_cndmask_b32_e64 v20, 0, -1, vcc_lo
	v_lshlrev_b32_e32 v22, 3, v22
	v_bfe_i32 v31, v34, 0, 1
	v_bfe_i32 v34, v37, 0, 1
	;; [unrolled: 1-line block ×3, first 2 shown]
	v_and_b32_e32 v43, 0x1800180, v23
	v_bfe_u32 v44, v23, 24, 1
	v_lshlrev_b32_e32 v23, 3, v28
	v_lshlrev_b32_e32 v24, 3, v24
	v_bfe_i32 v39, v46, 0, 1
	v_and_b32_e32 v45, 0x1800180, v25
	v_bfe_u32 v46, v25, 24, 1
	v_lshlrev_b32_e32 v25, 3, v18
	v_and_b32_e32 v49, 0x1800180, v19
	v_bfe_u32 v50, v19, 24, 1
	v_and_b32_e32 v51, 0x1800180, v21
	v_bfe_u32 v52, v21, 24, 1
	v_lshlrev_b16 v53, 8, v20
	s_clause 0x3
	global_load_dwordx2 v[18:19], v22, s[0:1]
	global_load_dwordx2 v[20:21], v23, s[0:1]
	;; [unrolled: 1-line block ×4, first 2 shown]
	v_cmp_ne_u16_sdwa s0, v43, v13 src0_sel:BYTE_1 src1_sel:DWORD
	v_and_b32_e32 v48, 0x1800180, v35
	v_lshrrev_b16 v54, 7, v43
	v_cmp_ne_u16_e32 vcc_lo, 0, v44
	v_bfe_u32 v35, v35, 24, 1
	v_cndmask_b32_e64 v43, 0, -1, s0
	v_cmp_ne_u16_sdwa s0, v45, v13 src0_sel:BYTE_1 src1_sel:DWORD
	v_lshrrev_b16 v55, 7, v45
	v_cndmask_b32_e64 v44, 0, -1, vcc_lo
	v_cmp_ne_u16_e32 vcc_lo, 0, v46
	v_lshrrev_b16 v58, 7, v48
	v_cndmask_b32_e64 v45, 0, -1, s0
	v_cmp_ne_u16_sdwa s0, v48, v13 src0_sel:BYTE_1 src1_sel:DWORD
	v_lshlrev_b16 v43, 8, v43
	v_cndmask_b32_e64 v46, 0, -1, vcc_lo
	v_cmp_ne_u16_e32 vcc_lo, 0, v35
	v_lshlrev_b16 v44, 8, v44
	v_cndmask_b32_e64 v48, 0, -1, s0
	v_cmp_ne_u16_sdwa s0, v49, v13 src0_sel:BYTE_1 src1_sel:DWORD
	v_cmp_ne_u16_sdwa s12, v29, v13 src0_sel:BYTE_1 src1_sel:DWORD
	v_cndmask_b32_e64 v35, 0, -1, vcc_lo
	v_cmp_ne_u16_e32 vcc_lo, 0, v50
	v_lshrrev_b16 v50, 7, v49
	v_cndmask_b32_e64 v49, 0, -1, s0
	v_cmp_ne_u16_e64 s0, 0, v52
	v_bfe_i32 v52, v54, 0, 1
	v_bfe_i32 v54, v55, 0, 1
	v_lshlrev_b16 v45, 8, v45
	v_lshlrev_b16 v46, 8, v46
	v_or_b32_sdwa v59, v26, v44 dst_sel:WORD_1 dst_unused:UNUSED_PAD src0_sel:BYTE_0 src1_sel:DWORD
	v_or_b32_sdwa v55, v52, v43 dst_sel:DWORD dst_unused:UNUSED_PAD src0_sel:BYTE_0 src1_sel:DWORD
	v_bfe_i32 v30, v33, 0, 1
	v_lshrrev_b16 v28, 7, v29
	v_cndmask_b32_e64 v29, 0, -1, s12
	v_cmp_ne_u16_sdwa s12, v32, v13 src0_sel:BYTE_1 src1_sel:DWORD
	v_or_b32_sdwa v60, v54, v45 dst_sel:DWORD dst_unused:UNUSED_PAD src0_sel:BYTE_0 src1_sel:DWORD
	v_or_b32_sdwa v55, v55, v59 dst_sel:DWORD dst_unused:UNUSED_PAD src0_sel:WORD_0 src1_sel:DWORD
	v_or_b32_sdwa v59, v27, v46 dst_sel:WORD_1 dst_unused:UNUSED_PAD src0_sel:BYTE_0 src1_sel:DWORD
	v_bfe_i32 v33, v36, 0, 1
	v_bfe_i32 v36, v41, 0, 1
	v_lshrrev_b16 v40, 8, v47
	v_lshrrev_b16 v41, 7, v47
	v_lshlrev_b16 v30, 8, v30
	v_lshrrev_b16 v47, 7, v32
	v_cndmask_b32_e64 v32, 0, -1, s12
	v_bfe_i32 v28, v28, 0, 1
	v_lshlrev_b16 v29, 8, v29
	v_or_b32_sdwa v59, v60, v59 dst_sel:DWORD dst_unused:UNUSED_PAD src0_sel:WORD_0 src1_sel:DWORD
	v_lshlrev_b16 v33, 8, v33
	v_or_b32_sdwa v56, v31, v30 dst_sel:WORD_1 dst_unused:UNUSED_PAD src0_sel:BYTE_0 src1_sel:DWORD
	v_bfe_i32 v47, v47, 0, 1
	v_lshlrev_b16 v32, 8, v32
	v_cndmask_b32_e64 v60, 0, -1, vcc_lo
	v_or_b32_sdwa v57, v34, v33 dst_sel:WORD_1 dst_unused:UNUSED_PAD src0_sel:BYTE_0 src1_sel:DWORD
	v_bfe_i32 v58, v58, 0, 1
	v_lshlrev_b16 v48, 8, v48
	v_lshlrev_b16 v35, 8, v35
	v_bfe_i32 v40, v40, 0, 1
	v_bfe_i32 v50, v50, 0, 1
	v_lshlrev_b16 v49, 8, v49
	v_lshlrev_b16 v60, 8, v60
	v_bfe_i32 v41, v41, 0, 1
	v_cmp_ne_u16_sdwa s1, v51, v13 src0_sel:BYTE_1 src1_sel:DWORD
	v_lshlrev_b16 v40, 8, v40
	v_lshrrev_b16 v51, 7, v51
	s_waitcnt vmcnt(3)
	v_xor_b32_e32 v18, v18, v55
	v_xor_b32_e32 v55, v19, v59
	v_or_b32_sdwa v59, v28, v29 dst_sel:DWORD dst_unused:UNUSED_PAD src0_sel:BYTE_0 src1_sel:DWORD
	v_cndmask_b32_e64 v19, 0, -1, s1
	v_lshlrev_b16 v28, 8, v28
	v_or_b32_sdwa v56, v59, v56 dst_sel:DWORD dst_unused:UNUSED_PAD src0_sel:WORD_0 src1_sel:DWORD
	v_or_b32_sdwa v59, v47, v32 dst_sel:DWORD dst_unused:UNUSED_PAD src0_sel:BYTE_0 src1_sel:DWORD
	v_lshlrev_b16 v19, 8, v19
	s_waitcnt vmcnt(2)
	v_xor_b32_e32 v56, v20, v56
	v_or_b32_sdwa v57, v59, v57 dst_sel:DWORD dst_unused:UNUSED_PAD src0_sel:WORD_0 src1_sel:DWORD
	v_or_b32_sdwa v59, v58, v48 dst_sel:DWORD dst_unused:UNUSED_PAD src0_sel:BYTE_0 src1_sel:DWORD
	v_or_b32_sdwa v20, v36, v35 dst_sel:WORD_1 dst_unused:UNUSED_PAD src0_sel:BYTE_0 src1_sel:DWORD
	v_xor_b32_e32 v57, v21, v57
	v_or_b32_sdwa v21, v50, v49 dst_sel:DWORD dst_unused:UNUSED_PAD src0_sel:BYTE_0 src1_sel:DWORD
	v_or_b32_sdwa v20, v59, v20 dst_sel:DWORD dst_unused:UNUSED_PAD src0_sel:WORD_0 src1_sel:DWORD
	v_or_b32_sdwa v59, v37, v60 dst_sel:WORD_1 dst_unused:UNUSED_PAD src0_sel:BYTE_0 src1_sel:DWORD
	v_lshlrev_b16 v50, 8, v50
	s_waitcnt vmcnt(1)
	v_xor_b32_e32 v61, v22, v20
	v_or_b32_sdwa v21, v21, v59 dst_sel:DWORD dst_unused:UNUSED_PAD src0_sel:WORD_0 src1_sel:DWORD
	v_cndmask_b32_e64 v59, 0, -1, s0
	v_or_b32_sdwa v20, v42, v53 dst_sel:WORD_1 dst_unused:UNUSED_PAD src0_sel:BYTE_0 src1_sel:DWORD
	v_or_b32_sdwa v22, v41, v40 dst_sel:DWORD dst_unused:UNUSED_PAD src0_sel:BYTE_0 src1_sel:DWORD
	v_lshlrev_b16 v42, 8, v42
	v_xor_b32_e32 v62, v23, v21
	v_bfe_i32 v21, v51, 0, 1
	v_lshlrev_b16 v51, 8, v59
	v_or_b32_sdwa v20, v22, v20 dst_sel:DWORD dst_unused:UNUSED_PAD src0_sel:WORD_0 src1_sel:DWORD
	v_or_b32_sdwa v22, v21, v19 dst_sel:DWORD dst_unused:UNUSED_PAD src0_sel:BYTE_0 src1_sel:DWORD
	v_or_b32_sdwa v23, v39, v51 dst_sel:WORD_1 dst_unused:UNUSED_PAD src0_sel:BYTE_0 src1_sel:DWORD
	s_waitcnt vmcnt(0)
	v_xor_b32_e32 v59, v25, v20
	v_and_b32_e32 v20, 0xffffff00, v18
	v_lshlrev_b16 v21, 8, v21
	v_lshlrev_b16 v25, 8, v55
	v_or_b32_sdwa v22, v22, v23 dst_sel:DWORD dst_unused:UNUSED_PAD src0_sel:WORD_0 src1_sel:DWORD
	v_lshlrev_b16 v23, 8, v26
	v_sub_nc_i16 v20, v20, v43 clamp
	v_and_b32_e32 v43, 0xffffff00, v56
	v_lshlrev_b16 v26, 8, v41
	v_lshlrev_b16 v41, 8, v47
	;; [unrolled: 1-line block ×5, first 2 shown]
	v_xor_b32_e32 v58, v24, v22
	v_lshlrev_b16 v22, 8, v18
	v_sub_nc_i16 v29, v43, v29 clamp
	v_and_b32_e32 v43, 0xffffff00, v57
	v_and_b32_e32 v24, 0xffffff00, v55
	v_lshrrev_b32_e32 v18, 16, v18
	v_sub_nc_i16 v22, v22, v47 clamp
	v_and_b32_e32 v47, 0xffffff00, v62
	v_sub_nc_i16 v32, v43, v32 clamp
	v_and_b32_e32 v43, 0xffffff00, v61
	v_sub_nc_i16 v24, v24, v45 clamp
	v_lshlrev_b16 v45, 8, v56
	v_sub_nc_i16 v47, v47, v49 clamp
	v_and_b32_e32 v49, 0xffffff00, v58
	v_sub_nc_i16 v43, v43, v48 clamp
	v_lshlrev_b16 v48, 8, v62
	v_sub_nc_i16 v28, v45, v28 clamp
	v_lshlrev_b16 v45, 8, v57
	v_sub_nc_i16 v49, v49, v19 clamp
	v_and_b32_e32 v19, 0xffffff00, v59
	v_sub_nc_i16 v48, v48, v50 clamp
	v_lshlrev_b16 v50, 8, v58
	;; [unrolled: 6-line block ×3, first 2 shown]
	v_lshlrev_b16 v18, 8, v18
	v_sub_nc_i16 v25, v25, v52 clamp
	v_sub_nc_i16 v45, v45, v54 clamp
	v_perm_b32 v54, v22, v20, 0xc0c0105
	v_sub_nc_i16 v52, v21, v26 clamp
	v_sub_nc_i16 v44, v19, v44 clamp
	;; [unrolled: 1-line block ×3, first 2 shown]
	global_load_dwordx4 v[18:21], v[5:6], off offset:-16
	v_lshlrev_b16 v22, 8, v27
	v_lshrrev_b32_e32 v26, 16, v55
	v_lshrrev_b32_e32 v27, 16, v56
	v_lshlrev_b16 v23, 8, v31
	v_perm_b32 v55, v25, v24, 0xc0c0105
	v_perm_b32 v28, v28, v29, 0xc0c0105
	v_and_b32_e32 v24, 0xffffff00, v26
	v_lshlrev_b16 v25, 8, v26
	v_lshlrev_b16 v26, 8, v27
	v_perm_b32 v41, v41, v32, 0xc0c0105
	v_perm_b32 v43, v45, v43, 0xc0c0105
	v_sub_nc_i16 v31, v24, v46 clamp
	v_and_b32_e32 v24, 0xffffff00, v27
	v_sub_nc_i16 v56, v26, v23 clamp
	v_lshrrev_b32_e32 v26, 16, v57
	v_sub_nc_i16 v46, v25, v22 clamp
	v_mov_b32_e32 v57, 0
	v_sub_nc_i16 v29, v24, v30 clamp
	v_lshrrev_b32_e32 v30, 16, v61
	v_and_b32_e32 v27, 0xffffff00, v26
	v_lshlrev_b16 v26, 8, v26
	global_load_dwordx4 v[22:25], v[5:6], off
	v_perm_b32 v29, v56, v29, 0xc0c0105
	v_perm_b32 v47, v48, v47, 0xc0c0105
	v_sub_nc_i16 v32, v27, v33 clamp
	v_lshlrev_b16 v27, 8, v34
	v_lshlrev_b16 v34, 8, v36
	v_perm_b32 v49, v50, v49, 0xc0c0105
	v_mov_b32_e32 v61, 0
	v_perm_b32 v40, v52, v40, 0xc0c0105
	v_sub_nc_i16 v33, v26, v27 clamp
	v_and_b32_e32 v26, 0xffffff00, v30
	v_lshlrev_b16 v30, 8, v30
	v_lshlrev_b16 v39, 8, v39
	v_sub_nc_i16 v45, v26, v35 clamp
	v_sub_nc_i16 v36, v30, v34 clamp
	v_perm_b32 v34, v63, v44, 0xc0c0105
	v_perm_b32 v35, v46, v31, 0xc0c0105
	v_mad_u64_u32 v[26:27], null, v14, 36, v[2:3]
	v_mad_u64_u32 v[30:31], null, v15, 36, v[2:3]
	v_lshl_or_b32 v46, v34, 16, v54
	v_lshl_or_b32 v54, v35, 16, v55
	;; [unrolled: 1-line block ×3, first 2 shown]
	v_lshrrev_b32_e32 v28, 16, v62
	v_mad_u64_u32 v[34:35], null, v4, 36, v[2:3]
	v_mov_b32_e32 v44, 0
	v_perm_b32 v45, v36, v45, 0xc0c0105
	v_and_b32_e32 v29, 0xffffff00, v28
	v_lshlrev_b16 v28, 8, v28
	v_add_nc_u32_e32 v14, 32, v14
	v_add_nc_u32_e32 v4, 32, v4
	v_lshl_or_b32 v43, v45, 16, v43
	v_sub_nc_i16 v48, v29, v60 clamp
	v_lshlrev_b16 v29, 8, v37
	v_lshrrev_b32_e32 v37, 16, v58
	v_mov_b32_e32 v45, 0
	v_add_nc_u32_e32 v15, 32, v15
	global_load_dword v60, v[26:27], off offset:32
	v_sub_nc_i16 v58, v28, v29 clamp
	v_and_b32_e32 v28, 0xffffff00, v37
	v_lshlrev_b16 v37, 8, v37
	v_perm_b32 v48, v58, v48, 0xc0c0105
	v_sub_nc_i16 v50, v28, v51 clamp
	v_lshrrev_b32_e32 v51, 16, v59
	global_load_dword v58, v[34:35], off offset:32
	v_sub_nc_i16 v37, v37, v39 clamp
	v_perm_b32 v59, v33, v32, 0xc0c0105
	v_lshl_or_b32 v47, v48, 16, v47
	v_and_b32_e32 v52, 0xffffff00, v51
	v_lshlrev_b16 v51, 8, v51
	v_perm_b32 v50, v37, v50, 0xc0c0105
	v_mov_b32_e32 v48, 0
	v_lshl_or_b32 v41, v59, 16, v41
	v_sub_nc_i16 v52, v52, v53 clamp
	v_sub_nc_i16 v42, v51, v42 clamp
	global_load_dword v51, v[30:31], off offset:32
	v_lshl_or_b32 v49, v50, 16, v49
	v_mov_b32_e32 v50, 0
	v_perm_b32 v42, v42, v52, 0xc0c0105
	global_load_dword v52, v[5:6], off offset:16
	v_add_co_u32 v5, vcc_lo, 0x480, v5
	v_add_co_ci_u32_e64 v6, null, 0, v6, vcc_lo
	v_lshl_or_b32 v40, v42, 16, v40
	v_mov_b32_e32 v42, 0
	v_cmp_le_u32_e32 vcc_lo, s10, v10
	s_or_b32 s3, vcc_lo, s3
	s_waitcnt vmcnt(5)
	v_dot4c_i32_i8 v57, v46, v19
	v_cvt_f32_f16_e32 v56, v18
	v_dot4c_i32_i8 v57, v54, v20
	v_dot4c_i32_i8 v57, v55, v21
	s_clause 0x1
	global_load_dwordx4 v[18:21], v[26:27], off
	global_load_dwordx4 v[26:29], v[26:27], off offset:16
	s_waitcnt vmcnt(6)
	v_dot4c_i32_i8 v45, v43, v23
	v_dot4c_i32_i8 v57, v41, v22
	v_lshrrev_b32_e32 v23, 4, v17
	v_and_b32_e32 v17, 15, v17
	v_dot4c_i32_i8 v45, v47, v24
	v_dot4c_i32_i8 v45, v49, v25
	s_waitcnt vmcnt(2)
	v_dot4c_i32_i8 v45, v40, v52
	v_add_nc_u32_e32 v22, v45, v57
	s_waitcnt vmcnt(1)
	v_dot4c_i32_i8 v61, v46, v19
	v_cvt_f32_f16_e32 v39, v18
	v_dot4c_i32_i8 v61, v54, v20
	v_dot4c_i32_i8 v61, v55, v21
	global_load_dwordx4 v[18:21], v[30:31], off
	s_waitcnt vmcnt(1)
	v_dot4c_i32_i8 v50, v43, v27
	global_load_dwordx4 v[30:33], v[30:31], off offset:16
	v_dot4c_i32_i8 v61, v41, v26
	v_dot4c_i32_i8 v50, v47, v28
	v_mul_lo_u32 v24, v61, v17
	v_dot4c_i32_i8 v50, v49, v29
	v_dot4c_i32_i8 v50, v40, v60
	v_add_nc_u32_e32 v26, v50, v61
	v_mul_lo_u32 v25, v50, v23
	s_waitcnt vmcnt(1)
	v_dot4c_i32_i8 v44, v46, v19
	v_cvt_f32_f16_e32 v53, v18
	s_waitcnt vmcnt(0)
	v_dot4c_i32_i8 v42, v43, v31
	v_lshrrev_b32_e32 v31, 31, v22
	v_dot4c_i32_i8 v44, v54, v20
	v_dot4c_i32_i8 v42, v47, v32
	v_lshrrev_b32_e32 v32, 31, v26
	v_add_nc_u32_e32 v22, v22, v31
	v_dot4c_i32_i8 v44, v55, v21
	s_clause 0x1
	global_load_dwordx4 v[18:21], v[34:35], off
	global_load_dwordx4 v[34:37], v[34:35], off offset:16
	v_dot4c_i32_i8 v42, v49, v33
	v_add_nc_u32_e32 v26, v26, v32
	v_dot4c_i32_i8 v44, v41, v30
	v_ashrrev_i32_e32 v22, 1, v22
	v_dot4c_i32_i8 v42, v40, v51
	v_mul_lo_u32 v27, v44, v17
	v_add_nc_u32_e32 v28, v42, v44
	v_mul_lo_u32 v30, v42, v23
	v_lshrrev_b32_e32 v33, 31, v28
	v_add_nc_u32_e32 v28, v28, v33
	s_waitcnt vmcnt(1)
	v_dot4c_i32_i8 v48, v46, v19
	v_mov_b32_e32 v19, 0
	v_cvt_f32_f16_e32 v18, v18
	v_dot4c_i32_i8 v48, v54, v20
	s_waitcnt vmcnt(0)
	v_dot4c_i32_i8 v19, v43, v35
	v_mul_lo_u32 v20, v57, v17
	v_dot4c_i32_i8 v48, v55, v21
	v_dot4c_i32_i8 v19, v47, v36
	v_mul_lo_u32 v21, v45, v23
	v_dot4c_i32_i8 v48, v41, v34
	;; [unrolled: 3-line block ×3, first 2 shown]
	v_add3_u32 v20, v21, v20, v22
	v_add_nc_u32_e32 v29, v19, v48
	v_mul_lo_u32 v19, v19, v23
	v_ashrrev_i32_e32 v23, 1, v26
	v_ashrrev_i32_e32 v26, 1, v28
	v_lshrrev_b32_e32 v34, 31, v29
	v_add3_u32 v21, v25, v24, v23
	v_add3_u32 v22, v30, v27, v26
	v_ashrrev_i32_e32 v23, 31, v20
	v_add_nc_u32_e32 v29, v29, v34
	v_ashrrev_i32_e32 v24, 31, v21
	v_ashrrev_i32_e32 v25, 31, v22
	v_lshrrev_b32_e32 v23, 30, v23
	v_ashrrev_i32_e32 v28, 1, v29
	v_lshrrev_b32_e32 v24, 30, v24
	v_lshrrev_b32_e32 v25, 30, v25
	v_add_nc_u32_e32 v20, v20, v23
	v_add3_u32 v17, v19, v17, v28
	v_cvt_f32_f16_e32 v19, v38
	v_add_nc_u32_e32 v21, v21, v24
	v_add_nc_u32_e32 v22, v22, v25
	v_ashrrev_i32_e32 v20, 2, v20
	v_ashrrev_i32_e32 v26, 31, v17
	v_mul_f32_e32 v27, v19, v56
	v_ashrrev_i32_e32 v21, 2, v21
	v_ashrrev_i32_e32 v22, 2, v22
	v_mul_f32_e32 v28, v19, v39
	v_lshrrev_b32_e32 v26, 30, v26
	v_mul_f32_e32 v23, v19, v53
	v_mul_f32_e32 v18, v19, v18
	v_cvt_f32_i32_e32 v19, v20
	v_cvt_f32_i32_e32 v20, v21
	v_add_nc_u32_e32 v17, v17, v26
	v_cvt_f32_i32_e32 v21, v22
	v_fmac_f32_e32 v11, v27, v19
	v_fmac_f32_e32 v9, v28, v20
	v_ashrrev_i32_e32 v17, 2, v17
	v_fmac_f32_e32 v8, v23, v21
	v_cvt_f32_i32_e32 v17, v17
	v_fmac_f32_e32 v7, v18, v17
	s_andn2_b32 exec_lo, exec_lo, s3
	s_cbranch_execnz .LBB187_2
; %bb.3:
	s_or_b32 exec_lo, exec_lo, s3
.LBB187_4:
	s_or_b32 exec_lo, exec_lo, s9
	s_mov_b32 s1, 0
	; wave barrier
	buffer_gl0_inv
	s_mov_b32 s0, exec_lo
	v_cmpx_eq_u32_e32 0, v1
	s_cbranch_execz .LBB187_13
; %bb.5:
	v_mbcnt_lo_u32_b32 v5, -1, 0
	s_load_dwordx2 s[4:5], s[4:5], 0x38
	s_mul_i32 s0, s14, s7
	s_mul_i32 s3, s18, s8
	s_add_i32 s0, s0, s6
	v_xor_b32_e32 v1, 16, v5
	v_xor_b32_e32 v2, 8, v5
	s_add_i32 s0, s0, s3
	s_lshl_b64 s[0:1], s[0:1], 2
	v_cmp_gt_i32_e32 vcc_lo, 32, v1
	v_cndmask_b32_e32 v1, v5, v1, vcc_lo
	v_cmp_gt_i32_e32 vcc_lo, 32, v2
	v_lshlrev_b32_e32 v1, 2, v1
	v_cndmask_b32_e32 v2, v5, v2, vcc_lo
	s_waitcnt lgkmcnt(0)
	s_add_u32 s0, s4, s0
	s_addc_u32 s1, s5, s1
	ds_bpermute_b32 v3, v1, v11
	v_lshlrev_b32_e32 v2, 2, v2
	s_waitcnt lgkmcnt(0)
	v_add_f32_e32 v4, v11, v3
	v_xor_b32_e32 v3, 4, v5
	v_xor_b32_e32 v11, 1, v5
	ds_bpermute_b32 v6, v2, v4
	v_cmp_gt_i32_e32 vcc_lo, 32, v3
	v_cndmask_b32_e32 v3, v5, v3, vcc_lo
	v_lshlrev_b32_e32 v3, 2, v3
	s_waitcnt lgkmcnt(0)
	v_add_f32_e32 v6, v4, v6
	v_xor_b32_e32 v4, 2, v5
	ds_bpermute_b32 v10, v3, v6
	v_cmp_gt_i32_e32 vcc_lo, 32, v4
	v_cndmask_b32_e32 v4, v5, v4, vcc_lo
	v_cmp_gt_i32_e32 vcc_lo, 32, v11
	v_lshlrev_b32_e32 v4, 2, v4
	v_cndmask_b32_e32 v5, v5, v11, vcc_lo
	v_cmp_eq_u32_e32 vcc_lo, 0, v0
	v_lshlrev_b32_e32 v5, 2, v5
	s_waitcnt lgkmcnt(0)
	v_add_f32_e32 v6, v6, v10
	ds_bpermute_b32 v10, v4, v6
	s_waitcnt lgkmcnt(0)
	v_add_f32_e32 v6, v6, v10
	ds_bpermute_b32 v10, v5, v6
	s_and_saveexec_b32 s3, vcc_lo
	s_cbranch_execz .LBB187_7
; %bb.6:
	s_waitcnt lgkmcnt(0)
	v_add_f32_e32 v0, v6, v10
	v_mov_b32_e32 v6, 0
	global_store_dword v6, v0, s[0:1]
.LBB187_7:
	s_or_b32 exec_lo, exec_lo, s3
	ds_bpermute_b32 v0, v1, v9
	s_waitcnt lgkmcnt(0)
	v_add_f32_e32 v0, v9, v0
	ds_bpermute_b32 v6, v2, v0
	s_waitcnt lgkmcnt(0)
	v_add_f32_e32 v0, v0, v6
	ds_bpermute_b32 v6, v3, v0
	s_waitcnt lgkmcnt(0)
	v_add_f32_e32 v0, v0, v6
	ds_bpermute_b32 v6, v4, v0
	s_waitcnt lgkmcnt(0)
	v_add_f32_e32 v0, v0, v6
	ds_bpermute_b32 v6, v5, v0
	s_and_saveexec_b32 s4, vcc_lo
	s_cbranch_execz .LBB187_9
; %bb.8:
	s_mov_b32 s3, 0
	s_waitcnt lgkmcnt(0)
	v_add_f32_e32 v0, v0, v6
	s_lshl_b64 s[6:7], s[2:3], 2
	v_mov_b32_e32 v6, 0
	s_add_u32 s6, s0, s6
	s_addc_u32 s7, s1, s7
	global_store_dword v6, v0, s[6:7]
.LBB187_9:
	s_or_b32 exec_lo, exec_lo, s4
	ds_bpermute_b32 v0, v1, v8
	s_waitcnt lgkmcnt(0)
	v_add_f32_e32 v0, v8, v0
	ds_bpermute_b32 v6, v2, v0
	s_waitcnt lgkmcnt(0)
	v_add_f32_e32 v0, v0, v6
	;; [unrolled: 3-line block ×4, first 2 shown]
	ds_bpermute_b32 v6, v5, v0
	s_and_saveexec_b32 s3, vcc_lo
	s_cbranch_execz .LBB187_11
; %bb.10:
	s_lshl_b32 s4, s2, 1
	s_mov_b32 s5, 0
	s_waitcnt lgkmcnt(0)
	v_add_f32_e32 v0, v0, v6
	s_lshl_b64 s[4:5], s[4:5], 2
	v_mov_b32_e32 v6, 0
	s_add_u32 s4, s0, s4
	s_addc_u32 s5, s1, s5
	global_store_dword v6, v0, s[4:5]
.LBB187_11:
	s_or_b32 exec_lo, exec_lo, s3
	ds_bpermute_b32 v0, v1, v7
	s_waitcnt lgkmcnt(0)
	v_add_f32_e32 v0, v7, v0
	ds_bpermute_b32 v1, v2, v0
	s_waitcnt lgkmcnt(0)
	v_add_f32_e32 v0, v0, v1
	;; [unrolled: 3-line block ×4, first 2 shown]
	ds_bpermute_b32 v1, v5, v0
	s_and_b32 exec_lo, exec_lo, vcc_lo
	s_cbranch_execz .LBB187_13
; %bb.12:
	s_mul_i32 s2, s2, 3
	s_mov_b32 s3, 0
	s_waitcnt lgkmcnt(0)
	v_add_f32_e32 v0, v0, v1
	s_lshl_b64 s[2:3], s[2:3], 2
	v_mov_b32_e32 v1, 0
	s_add_u32 s0, s0, s2
	s_addc_u32 s1, s1, s3
	global_store_dword v1, v0, s[0:1]
.LBB187_13:
	s_endpgm
	.section	.rodata,"a",@progbits
	.p2align	6, 0x0
	.amdhsa_kernel _ZL13mul_mat_vec_qIL9ggml_type22ELi4ELb0ELb0EEvPKvS2_PKi31ggml_cuda_mm_fusion_args_devicePfj15HIP_vector_typeIjLj3EEjjjS8_jjjS8_jjjj
		.amdhsa_group_segment_fixed_size 0
		.amdhsa_private_segment_fixed_size 0
		.amdhsa_kernarg_size 144
		.amdhsa_user_sgpr_count 6
		.amdhsa_user_sgpr_private_segment_buffer 1
		.amdhsa_user_sgpr_dispatch_ptr 0
		.amdhsa_user_sgpr_queue_ptr 0
		.amdhsa_user_sgpr_kernarg_segment_ptr 1
		.amdhsa_user_sgpr_dispatch_id 0
		.amdhsa_user_sgpr_flat_scratch_init 0
		.amdhsa_user_sgpr_private_segment_size 0
		.amdhsa_wavefront_size32 1
		.amdhsa_uses_dynamic_stack 0
		.amdhsa_system_sgpr_private_segment_wavefront_offset 0
		.amdhsa_system_sgpr_workgroup_id_x 1
		.amdhsa_system_sgpr_workgroup_id_y 1
		.amdhsa_system_sgpr_workgroup_id_z 1
		.amdhsa_system_sgpr_workgroup_info 0
		.amdhsa_system_vgpr_workitem_id 1
		.amdhsa_next_free_vgpr 64
		.amdhsa_next_free_sgpr 28
		.amdhsa_reserve_vcc 1
		.amdhsa_reserve_flat_scratch 0
		.amdhsa_float_round_mode_32 0
		.amdhsa_float_round_mode_16_64 0
		.amdhsa_float_denorm_mode_32 3
		.amdhsa_float_denorm_mode_16_64 3
		.amdhsa_dx10_clamp 1
		.amdhsa_ieee_mode 1
		.amdhsa_fp16_overflow 0
		.amdhsa_workgroup_processor_mode 1
		.amdhsa_memory_ordered 1
		.amdhsa_forward_progress 1
		.amdhsa_shared_vgpr_count 0
		.amdhsa_exception_fp_ieee_invalid_op 0
		.amdhsa_exception_fp_denorm_src 0
		.amdhsa_exception_fp_ieee_div_zero 0
		.amdhsa_exception_fp_ieee_overflow 0
		.amdhsa_exception_fp_ieee_underflow 0
		.amdhsa_exception_fp_ieee_inexact 0
		.amdhsa_exception_int_div_zero 0
	.end_amdhsa_kernel
	.section	.text._ZL13mul_mat_vec_qIL9ggml_type22ELi4ELb0ELb0EEvPKvS2_PKi31ggml_cuda_mm_fusion_args_devicePfj15HIP_vector_typeIjLj3EEjjjS8_jjjS8_jjjj,"axG",@progbits,_ZL13mul_mat_vec_qIL9ggml_type22ELi4ELb0ELb0EEvPKvS2_PKi31ggml_cuda_mm_fusion_args_devicePfj15HIP_vector_typeIjLj3EEjjjS8_jjjS8_jjjj,comdat
.Lfunc_end187:
	.size	_ZL13mul_mat_vec_qIL9ggml_type22ELi4ELb0ELb0EEvPKvS2_PKi31ggml_cuda_mm_fusion_args_devicePfj15HIP_vector_typeIjLj3EEjjjS8_jjjS8_jjjj, .Lfunc_end187-_ZL13mul_mat_vec_qIL9ggml_type22ELi4ELb0ELb0EEvPKvS2_PKi31ggml_cuda_mm_fusion_args_devicePfj15HIP_vector_typeIjLj3EEjjjS8_jjjS8_jjjj
                                        ; -- End function
	.set _ZL13mul_mat_vec_qIL9ggml_type22ELi4ELb0ELb0EEvPKvS2_PKi31ggml_cuda_mm_fusion_args_devicePfj15HIP_vector_typeIjLj3EEjjjS8_jjjS8_jjjj.num_vgpr, 64
	.set _ZL13mul_mat_vec_qIL9ggml_type22ELi4ELb0ELb0EEvPKvS2_PKi31ggml_cuda_mm_fusion_args_devicePfj15HIP_vector_typeIjLj3EEjjjS8_jjjS8_jjjj.num_agpr, 0
	.set _ZL13mul_mat_vec_qIL9ggml_type22ELi4ELb0ELb0EEvPKvS2_PKi31ggml_cuda_mm_fusion_args_devicePfj15HIP_vector_typeIjLj3EEjjjS8_jjjS8_jjjj.numbered_sgpr, 28
	.set _ZL13mul_mat_vec_qIL9ggml_type22ELi4ELb0ELb0EEvPKvS2_PKi31ggml_cuda_mm_fusion_args_devicePfj15HIP_vector_typeIjLj3EEjjjS8_jjjS8_jjjj.num_named_barrier, 0
	.set _ZL13mul_mat_vec_qIL9ggml_type22ELi4ELb0ELb0EEvPKvS2_PKi31ggml_cuda_mm_fusion_args_devicePfj15HIP_vector_typeIjLj3EEjjjS8_jjjS8_jjjj.private_seg_size, 0
	.set _ZL13mul_mat_vec_qIL9ggml_type22ELi4ELb0ELb0EEvPKvS2_PKi31ggml_cuda_mm_fusion_args_devicePfj15HIP_vector_typeIjLj3EEjjjS8_jjjS8_jjjj.uses_vcc, 1
	.set _ZL13mul_mat_vec_qIL9ggml_type22ELi4ELb0ELb0EEvPKvS2_PKi31ggml_cuda_mm_fusion_args_devicePfj15HIP_vector_typeIjLj3EEjjjS8_jjjS8_jjjj.uses_flat_scratch, 0
	.set _ZL13mul_mat_vec_qIL9ggml_type22ELi4ELb0ELb0EEvPKvS2_PKi31ggml_cuda_mm_fusion_args_devicePfj15HIP_vector_typeIjLj3EEjjjS8_jjjS8_jjjj.has_dyn_sized_stack, 0
	.set _ZL13mul_mat_vec_qIL9ggml_type22ELi4ELb0ELb0EEvPKvS2_PKi31ggml_cuda_mm_fusion_args_devicePfj15HIP_vector_typeIjLj3EEjjjS8_jjjS8_jjjj.has_recursion, 0
	.set _ZL13mul_mat_vec_qIL9ggml_type22ELi4ELb0ELb0EEvPKvS2_PKi31ggml_cuda_mm_fusion_args_devicePfj15HIP_vector_typeIjLj3EEjjjS8_jjjS8_jjjj.has_indirect_call, 0
	.section	.AMDGPU.csdata,"",@progbits
; Kernel info:
; codeLenInByte = 3844
; TotalNumSgprs: 30
; NumVgprs: 64
; ScratchSize: 0
; MemoryBound: 0
; FloatMode: 240
; IeeeMode: 1
; LDSByteSize: 0 bytes/workgroup (compile time only)
; SGPRBlocks: 0
; VGPRBlocks: 7
; NumSGPRsForWavesPerEU: 30
; NumVGPRsForWavesPerEU: 64
; Occupancy: 16
; WaveLimiterHint : 0
; COMPUTE_PGM_RSRC2:SCRATCH_EN: 0
; COMPUTE_PGM_RSRC2:USER_SGPR: 6
; COMPUTE_PGM_RSRC2:TRAP_HANDLER: 0
; COMPUTE_PGM_RSRC2:TGID_X_EN: 1
; COMPUTE_PGM_RSRC2:TGID_Y_EN: 1
; COMPUTE_PGM_RSRC2:TGID_Z_EN: 1
; COMPUTE_PGM_RSRC2:TIDIG_COMP_CNT: 1
	.section	.text._ZL13mul_mat_vec_qIL9ggml_type22ELi5ELb0ELb0EEvPKvS2_PKi31ggml_cuda_mm_fusion_args_devicePfj15HIP_vector_typeIjLj3EEjjjS8_jjjS8_jjjj,"axG",@progbits,_ZL13mul_mat_vec_qIL9ggml_type22ELi5ELb0ELb0EEvPKvS2_PKi31ggml_cuda_mm_fusion_args_devicePfj15HIP_vector_typeIjLj3EEjjjS8_jjjS8_jjjj,comdat
	.globl	_ZL13mul_mat_vec_qIL9ggml_type22ELi5ELb0ELb0EEvPKvS2_PKi31ggml_cuda_mm_fusion_args_devicePfj15HIP_vector_typeIjLj3EEjjjS8_jjjS8_jjjj ; -- Begin function _ZL13mul_mat_vec_qIL9ggml_type22ELi5ELb0ELb0EEvPKvS2_PKi31ggml_cuda_mm_fusion_args_devicePfj15HIP_vector_typeIjLj3EEjjjS8_jjjS8_jjjj
	.p2align	8
	.type	_ZL13mul_mat_vec_qIL9ggml_type22ELi5ELb0ELb0EEvPKvS2_PKi31ggml_cuda_mm_fusion_args_devicePfj15HIP_vector_typeIjLj3EEjjjS8_jjjS8_jjjj,@function
_ZL13mul_mat_vec_qIL9ggml_type22ELi5ELb0ELb0EEvPKvS2_PKi31ggml_cuda_mm_fusion_args_devicePfj15HIP_vector_typeIjLj3EEjjjS8_jjjS8_jjjj: ; @_ZL13mul_mat_vec_qIL9ggml_type22ELi5ELb0ELb0EEvPKvS2_PKi31ggml_cuda_mm_fusion_args_devicePfj15HIP_vector_typeIjLj3EEjjjS8_jjjS8_jjjj
; %bb.0:
	s_clause 0x5
	s_load_dword s9, s[4:5], 0x40
	s_load_dwordx4 s[0:3], s[4:5], 0x50
	s_load_dword s11, s[4:5], 0x60
	s_load_dwordx4 s[12:15], s[4:5], 0x68
	;; [unrolled: 2-line block ×3, first 2 shown]
	v_lshl_or_b32 v2, v1, 5, v0
	v_mov_b32_e32 v7, 0
	v_mov_b32_e32 v8, 0
	;; [unrolled: 1-line block ×4, first 2 shown]
	v_lshrrev_b32_e32 v11, 3, v2
	v_mov_b32_e32 v12, 0
	s_waitcnt lgkmcnt(0)
	s_lshr_b32 s10, s9, 8
	s_mov_b32 s9, exec_lo
	v_cmpx_gt_u32_e64 s10, v11
	s_cbranch_execz .LBB188_4
; %bb.1:
	s_mul_i32 s13, s13, s7
	s_load_dwordx4 s[20:23], s[4:5], 0x0
	s_mul_hi_u32 s27, s13, 36
	s_mul_i32 s26, s13, 36
	s_mul_i32 s17, s17, s8
	v_mad_u64_u32 v[2:3], null, 0x120, v11, s[26:27]
	v_and_b32_e32 v13, 7, v0
	s_mul_hi_u32 s3, s3, s7
	s_mul_hi_u32 s15, s15, s8
	v_lshlrev_b32_e32 v6, 3, v11
	s_add_i32 s3, s7, s3
	s_add_i32 s15, s8, s15
	v_mad_u64_u32 v[2:3], null, s17, 36, v[2:3]
	s_mul_i32 s25, s17, 36
	s_lshr_b32 s3, s3, s11
	s_mul_hi_u32 s19, s17, 36
	s_lshr_b32 s11, s15, s24
	s_mul_i32 s3, s3, s12
	v_lshlrev_b32_e32 v9, 1, v13
	v_mad_u64_u32 v[7:8], null, v13, 36, v[2:3]
	s_waitcnt lgkmcnt(0)
	s_add_u32 s12, s22, s25
	s_addc_u32 s13, s23, s19
	s_add_u32 s12, s12, s26
	s_addc_u32 s13, s13, s27
	s_mul_i32 s0, s0, s6
	v_mad_u64_u32 v[2:3], null, v13, 36, s[12:13]
	v_mad_u64_u32 v[4:5], null, s1, 3, v[6:7]
	v_add_co_u32 v5, vcc_lo, s22, v7
	v_add_co_ci_u32_e64 v7, null, s23, v8, vcc_lo
	v_mov_b32_e32 v14, 0
	v_add_co_u32 v5, vcc_lo, v5, 16
	v_add_nc_u32_e32 v15, s1, v6
	v_lshl_add_u32 v16, s1, 2, v6
	v_lshl_add_u32 v17, s1, 1, v6
	v_add_co_ci_u32_e64 v6, null, 0, v7, vcc_lo
	v_lshlrev_b32_e32 v18, 1, v9
	v_mov_b32_e32 v7, 0
	v_mov_b32_e32 v8, 0
	;; [unrolled: 1-line block ×5, first 2 shown]
	s_mul_i32 s11, s11, s16
	s_add_i32 s3, s3, s0
	s_add_i32 s11, s11, s3
	s_mov_b32 s3, 0
.LBB188_2:                              ; =>This Inner Loop Header: Depth=1
	v_add_nc_u32_e32 v19, s11, v11
	s_getpc_b64 s[0:1]
	s_add_u32 s0, s0, _ZL9iq2s_grid@rel32@lo+4
	s_addc_u32 s1, s1, _ZL9iq2s_grid@rel32@hi+12
	v_add_nc_u32_e32 v11, 4, v11
	v_mad_i64_i32 v[30:31], null, 0x52, v19, s[20:21]
	v_add_co_u32 v19, vcc_lo, v30, v18
	v_add_co_ci_u32_e64 v20, null, 0, v31, vcc_lo
	v_add_co_u32 v21, vcc_lo, v30, v13
	v_add_co_ci_u32_e64 v22, null, 0, v31, vcc_lo
	s_clause 0x3
	global_load_dword v24, v[19:20], off offset:2
	global_load_ubyte v27, v[21:22], off offset:66
	global_load_dword v28, v[19:20], off offset:34
	global_load_ubyte v21, v[21:22], off offset:74
	s_waitcnt vmcnt(3)
	v_and_b32_e32 v19, 0xff, v24
	v_lshrrev_b32_e32 v26, 24, v24
	s_waitcnt vmcnt(2)
	v_lshlrev_b32_e32 v20, 8, v27
	s_waitcnt vmcnt(1)
	v_lshlrev_b32_e32 v22, 21, v28
	v_lshrrev_b32_e32 v25, 16, v28
	v_and_or_b32 v19, 0x300, v20, v19
	v_and_b32_e32 v20, 0xff, v28
	v_lshlrev_b32_e32 v19, 3, v19
	v_lshl_or_b32 v22, v20, 7, v22
	v_and_b32_e32 v23, 0x1800180, v22
	v_bfe_u32 v22, v22, 24, 1
	v_cmp_ne_u16_sdwa s12, v23, v14 src0_sel:BYTE_1 src1_sel:DWORD
	v_cmp_ne_u16_e32 vcc_lo, 0, v22
	v_lshrrev_b16 v22, 7, v23
	v_lshrrev_b32_e32 v23, 2, v28
	v_cndmask_b32_e64 v29, 0, -1, s12
	v_cndmask_b32_e64 v33, 0, -1, vcc_lo
	v_bfe_i32 v22, v22, 0, 1
	v_bfe_i32 v23, v23, 0, 1
	v_lshlrev_b16 v29, 8, v29
	v_lshlrev_b16 v33, 8, v33
	v_or_b32_sdwa v32, v22, v29 dst_sel:DWORD dst_unused:UNUSED_PAD src0_sel:BYTE_0 src1_sel:DWORD
	v_or_b32_sdwa v34, v23, v33 dst_sel:WORD_1 dst_unused:UNUSED_PAD src0_sel:BYTE_0 src1_sel:DWORD
	v_lshlrev_b16 v22, 8, v22
	v_lshlrev_b16 v23, 8, v23
	v_or_b32_sdwa v32, v32, v34 dst_sel:DWORD dst_unused:UNUSED_PAD src0_sel:WORD_0 src1_sel:DWORD
	v_lshlrev_b32_e32 v34, 17, v28
	v_lshl_or_b32 v20, v20, 3, v34
	v_and_b32_e32 v34, 0x1800180, v20
	v_bfe_u32 v20, v20, 24, 1
	v_cmp_ne_u16_sdwa s12, v34, v14 src0_sel:BYTE_1 src1_sel:DWORD
	v_cmp_ne_u16_e32 vcc_lo, 0, v20
	v_lshrrev_b16 v20, 7, v34
	v_lshrrev_b32_e32 v34, 6, v28
	v_cndmask_b32_e64 v37, 0, -1, vcc_lo
	v_bfe_i32 v35, v20, 0, 1
	v_cndmask_b32_e64 v20, 0, -1, s12
	v_bfe_i32 v34, v34, 0, 1
	v_lshlrev_b16 v37, 8, v37
	v_lshlrev_b16 v36, 8, v20
	v_or_b32_sdwa v38, v34, v37 dst_sel:WORD_1 dst_unused:UNUSED_PAD src0_sel:BYTE_0 src1_sel:DWORD
	v_or_b32_sdwa v20, v35, v36 dst_sel:DWORD dst_unused:UNUSED_PAD src0_sel:BYTE_0 src1_sel:DWORD
	v_or_b32_sdwa v38, v20, v38 dst_sel:DWORD dst_unused:UNUSED_PAD src0_sel:WORD_0 src1_sel:DWORD
	global_load_dwordx2 v[19:20], v19, s[0:1]
	s_waitcnt vmcnt(0)
	v_xor_b32_e32 v19, v19, v32
	v_xor_b32_e32 v20, v20, v38
	v_lshrrev_b32_e32 v32, 16, v19
	v_and_b32_e32 v39, 0xffffff00, v19
	v_lshlrev_b16 v19, 8, v19
	v_sub_nc_i16 v29, v39, v29 clamp
	v_sub_nc_i16 v19, v19, v22 clamp
	v_and_b32_e32 v22, 0xffffff00, v32
	v_perm_b32 v19, v19, v29, 0xc0c0105
	v_lshlrev_b16 v29, 8, v32
	v_sub_nc_i16 v22, v22, v33 clamp
	v_lshrrev_b32_e32 v32, 10, v28
	v_sub_nc_i16 v23, v29, v23 clamp
	v_lshlrev_b16 v29, 8, v35
	v_bfe_i32 v32, v32, 0, 1
	v_perm_b32 v22, v23, v22, 0xc0c0105
	v_and_b32_e32 v23, 0xffffff00, v20
	v_lshl_or_b32 v19, v22, 16, v19
	v_lshrrev_b32_e32 v22, 16, v20
	v_lshlrev_b16 v20, 8, v20
	v_sub_nc_i16 v23, v23, v36 clamp
	v_lshrrev_b32_e32 v36, 15, v28
	v_sub_nc_i16 v20, v20, v29 clamp
	v_lshlrev_b16 v29, 8, v34
	v_bfe_i32 v36, v36, 0, 1
	v_perm_b32 v20, v20, v23, 0xc0c0105
	v_and_b32_e32 v23, 0xffffff00, v22
	v_lshlrev_b16 v22, 8, v22
	v_lshlrev_b16 v36, 8, v36
	v_sub_nc_i16 v23, v23, v37 clamp
	v_sub_nc_i16 v22, v22, v29 clamp
	v_lshrrev_b32_e32 v29, 11, v28
	v_lshrrev_b32_e32 v37, 14, v28
	v_perm_b32 v22, v22, v23, 0xc0c0105
	v_lshlrev_b32_e32 v23, 6, v27
	v_bfe_i32 v29, v29, 0, 1
	v_bfe_i32 v37, v37, 0, 1
	v_lshl_or_b32 v20, v22, 16, v20
	v_bfe_u32 v22, v24, 8, 8
	v_lshlrev_b16 v29, 8, v29
	v_or_b32_sdwa v40, v37, v36 dst_sel:WORD_1 dst_unused:UNUSED_PAD src0_sel:BYTE_0 src1_sel:DWORD
	v_bfe_u32 v24, v24, 16, 8
	v_and_or_b32 v22, 0x300, v23, v22
	v_lshrrev_b32_e32 v23, 1, v28
	v_or_b32_sdwa v35, v32, v29 dst_sel:WORD_1 dst_unused:UNUSED_PAD src0_sel:BYTE_0 src1_sel:DWORD
	v_lshlrev_b16 v32, 8, v32
	v_lshlrev_b32_e32 v22, 3, v22
	v_and_b32_e32 v23, 0x180, v23
	v_cmp_ne_u16_sdwa s12, v23, v14 src0_sel:BYTE_1 src1_sel:DWORD
	v_lshrrev_b16 v23, 7, v23
	v_bfe_i32 v33, v23, 0, 1
	v_cndmask_b32_e64 v23, 0, -1, s12
	v_lshlrev_b16 v34, 8, v23
	v_or_b32_sdwa v23, v33, v34 dst_sel:DWORD dst_unused:UNUSED_PAD src0_sel:BYTE_0 src1_sel:DWORD
	v_lshlrev_b16 v33, 8, v33
	v_or_b32_sdwa v35, v23, v35 dst_sel:DWORD dst_unused:UNUSED_PAD src0_sel:WORD_0 src1_sel:DWORD
	v_lshrrev_b32_e32 v23, 5, v28
	v_and_b32_e32 v23, 0x180, v23
	v_cmp_ne_u16_sdwa s12, v23, v14 src0_sel:BYTE_1 src1_sel:DWORD
	v_lshrrev_b16 v23, 7, v23
	v_bfe_i32 v38, v23, 0, 1
	v_cndmask_b32_e64 v23, 0, -1, s12
	v_lshlrev_b16 v39, 8, v23
	v_or_b32_sdwa v23, v38, v39 dst_sel:DWORD dst_unused:UNUSED_PAD src0_sel:BYTE_0 src1_sel:DWORD
	v_or_b32_sdwa v40, v23, v40 dst_sel:DWORD dst_unused:UNUSED_PAD src0_sel:WORD_0 src1_sel:DWORD
	global_load_dwordx2 v[22:23], v22, s[0:1]
	s_waitcnt vmcnt(0)
	v_xor_b32_e32 v22, v22, v35
	v_xor_b32_e32 v23, v23, v40
	v_lshrrev_b32_e32 v35, 16, v22
	v_and_b32_e32 v41, 0xffffff00, v22
	v_lshlrev_b16 v22, 8, v22
	v_sub_nc_i16 v34, v41, v34 clamp
	v_sub_nc_i16 v22, v22, v33 clamp
	v_and_b32_e32 v33, 0xffffff00, v35
	v_perm_b32 v22, v22, v34, 0xc0c0105
	v_sub_nc_i16 v29, v33, v29 clamp
	v_lshlrev_b16 v33, 8, v35
	v_sub_nc_i16 v32, v33, v32 clamp
	v_lshlrev_b16 v33, 8, v38
	v_perm_b32 v29, v32, v29, 0xc0c0105
	v_and_b32_e32 v32, 0xffffff00, v23
	v_lshl_or_b32 v22, v29, 16, v22
	v_lshrrev_b32_e32 v29, 16, v23
	v_lshlrev_b16 v23, 8, v23
	v_sub_nc_i16 v32, v32, v39 clamp
	v_sub_nc_i16 v23, v23, v33 clamp
	v_lshlrev_b16 v33, 8, v37
	v_perm_b32 v23, v23, v32, 0xc0c0105
	v_and_b32_e32 v32, 0xffffff00, v29
	v_lshlrev_b16 v29, 8, v29
	v_sub_nc_i16 v32, v32, v36 clamp
	v_sub_nc_i16 v29, v29, v33 clamp
	v_perm_b32 v29, v29, v32, 0xc0c0105
	v_lshl_or_b32 v23, v29, 16, v23
	v_lshlrev_b32_e32 v29, 4, v27
	v_lshlrev_b32_e32 v27, 2, v27
	v_and_or_b32 v24, 0x300, v29, v24
	v_lshrrev_b32_e32 v29, 9, v28
	v_and_or_b32 v26, 0x300, v27, v26
	v_lshrrev_b32_e32 v27, 17, v28
	v_lshlrev_b32_e32 v24, 3, v24
	v_lshl_or_b32 v29, v25, 21, v29
	v_lshlrev_b32_e32 v26, 3, v26
	v_and_b32_e32 v32, 0x1800180, v29
	v_bfe_u32 v29, v29, 24, 1
	v_cmp_ne_u16_sdwa s12, v32, v14 src0_sel:BYTE_1 src1_sel:DWORD
	v_cmp_ne_u16_e32 vcc_lo, 0, v29
	v_lshrrev_b16 v29, 7, v32
	v_lshrrev_b32_e32 v32, 18, v28
	v_cndmask_b32_e64 v33, 0, -1, s12
	v_cndmask_b32_e64 v35, 0, -1, vcc_lo
	v_bfe_i32 v29, v29, 0, 1
	v_bfe_i32 v32, v32, 0, 1
	v_lshlrev_b16 v33, 8, v33
	v_lshlrev_b16 v35, 8, v35
	v_or_b32_sdwa v34, v29, v33 dst_sel:DWORD dst_unused:UNUSED_PAD src0_sel:BYTE_0 src1_sel:DWORD
	v_or_b32_sdwa v36, v32, v35 dst_sel:WORD_1 dst_unused:UNUSED_PAD src0_sel:BYTE_0 src1_sel:DWORD
	v_lshlrev_b16 v29, 8, v29
	v_lshlrev_b16 v32, 8, v32
	v_or_b32_sdwa v34, v34, v36 dst_sel:DWORD dst_unused:UNUSED_PAD src0_sel:WORD_0 src1_sel:DWORD
	v_lshrrev_b32_e32 v36, 13, v28
	v_lshl_or_b32 v25, v25, 17, v36
	v_and_b32_e32 v36, 0x1800180, v25
	v_bfe_u32 v25, v25, 24, 1
	v_cmp_ne_u16_sdwa s12, v36, v14 src0_sel:BYTE_1 src1_sel:DWORD
	v_cmp_ne_u16_e32 vcc_lo, 0, v25
	v_lshrrev_b16 v25, 7, v36
	v_lshrrev_b32_e32 v36, 22, v28
	v_cndmask_b32_e64 v39, 0, -1, vcc_lo
	v_bfe_i32 v37, v25, 0, 1
	v_cndmask_b32_e64 v25, 0, -1, s12
	v_bfe_i32 v36, v36, 0, 1
	v_lshlrev_b16 v39, 8, v39
	v_lshlrev_b16 v38, 8, v25
	v_or_b32_sdwa v40, v36, v39 dst_sel:WORD_1 dst_unused:UNUSED_PAD src0_sel:BYTE_0 src1_sel:DWORD
	v_or_b32_sdwa v25, v37, v38 dst_sel:DWORD dst_unused:UNUSED_PAD src0_sel:BYTE_0 src1_sel:DWORD
	v_or_b32_sdwa v40, v25, v40 dst_sel:DWORD dst_unused:UNUSED_PAD src0_sel:WORD_0 src1_sel:DWORD
	global_load_dwordx2 v[24:25], v24, s[0:1]
	s_waitcnt vmcnt(0)
	v_xor_b32_e32 v24, v24, v34
	v_xor_b32_e32 v25, v25, v40
	v_lshrrev_b32_e32 v34, 16, v24
	v_and_b32_e32 v41, 0xffffff00, v24
	v_lshlrev_b16 v24, 8, v24
	v_sub_nc_i16 v33, v41, v33 clamp
	v_sub_nc_i16 v24, v24, v29 clamp
	v_and_b32_e32 v29, 0xffffff00, v34
	v_perm_b32 v24, v24, v33, 0xc0c0105
	v_lshlrev_b16 v33, 8, v34
	v_sub_nc_i16 v29, v29, v35 clamp
	v_sub_nc_i16 v32, v33, v32 clamp
	v_lshlrev_b16 v33, 8, v37
	v_lshrrev_b32_e32 v37, 31, v28
	v_perm_b32 v29, v32, v29, 0xc0c0105
	v_and_b32_e32 v32, 0xffffff00, v25
	v_lshl_or_b32 v24, v29, 16, v24
	v_lshrrev_b32_e32 v29, 16, v25
	v_lshlrev_b16 v25, 8, v25
	v_sub_nc_i16 v32, v32, v38 clamp
	v_sub_nc_i16 v25, v25, v33 clamp
	v_lshlrev_b16 v33, 8, v36
	v_perm_b32 v25, v25, v32, 0xc0c0105
	v_and_b32_e32 v32, 0xffffff00, v29
	v_lshlrev_b16 v29, 8, v29
	v_sub_nc_i16 v32, v32, v39 clamp
	v_sub_nc_i16 v29, v29, v33 clamp
	v_perm_b32 v29, v29, v32, 0xc0c0105
	v_lshl_or_b32 v25, v29, 16, v25
	v_lshrrev_b32_e32 v29, 24, v28
	v_lshl_or_b32 v27, v29, 21, v27
	v_and_b32_e32 v29, 0x1800180, v27
	v_bfe_u32 v27, v27, 24, 1
	v_cmp_ne_u16_sdwa s12, v29, v14 src0_sel:BYTE_1 src1_sel:DWORD
	v_cmp_ne_u16_e32 vcc_lo, 0, v27
	v_lshrrev_b16 v27, 7, v29
	v_lshrrev_b32_e32 v29, 26, v28
	v_cndmask_b32_e64 v34, 0, -1, vcc_lo
	v_bfe_i32 v32, v27, 0, 1
	v_cndmask_b32_e64 v27, 0, -1, s12
	v_bfe_i32 v29, v29, 0, 1
	v_cmp_ne_u16_e32 vcc_lo, 0, v37
	v_lshlrev_b16 v34, 8, v34
	v_lshlrev_b16 v33, 8, v27
	v_cndmask_b32_e64 v38, 0, -1, vcc_lo
	v_or_b32_sdwa v35, v29, v34 dst_sel:WORD_1 dst_unused:UNUSED_PAD src0_sel:BYTE_0 src1_sel:DWORD
	v_lshlrev_b16 v29, 8, v29
	v_or_b32_sdwa v27, v32, v33 dst_sel:DWORD dst_unused:UNUSED_PAD src0_sel:BYTE_0 src1_sel:DWORD
	v_lshlrev_b16 v32, 8, v32
	v_lshlrev_b16 v38, 8, v38
	v_or_b32_sdwa v35, v27, v35 dst_sel:DWORD dst_unused:UNUSED_PAD src0_sel:WORD_0 src1_sel:DWORD
	v_lshrrev_b32_e32 v27, 21, v28
	v_lshrrev_b32_e32 v28, 30, v28
	v_lshrrev_b16 v36, 8, v27
	v_lshrrev_b16 v27, 7, v27
	v_bfe_i32 v28, v28, 0, 1
	v_bfe_i32 v36, v36, 0, 1
	;; [unrolled: 1-line block ×3, first 2 shown]
	v_or_b32_sdwa v39, v28, v38 dst_sel:WORD_1 dst_unused:UNUSED_PAD src0_sel:BYTE_0 src1_sel:DWORD
	v_lshlrev_b16 v28, 8, v28
	v_lshlrev_b16 v36, 8, v36
	v_or_b32_sdwa v27, v37, v36 dst_sel:DWORD dst_unused:UNUSED_PAD src0_sel:BYTE_0 src1_sel:DWORD
	v_or_b32_sdwa v39, v27, v39 dst_sel:DWORD dst_unused:UNUSED_PAD src0_sel:WORD_0 src1_sel:DWORD
	global_load_dwordx2 v[26:27], v26, s[0:1]
	s_waitcnt vmcnt(0)
	v_xor_b32_e32 v26, v26, v35
	v_xor_b32_e32 v27, v27, v39
	v_mov_b32_e32 v39, 0
	v_lshrrev_b32_e32 v35, 16, v26
	v_and_b32_e32 v40, 0xffffff00, v26
	v_lshlrev_b16 v26, 8, v26
	v_sub_nc_i16 v33, v40, v33 clamp
	v_sub_nc_i16 v26, v26, v32 clamp
	v_and_b32_e32 v32, 0xffffff00, v35
	v_perm_b32 v26, v26, v33, 0xc0c0105
	v_lshlrev_b16 v33, 8, v35
	v_sub_nc_i16 v32, v32, v34 clamp
	v_sub_nc_i16 v29, v33, v29 clamp
	v_lshlrev_b16 v33, 8, v37
	v_perm_b32 v29, v29, v32, 0xc0c0105
	v_and_b32_e32 v32, 0xffffff00, v27
	v_lshl_or_b32 v26, v29, 16, v26
	v_lshrrev_b32_e32 v29, 16, v27
	v_lshlrev_b16 v27, 8, v27
	v_sub_nc_i16 v32, v32, v36 clamp
	v_sub_nc_i16 v27, v27, v33 clamp
	v_perm_b32 v27, v27, v32, 0xc0c0105
	v_and_b32_e32 v32, 0xffffff00, v29
	v_lshlrev_b16 v29, 8, v29
	v_sub_nc_i16 v32, v32, v38 clamp
	v_sub_nc_i16 v28, v29, v28 clamp
	v_and_b32_e32 v29, 15, v21
	v_perm_b32 v28, v28, v32, 0xc0c0105
	v_lshl_or_b32 v28, v28, 16, v27
	v_lshrrev_b32_e32 v27, 4, v21
	global_load_ushort v21, v[30:31], off
	s_clause 0x2
	global_load_dwordx4 v[30:33], v[5:6], off offset:-16
	global_load_dword v38, v[5:6], off offset:16
	global_load_dwordx4 v[34:37], v[5:6], off
	v_add_co_u32 v5, vcc_lo, 0x480, v5
	v_add_co_ci_u32_e64 v6, null, 0, v6, vcc_lo
	v_cmp_le_u32_e32 vcc_lo, s10, v11
	s_or_b32 s3, vcc_lo, s3
	s_waitcnt vmcnt(2)
	v_dot4c_i32_i8 v39, v19, v31
	v_mov_b32_e32 v31, 0
	v_cvt_f32_f16_e32 v21, v21
	v_cvt_f32_f16_e32 v30, v30
	v_dot4c_i32_i8 v39, v20, v32
	s_waitcnt vmcnt(0)
	v_dot4c_i32_i8 v31, v24, v35
	v_mul_f32_e32 v30, v21, v30
	v_dot4c_i32_i8 v39, v22, v33
	v_dot4c_i32_i8 v31, v25, v36
	v_dot4c_i32_i8 v39, v23, v34
	v_dot4c_i32_i8 v31, v26, v37
	v_mul_lo_u32 v32, v39, v29
	v_dot4c_i32_i8 v31, v28, v38
	v_mul_lo_u32 v33, v31, v27
	v_add_nc_u32_e32 v31, v31, v39
	v_mov_b32_e32 v39, 0
	v_lshrrev_b32_e32 v34, 31, v31
	v_add_nc_u32_e32 v31, v31, v34
	v_mad_u64_u32 v[34:35], null, v15, 36, v[2:3]
	v_add_nc_u32_e32 v15, 32, v15
	v_ashrrev_i32_e32 v31, 1, v31
	v_add3_u32 v31, v33, v32, v31
	v_ashrrev_i32_e32 v32, 31, v31
	v_lshrrev_b32_e32 v32, 30, v32
	v_add_nc_u32_e32 v31, v31, v32
	v_ashrrev_i32_e32 v31, 2, v31
	v_cvt_f32_i32_e32 v31, v31
	v_fmac_f32_e32 v12, v30, v31
	s_clause 0x2
	global_load_dwordx4 v[30:33], v[34:35], off
	global_load_dword v38, v[34:35], off offset:32
	global_load_dwordx4 v[34:37], v[34:35], off offset:16
	s_waitcnt vmcnt(2)
	v_dot4c_i32_i8 v39, v19, v31
	v_mov_b32_e32 v31, 0
	v_cvt_f32_f16_e32 v30, v30
	v_dot4c_i32_i8 v39, v20, v32
	s_waitcnt vmcnt(0)
	v_dot4c_i32_i8 v31, v24, v35
	v_mul_f32_e32 v30, v21, v30
	v_dot4c_i32_i8 v39, v22, v33
	v_dot4c_i32_i8 v31, v25, v36
	v_dot4c_i32_i8 v39, v23, v34
	v_dot4c_i32_i8 v31, v26, v37
	v_mul_lo_u32 v32, v39, v29
	v_dot4c_i32_i8 v31, v28, v38
	v_mul_lo_u32 v33, v31, v27
	v_add_nc_u32_e32 v31, v31, v39
	v_mov_b32_e32 v39, 0
	v_lshrrev_b32_e32 v34, 31, v31
	v_add_nc_u32_e32 v31, v31, v34
	v_mad_u64_u32 v[34:35], null, v17, 36, v[2:3]
	v_add_nc_u32_e32 v17, 32, v17
	v_ashrrev_i32_e32 v31, 1, v31
	v_add3_u32 v31, v33, v32, v31
	v_ashrrev_i32_e32 v32, 31, v31
	v_lshrrev_b32_e32 v32, 30, v32
	v_add_nc_u32_e32 v31, v31, v32
	v_ashrrev_i32_e32 v31, 2, v31
	v_cvt_f32_i32_e32 v31, v31
	v_fmac_f32_e32 v10, v30, v31
	s_clause 0x2
	global_load_dwordx4 v[30:33], v[34:35], off
	global_load_dword v38, v[34:35], off offset:32
	global_load_dwordx4 v[34:37], v[34:35], off offset:16
	s_waitcnt vmcnt(2)
	v_dot4c_i32_i8 v39, v19, v31
	v_mov_b32_e32 v31, 0
	;; [unrolled: 33-line block ×4, first 2 shown]
	v_dot4c_i32_i8 v39, v20, v32
	s_waitcnt vmcnt(0)
	v_dot4c_i32_i8 v19, v24, v35
	v_dot4c_i32_i8 v39, v22, v33
	v_dot4c_i32_i8 v19, v25, v36
	v_dot4c_i32_i8 v39, v23, v34
	v_dot4c_i32_i8 v19, v26, v37
	v_mul_lo_u32 v20, v39, v29
	v_dot4c_i32_i8 v19, v28, v38
	v_mul_lo_u32 v22, v19, v27
	v_add_nc_u32_e32 v19, v19, v39
	v_lshrrev_b32_e32 v23, 31, v19
	v_add_nc_u32_e32 v19, v19, v23
	v_ashrrev_i32_e32 v19, 1, v19
	v_add3_u32 v19, v22, v20, v19
	v_ashrrev_i32_e32 v20, 31, v19
	v_lshrrev_b32_e32 v20, 30, v20
	v_add_nc_u32_e32 v19, v19, v20
	v_cvt_f32_f16_e32 v20, v30
	v_ashrrev_i32_e32 v19, 2, v19
	v_mul_f32_e32 v20, v21, v20
	v_cvt_f32_i32_e32 v19, v19
	v_fmac_f32_e32 v7, v20, v19
	s_andn2_b32 exec_lo, exec_lo, s3
	s_cbranch_execnz .LBB188_2
; %bb.3:
	s_or_b32 exec_lo, exec_lo, s3
.LBB188_4:
	s_or_b32 exec_lo, exec_lo, s9
	s_mov_b32 s1, 0
	; wave barrier
	buffer_gl0_inv
	s_mov_b32 s0, exec_lo
	v_cmpx_eq_u32_e32 0, v1
	s_cbranch_execz .LBB188_15
; %bb.5:
	v_mbcnt_lo_u32_b32 v5, -1, 0
	s_load_dwordx2 s[4:5], s[4:5], 0x38
	s_mul_i32 s0, s14, s7
	s_mul_i32 s3, s18, s8
	s_add_i32 s0, s0, s6
	v_xor_b32_e32 v1, 16, v5
	v_xor_b32_e32 v2, 8, v5
	s_add_i32 s0, s0, s3
	s_lshl_b64 s[0:1], s[0:1], 2
	v_cmp_gt_i32_e32 vcc_lo, 32, v1
	v_cndmask_b32_e32 v1, v5, v1, vcc_lo
	v_cmp_gt_i32_e32 vcc_lo, 32, v2
	v_lshlrev_b32_e32 v1, 2, v1
	v_cndmask_b32_e32 v2, v5, v2, vcc_lo
	s_waitcnt lgkmcnt(0)
	s_add_u32 s0, s4, s0
	s_addc_u32 s1, s5, s1
	ds_bpermute_b32 v3, v1, v12
	v_lshlrev_b32_e32 v2, 2, v2
	s_waitcnt lgkmcnt(0)
	v_add_f32_e32 v4, v12, v3
	v_xor_b32_e32 v3, 4, v5
	v_xor_b32_e32 v12, 1, v5
	ds_bpermute_b32 v6, v2, v4
	v_cmp_gt_i32_e32 vcc_lo, 32, v3
	v_cndmask_b32_e32 v3, v5, v3, vcc_lo
	v_lshlrev_b32_e32 v3, 2, v3
	s_waitcnt lgkmcnt(0)
	v_add_f32_e32 v6, v4, v6
	v_xor_b32_e32 v4, 2, v5
	ds_bpermute_b32 v11, v3, v6
	v_cmp_gt_i32_e32 vcc_lo, 32, v4
	v_cndmask_b32_e32 v4, v5, v4, vcc_lo
	v_cmp_gt_i32_e32 vcc_lo, 32, v12
	v_lshlrev_b32_e32 v4, 2, v4
	v_cndmask_b32_e32 v5, v5, v12, vcc_lo
	v_cmp_eq_u32_e32 vcc_lo, 0, v0
	v_lshlrev_b32_e32 v5, 2, v5
	s_waitcnt lgkmcnt(0)
	v_add_f32_e32 v6, v6, v11
	ds_bpermute_b32 v11, v4, v6
	s_waitcnt lgkmcnt(0)
	v_add_f32_e32 v6, v6, v11
	ds_bpermute_b32 v11, v5, v6
	s_and_saveexec_b32 s3, vcc_lo
	s_cbranch_execz .LBB188_7
; %bb.6:
	s_waitcnt lgkmcnt(0)
	v_add_f32_e32 v0, v6, v11
	v_mov_b32_e32 v6, 0
	global_store_dword v6, v0, s[0:1]
.LBB188_7:
	s_or_b32 exec_lo, exec_lo, s3
	ds_bpermute_b32 v0, v1, v10
	s_waitcnt lgkmcnt(0)
	v_add_f32_e32 v0, v10, v0
	ds_bpermute_b32 v6, v2, v0
	s_waitcnt lgkmcnt(0)
	v_add_f32_e32 v0, v0, v6
	;; [unrolled: 3-line block ×4, first 2 shown]
	ds_bpermute_b32 v6, v5, v0
	s_and_saveexec_b32 s4, vcc_lo
	s_cbranch_execz .LBB188_9
; %bb.8:
	s_mov_b32 s3, 0
	s_waitcnt lgkmcnt(0)
	v_add_f32_e32 v0, v0, v6
	s_lshl_b64 s[6:7], s[2:3], 2
	v_mov_b32_e32 v6, 0
	s_add_u32 s6, s0, s6
	s_addc_u32 s7, s1, s7
	global_store_dword v6, v0, s[6:7]
.LBB188_9:
	s_or_b32 exec_lo, exec_lo, s4
	ds_bpermute_b32 v0, v1, v9
	s_waitcnt lgkmcnt(0)
	v_add_f32_e32 v0, v9, v0
	ds_bpermute_b32 v6, v2, v0
	s_waitcnt lgkmcnt(0)
	v_add_f32_e32 v0, v0, v6
	;; [unrolled: 3-line block ×4, first 2 shown]
	ds_bpermute_b32 v6, v5, v0
	s_and_saveexec_b32 s3, vcc_lo
	s_cbranch_execz .LBB188_11
; %bb.10:
	s_lshl_b32 s4, s2, 1
	s_mov_b32 s5, 0
	s_waitcnt lgkmcnt(0)
	v_add_f32_e32 v0, v0, v6
	s_lshl_b64 s[4:5], s[4:5], 2
	v_mov_b32_e32 v6, 0
	s_add_u32 s4, s0, s4
	s_addc_u32 s5, s1, s5
	global_store_dword v6, v0, s[4:5]
.LBB188_11:
	s_or_b32 exec_lo, exec_lo, s3
	ds_bpermute_b32 v0, v1, v8
	s_waitcnt lgkmcnt(0)
	v_add_f32_e32 v0, v8, v0
	ds_bpermute_b32 v6, v2, v0
	s_waitcnt lgkmcnt(0)
	v_add_f32_e32 v0, v0, v6
	;; [unrolled: 3-line block ×4, first 2 shown]
	ds_bpermute_b32 v6, v5, v0
	s_and_saveexec_b32 s3, vcc_lo
	s_cbranch_execz .LBB188_13
; %bb.12:
	s_mul_i32 s4, s2, 3
	s_mov_b32 s5, 0
	s_waitcnt lgkmcnt(0)
	v_add_f32_e32 v0, v0, v6
	s_lshl_b64 s[4:5], s[4:5], 2
	v_mov_b32_e32 v6, 0
	s_add_u32 s4, s0, s4
	s_addc_u32 s5, s1, s5
	global_store_dword v6, v0, s[4:5]
.LBB188_13:
	s_or_b32 exec_lo, exec_lo, s3
	ds_bpermute_b32 v0, v1, v7
	s_waitcnt lgkmcnt(0)
	v_add_f32_e32 v0, v7, v0
	ds_bpermute_b32 v1, v2, v0
	s_waitcnt lgkmcnt(0)
	v_add_f32_e32 v0, v0, v1
	;; [unrolled: 3-line block ×4, first 2 shown]
	ds_bpermute_b32 v1, v5, v0
	s_and_b32 exec_lo, exec_lo, vcc_lo
	s_cbranch_execz .LBB188_15
; %bb.14:
	s_lshl_b32 s2, s2, 2
	s_mov_b32 s3, 0
	s_waitcnt lgkmcnt(0)
	v_add_f32_e32 v0, v0, v1
	s_lshl_b64 s[2:3], s[2:3], 2
	v_mov_b32_e32 v1, 0
	s_add_u32 s0, s0, s2
	s_addc_u32 s1, s1, s3
	global_store_dword v1, v0, s[0:1]
.LBB188_15:
	s_endpgm
	.section	.rodata,"a",@progbits
	.p2align	6, 0x0
	.amdhsa_kernel _ZL13mul_mat_vec_qIL9ggml_type22ELi5ELb0ELb0EEvPKvS2_PKi31ggml_cuda_mm_fusion_args_devicePfj15HIP_vector_typeIjLj3EEjjjS8_jjjS8_jjjj
		.amdhsa_group_segment_fixed_size 0
		.amdhsa_private_segment_fixed_size 0
		.amdhsa_kernarg_size 144
		.amdhsa_user_sgpr_count 6
		.amdhsa_user_sgpr_private_segment_buffer 1
		.amdhsa_user_sgpr_dispatch_ptr 0
		.amdhsa_user_sgpr_queue_ptr 0
		.amdhsa_user_sgpr_kernarg_segment_ptr 1
		.amdhsa_user_sgpr_dispatch_id 0
		.amdhsa_user_sgpr_flat_scratch_init 0
		.amdhsa_user_sgpr_private_segment_size 0
		.amdhsa_wavefront_size32 1
		.amdhsa_uses_dynamic_stack 0
		.amdhsa_system_sgpr_private_segment_wavefront_offset 0
		.amdhsa_system_sgpr_workgroup_id_x 1
		.amdhsa_system_sgpr_workgroup_id_y 1
		.amdhsa_system_sgpr_workgroup_id_z 1
		.amdhsa_system_sgpr_workgroup_info 0
		.amdhsa_system_vgpr_workitem_id 1
		.amdhsa_next_free_vgpr 42
		.amdhsa_next_free_sgpr 28
		.amdhsa_reserve_vcc 1
		.amdhsa_reserve_flat_scratch 0
		.amdhsa_float_round_mode_32 0
		.amdhsa_float_round_mode_16_64 0
		.amdhsa_float_denorm_mode_32 3
		.amdhsa_float_denorm_mode_16_64 3
		.amdhsa_dx10_clamp 1
		.amdhsa_ieee_mode 1
		.amdhsa_fp16_overflow 0
		.amdhsa_workgroup_processor_mode 1
		.amdhsa_memory_ordered 1
		.amdhsa_forward_progress 1
		.amdhsa_shared_vgpr_count 0
		.amdhsa_exception_fp_ieee_invalid_op 0
		.amdhsa_exception_fp_denorm_src 0
		.amdhsa_exception_fp_ieee_div_zero 0
		.amdhsa_exception_fp_ieee_overflow 0
		.amdhsa_exception_fp_ieee_underflow 0
		.amdhsa_exception_fp_ieee_inexact 0
		.amdhsa_exception_int_div_zero 0
	.end_amdhsa_kernel
	.section	.text._ZL13mul_mat_vec_qIL9ggml_type22ELi5ELb0ELb0EEvPKvS2_PKi31ggml_cuda_mm_fusion_args_devicePfj15HIP_vector_typeIjLj3EEjjjS8_jjjS8_jjjj,"axG",@progbits,_ZL13mul_mat_vec_qIL9ggml_type22ELi5ELb0ELb0EEvPKvS2_PKi31ggml_cuda_mm_fusion_args_devicePfj15HIP_vector_typeIjLj3EEjjjS8_jjjS8_jjjj,comdat
.Lfunc_end188:
	.size	_ZL13mul_mat_vec_qIL9ggml_type22ELi5ELb0ELb0EEvPKvS2_PKi31ggml_cuda_mm_fusion_args_devicePfj15HIP_vector_typeIjLj3EEjjjS8_jjjS8_jjjj, .Lfunc_end188-_ZL13mul_mat_vec_qIL9ggml_type22ELi5ELb0ELb0EEvPKvS2_PKi31ggml_cuda_mm_fusion_args_devicePfj15HIP_vector_typeIjLj3EEjjjS8_jjjS8_jjjj
                                        ; -- End function
	.set _ZL13mul_mat_vec_qIL9ggml_type22ELi5ELb0ELb0EEvPKvS2_PKi31ggml_cuda_mm_fusion_args_devicePfj15HIP_vector_typeIjLj3EEjjjS8_jjjS8_jjjj.num_vgpr, 42
	.set _ZL13mul_mat_vec_qIL9ggml_type22ELi5ELb0ELb0EEvPKvS2_PKi31ggml_cuda_mm_fusion_args_devicePfj15HIP_vector_typeIjLj3EEjjjS8_jjjS8_jjjj.num_agpr, 0
	.set _ZL13mul_mat_vec_qIL9ggml_type22ELi5ELb0ELb0EEvPKvS2_PKi31ggml_cuda_mm_fusion_args_devicePfj15HIP_vector_typeIjLj3EEjjjS8_jjjS8_jjjj.numbered_sgpr, 28
	.set _ZL13mul_mat_vec_qIL9ggml_type22ELi5ELb0ELb0EEvPKvS2_PKi31ggml_cuda_mm_fusion_args_devicePfj15HIP_vector_typeIjLj3EEjjjS8_jjjS8_jjjj.num_named_barrier, 0
	.set _ZL13mul_mat_vec_qIL9ggml_type22ELi5ELb0ELb0EEvPKvS2_PKi31ggml_cuda_mm_fusion_args_devicePfj15HIP_vector_typeIjLj3EEjjjS8_jjjS8_jjjj.private_seg_size, 0
	.set _ZL13mul_mat_vec_qIL9ggml_type22ELi5ELb0ELb0EEvPKvS2_PKi31ggml_cuda_mm_fusion_args_devicePfj15HIP_vector_typeIjLj3EEjjjS8_jjjS8_jjjj.uses_vcc, 1
	.set _ZL13mul_mat_vec_qIL9ggml_type22ELi5ELb0ELb0EEvPKvS2_PKi31ggml_cuda_mm_fusion_args_devicePfj15HIP_vector_typeIjLj3EEjjjS8_jjjS8_jjjj.uses_flat_scratch, 0
	.set _ZL13mul_mat_vec_qIL9ggml_type22ELi5ELb0ELb0EEvPKvS2_PKi31ggml_cuda_mm_fusion_args_devicePfj15HIP_vector_typeIjLj3EEjjjS8_jjjS8_jjjj.has_dyn_sized_stack, 0
	.set _ZL13mul_mat_vec_qIL9ggml_type22ELi5ELb0ELb0EEvPKvS2_PKi31ggml_cuda_mm_fusion_args_devicePfj15HIP_vector_typeIjLj3EEjjjS8_jjjS8_jjjj.has_recursion, 0
	.set _ZL13mul_mat_vec_qIL9ggml_type22ELi5ELb0ELb0EEvPKvS2_PKi31ggml_cuda_mm_fusion_args_devicePfj15HIP_vector_typeIjLj3EEjjjS8_jjjS8_jjjj.has_indirect_call, 0
	.section	.AMDGPU.csdata,"",@progbits
; Kernel info:
; codeLenInByte = 4140
; TotalNumSgprs: 30
; NumVgprs: 42
; ScratchSize: 0
; MemoryBound: 0
; FloatMode: 240
; IeeeMode: 1
; LDSByteSize: 0 bytes/workgroup (compile time only)
; SGPRBlocks: 0
; VGPRBlocks: 5
; NumSGPRsForWavesPerEU: 30
; NumVGPRsForWavesPerEU: 42
; Occupancy: 16
; WaveLimiterHint : 0
; COMPUTE_PGM_RSRC2:SCRATCH_EN: 0
; COMPUTE_PGM_RSRC2:USER_SGPR: 6
; COMPUTE_PGM_RSRC2:TRAP_HANDLER: 0
; COMPUTE_PGM_RSRC2:TGID_X_EN: 1
; COMPUTE_PGM_RSRC2:TGID_Y_EN: 1
; COMPUTE_PGM_RSRC2:TGID_Z_EN: 1
; COMPUTE_PGM_RSRC2:TIDIG_COMP_CNT: 1
	.section	.text._ZL13mul_mat_vec_qIL9ggml_type22ELi6ELb0ELb0EEvPKvS2_PKi31ggml_cuda_mm_fusion_args_devicePfj15HIP_vector_typeIjLj3EEjjjS8_jjjS8_jjjj,"axG",@progbits,_ZL13mul_mat_vec_qIL9ggml_type22ELi6ELb0ELb0EEvPKvS2_PKi31ggml_cuda_mm_fusion_args_devicePfj15HIP_vector_typeIjLj3EEjjjS8_jjjS8_jjjj,comdat
	.globl	_ZL13mul_mat_vec_qIL9ggml_type22ELi6ELb0ELb0EEvPKvS2_PKi31ggml_cuda_mm_fusion_args_devicePfj15HIP_vector_typeIjLj3EEjjjS8_jjjS8_jjjj ; -- Begin function _ZL13mul_mat_vec_qIL9ggml_type22ELi6ELb0ELb0EEvPKvS2_PKi31ggml_cuda_mm_fusion_args_devicePfj15HIP_vector_typeIjLj3EEjjjS8_jjjS8_jjjj
	.p2align	8
	.type	_ZL13mul_mat_vec_qIL9ggml_type22ELi6ELb0ELb0EEvPKvS2_PKi31ggml_cuda_mm_fusion_args_devicePfj15HIP_vector_typeIjLj3EEjjjS8_jjjS8_jjjj,@function
_ZL13mul_mat_vec_qIL9ggml_type22ELi6ELb0ELb0EEvPKvS2_PKi31ggml_cuda_mm_fusion_args_devicePfj15HIP_vector_typeIjLj3EEjjjS8_jjjS8_jjjj: ; @_ZL13mul_mat_vec_qIL9ggml_type22ELi6ELb0ELb0EEvPKvS2_PKi31ggml_cuda_mm_fusion_args_devicePfj15HIP_vector_typeIjLj3EEjjjS8_jjjS8_jjjj
; %bb.0:
	s_clause 0x5
	s_load_dword s9, s[4:5], 0x40
	s_load_dwordx4 s[0:3], s[4:5], 0x50
	s_load_dword s11, s[4:5], 0x60
	s_load_dwordx4 s[12:15], s[4:5], 0x68
	;; [unrolled: 2-line block ×3, first 2 shown]
	v_lshl_or_b32 v2, v1, 5, v0
	v_mov_b32_e32 v8, 0
	v_mov_b32_e32 v9, 0
	;; [unrolled: 1-line block ×4, first 2 shown]
	v_lshrrev_b32_e32 v13, 3, v2
	v_mov_b32_e32 v12, 0
	v_mov_b32_e32 v14, 0
	s_waitcnt lgkmcnt(0)
	s_lshr_b32 s10, s9, 8
	s_mov_b32 s9, exec_lo
	v_cmpx_gt_u32_e64 s10, v13
	s_cbranch_execz .LBB189_4
; %bb.1:
	s_mul_i32 s13, s13, s7
	s_load_dwordx4 s[20:23], s[4:5], 0x0
	s_mul_hi_u32 s27, s13, 36
	s_mul_i32 s26, s13, 36
	s_mul_i32 s17, s17, s8
	v_mad_u64_u32 v[2:3], null, 0x120, v13, s[26:27]
	v_and_b32_e32 v15, 7, v0
	s_mul_hi_u32 s3, s3, s7
	v_lshlrev_b32_e32 v7, 3, v13
	s_mul_hi_u32 s15, s15, s8
	s_add_i32 s3, s7, s3
	s_add_i32 s15, s8, s15
	v_mad_u64_u32 v[4:5], null, s17, 36, v[2:3]
	s_mul_i32 s25, s17, 36
	s_lshr_b32 s3, s3, s11
	s_mul_hi_u32 s19, s17, 36
	s_lshr_b32 s11, s15, s24
	s_mul_i32 s3, s3, s12
	v_lshlrev_b32_e32 v10, 1, v15
	v_mad_u64_u32 v[8:9], null, v15, 36, v[4:5]
	s_waitcnt lgkmcnt(0)
	s_add_u32 s12, s22, s25
	s_addc_u32 s13, s23, s19
	s_add_u32 s12, s12, s26
	s_addc_u32 s13, s13, s27
	s_mul_i32 s0, s0, s6
	v_mad_u64_u32 v[2:3], null, v15, 36, s[12:13]
	v_mad_u64_u32 v[4:5], null, s1, 5, v[7:8]
	;; [unrolled: 1-line block ×3, first 2 shown]
	v_add_co_u32 v6, vcc_lo, s22, v8
	v_add_co_ci_u32_e64 v8, null, s23, v9, vcc_lo
	v_mov_b32_e32 v16, 0
	v_add_co_u32 v6, vcc_lo, v6, 16
	v_add_nc_u32_e32 v17, s1, v7
	v_lshl_add_u32 v18, s1, 2, v7
	v_lshl_add_u32 v19, s1, 1, v7
	v_add_co_ci_u32_e64 v7, null, 0, v8, vcc_lo
	v_lshlrev_b32_e32 v20, 1, v10
	v_mov_b32_e32 v8, 0
	v_mov_b32_e32 v9, 0
	;; [unrolled: 1-line block ×6, first 2 shown]
	s_mul_i32 s11, s11, s16
	s_add_i32 s3, s3, s0
	s_add_i32 s11, s11, s3
	s_mov_b32 s3, 0
.LBB189_2:                              ; =>This Inner Loop Header: Depth=1
	v_add_nc_u32_e32 v21, s11, v13
	s_getpc_b64 s[0:1]
	s_add_u32 s0, s0, _ZL9iq2s_grid@rel32@lo+4
	s_addc_u32 s1, s1, _ZL9iq2s_grid@rel32@hi+12
	v_add_nc_u32_e32 v13, 4, v13
	v_mad_i64_i32 v[32:33], null, 0x52, v21, s[20:21]
	v_add_co_u32 v21, vcc_lo, v32, v20
	v_add_co_ci_u32_e64 v22, null, 0, v33, vcc_lo
	v_add_co_u32 v23, vcc_lo, v32, v15
	v_add_co_ci_u32_e64 v24, null, 0, v33, vcc_lo
	s_clause 0x3
	global_load_dword v25, v[21:22], off offset:2
	global_load_ubyte v28, v[23:24], off offset:66
	global_load_dword v29, v[21:22], off offset:34
	global_load_ubyte v31, v[23:24], off offset:74
	s_waitcnt vmcnt(3)
	v_and_b32_e32 v21, 0xff, v25
	v_lshrrev_b32_e32 v27, 24, v25
	s_waitcnt vmcnt(2)
	v_lshlrev_b32_e32 v22, 8, v28
	s_waitcnt vmcnt(1)
	v_lshlrev_b32_e32 v23, 21, v29
	v_lshrrev_b32_e32 v26, 16, v29
	v_and_or_b32 v21, 0x300, v22, v21
	v_and_b32_e32 v22, 0xff, v29
	v_lshlrev_b32_e32 v21, 3, v21
	v_lshl_or_b32 v23, v22, 7, v23
	v_and_b32_e32 v24, 0x1800180, v23
	v_bfe_u32 v23, v23, 24, 1
	v_cmp_ne_u16_sdwa s12, v24, v16 src0_sel:BYTE_1 src1_sel:DWORD
	v_cmp_ne_u16_e32 vcc_lo, 0, v23
	v_lshrrev_b16 v23, 7, v24
	v_lshrrev_b32_e32 v24, 2, v29
	v_cndmask_b32_e64 v30, 0, -1, s12
	v_cndmask_b32_e64 v35, 0, -1, vcc_lo
	v_bfe_i32 v23, v23, 0, 1
	v_bfe_i32 v24, v24, 0, 1
	v_lshlrev_b16 v30, 8, v30
	v_lshlrev_b16 v35, 8, v35
	v_or_b32_sdwa v34, v23, v30 dst_sel:DWORD dst_unused:UNUSED_PAD src0_sel:BYTE_0 src1_sel:DWORD
	v_or_b32_sdwa v36, v24, v35 dst_sel:WORD_1 dst_unused:UNUSED_PAD src0_sel:BYTE_0 src1_sel:DWORD
	v_lshlrev_b16 v23, 8, v23
	v_lshlrev_b16 v24, 8, v24
	v_or_b32_sdwa v34, v34, v36 dst_sel:DWORD dst_unused:UNUSED_PAD src0_sel:WORD_0 src1_sel:DWORD
	v_lshlrev_b32_e32 v36, 17, v29
	v_lshl_or_b32 v22, v22, 3, v36
	v_and_b32_e32 v36, 0x1800180, v22
	v_bfe_u32 v22, v22, 24, 1
	v_cmp_ne_u16_sdwa s12, v36, v16 src0_sel:BYTE_1 src1_sel:DWORD
	v_cmp_ne_u16_e32 vcc_lo, 0, v22
	v_lshrrev_b16 v22, 7, v36
	v_lshrrev_b32_e32 v36, 6, v29
	v_cndmask_b32_e64 v39, 0, -1, vcc_lo
	v_bfe_i32 v37, v22, 0, 1
	v_cndmask_b32_e64 v22, 0, -1, s12
	v_bfe_i32 v36, v36, 0, 1
	v_lshlrev_b16 v39, 8, v39
	v_lshlrev_b16 v38, 8, v22
	v_or_b32_sdwa v40, v36, v39 dst_sel:WORD_1 dst_unused:UNUSED_PAD src0_sel:BYTE_0 src1_sel:DWORD
	v_or_b32_sdwa v22, v37, v38 dst_sel:DWORD dst_unused:UNUSED_PAD src0_sel:BYTE_0 src1_sel:DWORD
	v_or_b32_sdwa v40, v22, v40 dst_sel:DWORD dst_unused:UNUSED_PAD src0_sel:WORD_0 src1_sel:DWORD
	global_load_dwordx2 v[21:22], v21, s[0:1]
	s_waitcnt vmcnt(0)
	v_xor_b32_e32 v21, v21, v34
	v_xor_b32_e32 v22, v22, v40
	v_lshrrev_b32_e32 v34, 16, v21
	v_and_b32_e32 v41, 0xffffff00, v21
	v_lshlrev_b16 v21, 8, v21
	v_sub_nc_i16 v30, v41, v30 clamp
	v_sub_nc_i16 v21, v21, v23 clamp
	v_and_b32_e32 v23, 0xffffff00, v34
	v_perm_b32 v21, v21, v30, 0xc0c0105
	v_lshlrev_b16 v30, 8, v34
	v_sub_nc_i16 v23, v23, v35 clamp
	v_lshrrev_b32_e32 v34, 10, v29
	v_sub_nc_i16 v24, v30, v24 clamp
	v_lshlrev_b16 v30, 8, v37
	v_bfe_i32 v34, v34, 0, 1
	v_perm_b32 v23, v24, v23, 0xc0c0105
	v_and_b32_e32 v24, 0xffffff00, v22
	v_lshl_or_b32 v21, v23, 16, v21
	v_lshrrev_b32_e32 v23, 16, v22
	v_lshlrev_b16 v22, 8, v22
	v_sub_nc_i16 v24, v24, v38 clamp
	v_lshrrev_b32_e32 v38, 15, v29
	v_sub_nc_i16 v22, v22, v30 clamp
	v_lshlrev_b16 v30, 8, v36
	v_bfe_i32 v38, v38, 0, 1
	v_perm_b32 v22, v22, v24, 0xc0c0105
	v_and_b32_e32 v24, 0xffffff00, v23
	v_lshlrev_b16 v23, 8, v23
	v_lshlrev_b16 v38, 8, v38
	v_sub_nc_i16 v24, v24, v39 clamp
	v_sub_nc_i16 v23, v23, v30 clamp
	v_lshrrev_b32_e32 v30, 11, v29
	v_lshrrev_b32_e32 v39, 14, v29
	v_perm_b32 v23, v23, v24, 0xc0c0105
	v_lshlrev_b32_e32 v24, 6, v28
	v_bfe_i32 v30, v30, 0, 1
	v_bfe_i32 v39, v39, 0, 1
	v_lshl_or_b32 v22, v23, 16, v22
	v_bfe_u32 v23, v25, 8, 8
	v_lshlrev_b16 v30, 8, v30
	v_or_b32_sdwa v42, v39, v38 dst_sel:WORD_1 dst_unused:UNUSED_PAD src0_sel:BYTE_0 src1_sel:DWORD
	v_bfe_u32 v25, v25, 16, 8
	v_and_or_b32 v23, 0x300, v24, v23
	v_lshrrev_b32_e32 v24, 1, v29
	v_or_b32_sdwa v37, v34, v30 dst_sel:WORD_1 dst_unused:UNUSED_PAD src0_sel:BYTE_0 src1_sel:DWORD
	v_lshlrev_b16 v34, 8, v34
	v_lshlrev_b32_e32 v23, 3, v23
	v_and_b32_e32 v24, 0x180, v24
	v_cmp_ne_u16_sdwa s12, v24, v16 src0_sel:BYTE_1 src1_sel:DWORD
	v_lshrrev_b16 v24, 7, v24
	v_bfe_i32 v35, v24, 0, 1
	v_cndmask_b32_e64 v24, 0, -1, s12
	v_lshlrev_b16 v36, 8, v24
	v_or_b32_sdwa v24, v35, v36 dst_sel:DWORD dst_unused:UNUSED_PAD src0_sel:BYTE_0 src1_sel:DWORD
	v_lshlrev_b16 v35, 8, v35
	v_or_b32_sdwa v37, v24, v37 dst_sel:DWORD dst_unused:UNUSED_PAD src0_sel:WORD_0 src1_sel:DWORD
	v_lshrrev_b32_e32 v24, 5, v29
	v_and_b32_e32 v24, 0x180, v24
	v_cmp_ne_u16_sdwa s12, v24, v16 src0_sel:BYTE_1 src1_sel:DWORD
	v_lshrrev_b16 v24, 7, v24
	v_bfe_i32 v40, v24, 0, 1
	v_cndmask_b32_e64 v24, 0, -1, s12
	v_lshlrev_b16 v41, 8, v24
	v_or_b32_sdwa v24, v40, v41 dst_sel:DWORD dst_unused:UNUSED_PAD src0_sel:BYTE_0 src1_sel:DWORD
	v_or_b32_sdwa v42, v24, v42 dst_sel:DWORD dst_unused:UNUSED_PAD src0_sel:WORD_0 src1_sel:DWORD
	global_load_dwordx2 v[23:24], v23, s[0:1]
	s_waitcnt vmcnt(0)
	v_xor_b32_e32 v23, v23, v37
	v_xor_b32_e32 v24, v24, v42
	v_lshrrev_b32_e32 v37, 16, v23
	v_and_b32_e32 v43, 0xffffff00, v23
	v_lshlrev_b16 v23, 8, v23
	v_sub_nc_i16 v36, v43, v36 clamp
	v_sub_nc_i16 v23, v23, v35 clamp
	v_and_b32_e32 v35, 0xffffff00, v37
	v_perm_b32 v23, v23, v36, 0xc0c0105
	v_sub_nc_i16 v30, v35, v30 clamp
	v_lshlrev_b16 v35, 8, v37
	v_sub_nc_i16 v34, v35, v34 clamp
	v_lshlrev_b16 v35, 8, v40
	v_perm_b32 v30, v34, v30, 0xc0c0105
	v_and_b32_e32 v34, 0xffffff00, v24
	v_lshl_or_b32 v23, v30, 16, v23
	v_lshrrev_b32_e32 v30, 16, v24
	v_lshlrev_b16 v24, 8, v24
	v_sub_nc_i16 v34, v34, v41 clamp
	v_sub_nc_i16 v24, v24, v35 clamp
	v_lshlrev_b16 v35, 8, v39
	v_perm_b32 v24, v24, v34, 0xc0c0105
	v_and_b32_e32 v34, 0xffffff00, v30
	v_lshlrev_b16 v30, 8, v30
	v_sub_nc_i16 v34, v34, v38 clamp
	v_sub_nc_i16 v30, v30, v35 clamp
	v_perm_b32 v30, v30, v34, 0xc0c0105
	v_lshl_or_b32 v24, v30, 16, v24
	v_lshlrev_b32_e32 v30, 4, v28
	v_lshlrev_b32_e32 v28, 2, v28
	v_and_or_b32 v25, 0x300, v30, v25
	v_lshrrev_b32_e32 v30, 9, v29
	v_and_or_b32 v27, 0x300, v28, v27
	v_lshrrev_b32_e32 v28, 17, v29
	v_lshlrev_b32_e32 v25, 3, v25
	v_lshl_or_b32 v30, v26, 21, v30
	v_lshlrev_b32_e32 v27, 3, v27
	v_and_b32_e32 v34, 0x1800180, v30
	v_bfe_u32 v30, v30, 24, 1
	v_cmp_ne_u16_sdwa s12, v34, v16 src0_sel:BYTE_1 src1_sel:DWORD
	v_cmp_ne_u16_e32 vcc_lo, 0, v30
	v_lshrrev_b16 v30, 7, v34
	v_lshrrev_b32_e32 v34, 18, v29
	v_cndmask_b32_e64 v35, 0, -1, s12
	v_cndmask_b32_e64 v37, 0, -1, vcc_lo
	v_bfe_i32 v30, v30, 0, 1
	v_bfe_i32 v34, v34, 0, 1
	v_lshlrev_b16 v35, 8, v35
	v_lshlrev_b16 v37, 8, v37
	v_or_b32_sdwa v36, v30, v35 dst_sel:DWORD dst_unused:UNUSED_PAD src0_sel:BYTE_0 src1_sel:DWORD
	v_or_b32_sdwa v38, v34, v37 dst_sel:WORD_1 dst_unused:UNUSED_PAD src0_sel:BYTE_0 src1_sel:DWORD
	v_lshlrev_b16 v30, 8, v30
	v_lshlrev_b16 v34, 8, v34
	v_or_b32_sdwa v36, v36, v38 dst_sel:DWORD dst_unused:UNUSED_PAD src0_sel:WORD_0 src1_sel:DWORD
	v_lshrrev_b32_e32 v38, 13, v29
	v_lshl_or_b32 v26, v26, 17, v38
	v_and_b32_e32 v38, 0x1800180, v26
	v_bfe_u32 v26, v26, 24, 1
	v_cmp_ne_u16_sdwa s12, v38, v16 src0_sel:BYTE_1 src1_sel:DWORD
	v_cmp_ne_u16_e32 vcc_lo, 0, v26
	v_lshrrev_b16 v26, 7, v38
	v_lshrrev_b32_e32 v38, 22, v29
	v_cndmask_b32_e64 v41, 0, -1, vcc_lo
	v_bfe_i32 v39, v26, 0, 1
	v_cndmask_b32_e64 v26, 0, -1, s12
	v_bfe_i32 v38, v38, 0, 1
	v_lshlrev_b16 v41, 8, v41
	v_lshlrev_b16 v40, 8, v26
	v_or_b32_sdwa v42, v38, v41 dst_sel:WORD_1 dst_unused:UNUSED_PAD src0_sel:BYTE_0 src1_sel:DWORD
	v_or_b32_sdwa v26, v39, v40 dst_sel:DWORD dst_unused:UNUSED_PAD src0_sel:BYTE_0 src1_sel:DWORD
	v_or_b32_sdwa v42, v26, v42 dst_sel:DWORD dst_unused:UNUSED_PAD src0_sel:WORD_0 src1_sel:DWORD
	global_load_dwordx2 v[25:26], v25, s[0:1]
	s_waitcnt vmcnt(0)
	v_xor_b32_e32 v25, v25, v36
	v_xor_b32_e32 v26, v26, v42
	v_lshrrev_b32_e32 v36, 16, v25
	v_and_b32_e32 v43, 0xffffff00, v25
	v_lshlrev_b16 v25, 8, v25
	v_sub_nc_i16 v35, v43, v35 clamp
	v_sub_nc_i16 v25, v25, v30 clamp
	v_and_b32_e32 v30, 0xffffff00, v36
	v_perm_b32 v25, v25, v35, 0xc0c0105
	v_lshlrev_b16 v35, 8, v36
	v_sub_nc_i16 v30, v30, v37 clamp
	v_sub_nc_i16 v34, v35, v34 clamp
	v_lshlrev_b16 v35, 8, v39
	v_lshrrev_b32_e32 v39, 31, v29
	v_perm_b32 v30, v34, v30, 0xc0c0105
	v_and_b32_e32 v34, 0xffffff00, v26
	v_lshl_or_b32 v25, v30, 16, v25
	v_lshrrev_b32_e32 v30, 16, v26
	v_lshlrev_b16 v26, 8, v26
	v_sub_nc_i16 v34, v34, v40 clamp
	v_sub_nc_i16 v26, v26, v35 clamp
	v_lshlrev_b16 v35, 8, v38
	v_perm_b32 v26, v26, v34, 0xc0c0105
	v_and_b32_e32 v34, 0xffffff00, v30
	v_lshlrev_b16 v30, 8, v30
	v_sub_nc_i16 v34, v34, v41 clamp
	v_sub_nc_i16 v30, v30, v35 clamp
	v_perm_b32 v30, v30, v34, 0xc0c0105
	v_lshl_or_b32 v26, v30, 16, v26
	v_lshrrev_b32_e32 v30, 24, v29
	v_lshl_or_b32 v28, v30, 21, v28
	v_and_b32_e32 v30, 0x1800180, v28
	v_bfe_u32 v28, v28, 24, 1
	v_cmp_ne_u16_sdwa s12, v30, v16 src0_sel:BYTE_1 src1_sel:DWORD
	v_cmp_ne_u16_e32 vcc_lo, 0, v28
	v_lshrrev_b16 v28, 7, v30
	v_lshrrev_b32_e32 v30, 26, v29
	v_cndmask_b32_e64 v36, 0, -1, vcc_lo
	v_bfe_i32 v34, v28, 0, 1
	v_cndmask_b32_e64 v28, 0, -1, s12
	v_bfe_i32 v30, v30, 0, 1
	v_cmp_ne_u16_e32 vcc_lo, 0, v39
	v_lshlrev_b16 v36, 8, v36
	v_lshlrev_b16 v35, 8, v28
	v_or_b32_sdwa v37, v30, v36 dst_sel:WORD_1 dst_unused:UNUSED_PAD src0_sel:BYTE_0 src1_sel:DWORD
	v_lshlrev_b16 v30, 8, v30
	v_or_b32_sdwa v28, v34, v35 dst_sel:DWORD dst_unused:UNUSED_PAD src0_sel:BYTE_0 src1_sel:DWORD
	v_lshlrev_b16 v34, 8, v34
	v_or_b32_sdwa v37, v28, v37 dst_sel:DWORD dst_unused:UNUSED_PAD src0_sel:WORD_0 src1_sel:DWORD
	v_lshrrev_b32_e32 v28, 21, v29
	v_lshrrev_b32_e32 v29, 30, v29
	v_lshrrev_b16 v38, 8, v28
	v_lshrrev_b16 v28, 7, v28
	v_bfe_i32 v40, v29, 0, 1
	v_cndmask_b32_e64 v29, 0, -1, vcc_lo
	v_bfe_i32 v38, v38, 0, 1
	v_bfe_i32 v39, v28, 0, 1
	v_lshlrev_b16 v41, 8, v29
	v_lshlrev_b16 v38, 8, v38
	v_or_b32_sdwa v29, v40, v41 dst_sel:WORD_1 dst_unused:UNUSED_PAD src0_sel:BYTE_0 src1_sel:DWORD
	v_or_b32_sdwa v28, v39, v38 dst_sel:DWORD dst_unused:UNUSED_PAD src0_sel:BYTE_0 src1_sel:DWORD
	v_or_b32_sdwa v42, v28, v29 dst_sel:DWORD dst_unused:UNUSED_PAD src0_sel:WORD_0 src1_sel:DWORD
	global_load_dwordx2 v[28:29], v27, s[0:1]
	s_waitcnt vmcnt(0)
	v_xor_b32_e32 v27, v28, v37
	v_lshrrev_b32_e32 v28, 16, v27
	v_and_b32_e32 v37, 0xffffff00, v27
	v_lshlrev_b16 v27, 8, v27
	v_sub_nc_i16 v35, v37, v35 clamp
	v_sub_nc_i16 v27, v27, v34 clamp
	v_and_b32_e32 v34, 0xffffff00, v28
	v_lshlrev_b16 v28, 8, v28
	v_perm_b32 v27, v27, v35, 0xc0c0105
	v_sub_nc_i16 v34, v34, v36 clamp
	v_sub_nc_i16 v28, v28, v30 clamp
	v_perm_b32 v28, v28, v34, 0xc0c0105
	v_lshlrev_b16 v34, 8, v39
	v_lshl_or_b32 v28, v28, 16, v27
	v_xor_b32_e32 v27, v29, v42
	v_lshrrev_b32_e32 v29, 16, v27
	v_and_b32_e32 v30, 0xffffff00, v27
	v_lshlrev_b16 v27, 8, v27
	v_sub_nc_i16 v30, v30, v38 clamp
	v_sub_nc_i16 v27, v27, v34 clamp
	v_lshlrev_b16 v34, 8, v40
	v_perm_b32 v27, v27, v30, 0xc0c0105
	v_and_b32_e32 v30, 0xffffff00, v29
	v_lshlrev_b16 v29, 8, v29
	v_sub_nc_i16 v30, v30, v41 clamp
	v_sub_nc_i16 v29, v29, v34 clamp
	v_mov_b32_e32 v41, 0
	v_perm_b32 v29, v29, v30, 0xc0c0105
	v_lshl_or_b32 v30, v29, 16, v27
	global_load_ushort v27, v[32:33], off
	s_clause 0x2
	global_load_dwordx4 v[32:35], v[6:7], off offset:-16
	global_load_dword v40, v[6:7], off offset:16
	global_load_dwordx4 v[36:39], v[6:7], off
	v_lshrrev_b32_e32 v29, 4, v31
	v_and_b32_e32 v31, 15, v31
	v_add_co_u32 v6, vcc_lo, 0x480, v6
	v_add_co_ci_u32_e64 v7, null, 0, v7, vcc_lo
	v_cmp_le_u32_e32 vcc_lo, s10, v13
	s_or_b32 s3, vcc_lo, s3
	s_waitcnt vmcnt(2)
	v_dot4c_i32_i8 v41, v21, v33
	v_mov_b32_e32 v33, 0
	v_cvt_f32_f16_e32 v27, v27
	v_cvt_f32_f16_e32 v32, v32
	v_dot4c_i32_i8 v41, v22, v34
	s_waitcnt vmcnt(0)
	v_dot4c_i32_i8 v33, v25, v37
	v_mul_f32_e32 v32, v27, v32
	v_dot4c_i32_i8 v41, v23, v35
	v_dot4c_i32_i8 v33, v26, v38
	v_dot4c_i32_i8 v41, v24, v36
	v_dot4c_i32_i8 v33, v28, v39
	v_mul_lo_u32 v34, v41, v31
	v_dot4c_i32_i8 v33, v30, v40
	v_mul_lo_u32 v35, v33, v29
	v_add_nc_u32_e32 v33, v33, v41
	v_mov_b32_e32 v41, 0
	v_lshrrev_b32_e32 v36, 31, v33
	v_add_nc_u32_e32 v33, v33, v36
	v_mad_u64_u32 v[36:37], null, v17, 36, v[2:3]
	v_add_nc_u32_e32 v17, 32, v17
	v_ashrrev_i32_e32 v33, 1, v33
	v_add3_u32 v33, v35, v34, v33
	v_ashrrev_i32_e32 v34, 31, v33
	v_lshrrev_b32_e32 v34, 30, v34
	v_add_nc_u32_e32 v33, v33, v34
	v_ashrrev_i32_e32 v33, 2, v33
	v_cvt_f32_i32_e32 v33, v33
	v_fmac_f32_e32 v14, v32, v33
	s_clause 0x2
	global_load_dwordx4 v[32:35], v[36:37], off
	global_load_dword v40, v[36:37], off offset:32
	global_load_dwordx4 v[36:39], v[36:37], off offset:16
	s_waitcnt vmcnt(2)
	v_dot4c_i32_i8 v41, v21, v33
	v_mov_b32_e32 v33, 0
	v_cvt_f32_f16_e32 v32, v32
	v_dot4c_i32_i8 v41, v22, v34
	s_waitcnt vmcnt(0)
	v_dot4c_i32_i8 v33, v25, v37
	v_mul_f32_e32 v32, v27, v32
	v_dot4c_i32_i8 v41, v23, v35
	v_dot4c_i32_i8 v33, v26, v38
	v_dot4c_i32_i8 v41, v24, v36
	v_dot4c_i32_i8 v33, v28, v39
	v_mul_lo_u32 v34, v41, v31
	v_dot4c_i32_i8 v33, v30, v40
	v_mul_lo_u32 v35, v33, v29
	v_add_nc_u32_e32 v33, v33, v41
	v_mov_b32_e32 v41, 0
	v_lshrrev_b32_e32 v36, 31, v33
	v_add_nc_u32_e32 v33, v33, v36
	v_mad_u64_u32 v[36:37], null, v19, 36, v[2:3]
	v_add_nc_u32_e32 v19, 32, v19
	v_ashrrev_i32_e32 v33, 1, v33
	v_add3_u32 v33, v35, v34, v33
	v_ashrrev_i32_e32 v34, 31, v33
	v_lshrrev_b32_e32 v34, 30, v34
	v_add_nc_u32_e32 v33, v33, v34
	v_ashrrev_i32_e32 v33, 2, v33
	v_cvt_f32_i32_e32 v33, v33
	v_fmac_f32_e32 v12, v32, v33
	s_clause 0x2
	global_load_dwordx4 v[32:35], v[36:37], off
	global_load_dword v40, v[36:37], off offset:32
	global_load_dwordx4 v[36:39], v[36:37], off offset:16
	s_waitcnt vmcnt(2)
	v_dot4c_i32_i8 v41, v21, v33
	v_mov_b32_e32 v33, 0
	;; [unrolled: 33-line block ×5, first 2 shown]
	v_dot4c_i32_i8 v41, v22, v34
	s_waitcnt vmcnt(0)
	v_dot4c_i32_i8 v21, v25, v37
	v_dot4c_i32_i8 v41, v23, v35
	;; [unrolled: 1-line block ×5, first 2 shown]
	v_mul_lo_u32 v22, v41, v31
	v_dot4c_i32_i8 v21, v30, v40
	v_mul_lo_u32 v23, v21, v29
	v_add_nc_u32_e32 v21, v21, v41
	v_lshrrev_b32_e32 v24, 31, v21
	v_add_nc_u32_e32 v21, v21, v24
	v_ashrrev_i32_e32 v21, 1, v21
	v_add3_u32 v21, v23, v22, v21
	v_ashrrev_i32_e32 v22, 31, v21
	v_lshrrev_b32_e32 v22, 30, v22
	v_add_nc_u32_e32 v21, v21, v22
	v_cvt_f32_f16_e32 v22, v32
	v_ashrrev_i32_e32 v21, 2, v21
	v_mul_f32_e32 v22, v27, v22
	v_cvt_f32_i32_e32 v21, v21
	v_fmac_f32_e32 v8, v22, v21
	s_andn2_b32 exec_lo, exec_lo, s3
	s_cbranch_execnz .LBB189_2
; %bb.3:
	s_or_b32 exec_lo, exec_lo, s3
.LBB189_4:
	s_or_b32 exec_lo, exec_lo, s9
	s_mov_b32 s1, 0
	; wave barrier
	buffer_gl0_inv
	s_mov_b32 s0, exec_lo
	v_cmpx_eq_u32_e32 0, v1
	s_cbranch_execz .LBB189_17
; %bb.5:
	v_mbcnt_lo_u32_b32 v5, -1, 0
	s_load_dwordx2 s[4:5], s[4:5], 0x38
	s_mul_i32 s0, s14, s7
	s_mul_i32 s3, s18, s8
	s_add_i32 s0, s0, s6
	v_xor_b32_e32 v1, 16, v5
	v_xor_b32_e32 v2, 8, v5
	;; [unrolled: 1-line block ×3, first 2 shown]
	s_add_i32 s0, s0, s3
	s_lshl_b64 s[0:1], s[0:1], 2
	v_cmp_gt_i32_e32 vcc_lo, 32, v1
	v_cndmask_b32_e32 v1, v5, v1, vcc_lo
	v_cmp_gt_i32_e32 vcc_lo, 32, v2
	v_lshlrev_b32_e32 v1, 2, v1
	v_cndmask_b32_e32 v2, v5, v2, vcc_lo
	s_waitcnt lgkmcnt(0)
	s_add_u32 s0, s4, s0
	s_addc_u32 s1, s5, s1
	ds_bpermute_b32 v3, v1, v14
	v_lshlrev_b32_e32 v2, 2, v2
	s_waitcnt lgkmcnt(0)
	v_add_f32_e32 v4, v14, v3
	v_xor_b32_e32 v3, 4, v5
	ds_bpermute_b32 v6, v2, v4
	v_cmp_gt_i32_e32 vcc_lo, 32, v3
	v_cndmask_b32_e32 v3, v5, v3, vcc_lo
	v_lshlrev_b32_e32 v3, 2, v3
	s_waitcnt lgkmcnt(0)
	v_add_f32_e32 v6, v4, v6
	v_xor_b32_e32 v4, 2, v5
	ds_bpermute_b32 v7, v3, v6
	v_cmp_gt_i32_e32 vcc_lo, 32, v4
	v_cndmask_b32_e32 v4, v5, v4, vcc_lo
	v_cmp_gt_i32_e32 vcc_lo, 32, v13
	v_lshlrev_b32_e32 v4, 2, v4
	v_cndmask_b32_e32 v5, v5, v13, vcc_lo
	v_cmp_eq_u32_e32 vcc_lo, 0, v0
	v_lshlrev_b32_e32 v5, 2, v5
	s_waitcnt lgkmcnt(0)
	v_add_f32_e32 v6, v6, v7
	ds_bpermute_b32 v7, v4, v6
	s_waitcnt lgkmcnt(0)
	v_add_f32_e32 v6, v6, v7
	ds_bpermute_b32 v7, v5, v6
	s_and_saveexec_b32 s3, vcc_lo
	s_cbranch_execz .LBB189_7
; %bb.6:
	s_waitcnt lgkmcnt(0)
	v_add_f32_e32 v0, v6, v7
	v_mov_b32_e32 v6, 0
	global_store_dword v6, v0, s[0:1]
.LBB189_7:
	s_or_b32 exec_lo, exec_lo, s3
	ds_bpermute_b32 v0, v1, v12
	s_waitcnt lgkmcnt(0)
	v_add_f32_e32 v0, v12, v0
	ds_bpermute_b32 v6, v2, v0
	s_waitcnt lgkmcnt(0)
	v_add_f32_e32 v0, v0, v6
	;; [unrolled: 3-line block ×4, first 2 shown]
	ds_bpermute_b32 v6, v5, v0
	s_and_saveexec_b32 s4, vcc_lo
	s_cbranch_execz .LBB189_9
; %bb.8:
	s_mov_b32 s3, 0
	s_waitcnt lgkmcnt(0)
	v_add_f32_e32 v0, v0, v6
	s_lshl_b64 s[6:7], s[2:3], 2
	v_mov_b32_e32 v6, 0
	s_add_u32 s6, s0, s6
	s_addc_u32 s7, s1, s7
	global_store_dword v6, v0, s[6:7]
.LBB189_9:
	s_or_b32 exec_lo, exec_lo, s4
	ds_bpermute_b32 v0, v1, v11
	s_waitcnt lgkmcnt(0)
	v_add_f32_e32 v0, v11, v0
	ds_bpermute_b32 v6, v2, v0
	s_waitcnt lgkmcnt(0)
	v_add_f32_e32 v0, v0, v6
	ds_bpermute_b32 v6, v3, v0
	s_waitcnt lgkmcnt(0)
	v_add_f32_e32 v0, v0, v6
	ds_bpermute_b32 v6, v4, v0
	s_waitcnt lgkmcnt(0)
	v_add_f32_e32 v0, v0, v6
	ds_bpermute_b32 v6, v5, v0
	s_and_saveexec_b32 s3, vcc_lo
	s_cbranch_execz .LBB189_11
; %bb.10:
	s_lshl_b32 s4, s2, 1
	s_mov_b32 s5, 0
	s_waitcnt lgkmcnt(0)
	v_add_f32_e32 v0, v0, v6
	s_lshl_b64 s[4:5], s[4:5], 2
	v_mov_b32_e32 v6, 0
	s_add_u32 s4, s0, s4
	s_addc_u32 s5, s1, s5
	global_store_dword v6, v0, s[4:5]
.LBB189_11:
	s_or_b32 exec_lo, exec_lo, s3
	ds_bpermute_b32 v0, v1, v10
	s_waitcnt lgkmcnt(0)
	v_add_f32_e32 v0, v10, v0
	ds_bpermute_b32 v6, v2, v0
	s_waitcnt lgkmcnt(0)
	v_add_f32_e32 v0, v0, v6
	;; [unrolled: 3-line block ×4, first 2 shown]
	ds_bpermute_b32 v6, v5, v0
	s_and_saveexec_b32 s3, vcc_lo
	s_cbranch_execz .LBB189_13
; %bb.12:
	s_mul_i32 s4, s2, 3
	s_mov_b32 s5, 0
	s_waitcnt lgkmcnt(0)
	v_add_f32_e32 v0, v0, v6
	s_lshl_b64 s[4:5], s[4:5], 2
	v_mov_b32_e32 v6, 0
	s_add_u32 s4, s0, s4
	s_addc_u32 s5, s1, s5
	global_store_dword v6, v0, s[4:5]
.LBB189_13:
	s_or_b32 exec_lo, exec_lo, s3
	ds_bpermute_b32 v0, v1, v9
	s_waitcnt lgkmcnt(0)
	v_add_f32_e32 v0, v9, v0
	ds_bpermute_b32 v6, v2, v0
	s_waitcnt lgkmcnt(0)
	v_add_f32_e32 v0, v0, v6
	;; [unrolled: 3-line block ×4, first 2 shown]
	ds_bpermute_b32 v6, v5, v0
	s_and_saveexec_b32 s3, vcc_lo
	s_cbranch_execz .LBB189_15
; %bb.14:
	s_lshl_b32 s4, s2, 2
	s_mov_b32 s5, 0
	s_waitcnt lgkmcnt(0)
	v_add_f32_e32 v0, v0, v6
	s_lshl_b64 s[4:5], s[4:5], 2
	v_mov_b32_e32 v6, 0
	s_add_u32 s4, s0, s4
	s_addc_u32 s5, s1, s5
	global_store_dword v6, v0, s[4:5]
.LBB189_15:
	s_or_b32 exec_lo, exec_lo, s3
	ds_bpermute_b32 v0, v1, v8
	s_waitcnt lgkmcnt(0)
	v_add_f32_e32 v0, v8, v0
	ds_bpermute_b32 v1, v2, v0
	s_waitcnt lgkmcnt(0)
	v_add_f32_e32 v0, v0, v1
	;; [unrolled: 3-line block ×4, first 2 shown]
	ds_bpermute_b32 v1, v5, v0
	s_and_b32 exec_lo, exec_lo, vcc_lo
	s_cbranch_execz .LBB189_17
; %bb.16:
	s_mul_i32 s2, s2, 5
	s_mov_b32 s3, 0
	s_waitcnt lgkmcnt(0)
	v_add_f32_e32 v0, v0, v1
	s_lshl_b64 s[2:3], s[2:3], 2
	v_mov_b32_e32 v1, 0
	s_add_u32 s0, s0, s2
	s_addc_u32 s1, s1, s3
	global_store_dword v1, v0, s[0:1]
.LBB189_17:
	s_endpgm
	.section	.rodata,"a",@progbits
	.p2align	6, 0x0
	.amdhsa_kernel _ZL13mul_mat_vec_qIL9ggml_type22ELi6ELb0ELb0EEvPKvS2_PKi31ggml_cuda_mm_fusion_args_devicePfj15HIP_vector_typeIjLj3EEjjjS8_jjjS8_jjjj
		.amdhsa_group_segment_fixed_size 0
		.amdhsa_private_segment_fixed_size 0
		.amdhsa_kernarg_size 144
		.amdhsa_user_sgpr_count 6
		.amdhsa_user_sgpr_private_segment_buffer 1
		.amdhsa_user_sgpr_dispatch_ptr 0
		.amdhsa_user_sgpr_queue_ptr 0
		.amdhsa_user_sgpr_kernarg_segment_ptr 1
		.amdhsa_user_sgpr_dispatch_id 0
		.amdhsa_user_sgpr_flat_scratch_init 0
		.amdhsa_user_sgpr_private_segment_size 0
		.amdhsa_wavefront_size32 1
		.amdhsa_uses_dynamic_stack 0
		.amdhsa_system_sgpr_private_segment_wavefront_offset 0
		.amdhsa_system_sgpr_workgroup_id_x 1
		.amdhsa_system_sgpr_workgroup_id_y 1
		.amdhsa_system_sgpr_workgroup_id_z 1
		.amdhsa_system_sgpr_workgroup_info 0
		.amdhsa_system_vgpr_workitem_id 1
		.amdhsa_next_free_vgpr 44
		.amdhsa_next_free_sgpr 28
		.amdhsa_reserve_vcc 1
		.amdhsa_reserve_flat_scratch 0
		.amdhsa_float_round_mode_32 0
		.amdhsa_float_round_mode_16_64 0
		.amdhsa_float_denorm_mode_32 3
		.amdhsa_float_denorm_mode_16_64 3
		.amdhsa_dx10_clamp 1
		.amdhsa_ieee_mode 1
		.amdhsa_fp16_overflow 0
		.amdhsa_workgroup_processor_mode 1
		.amdhsa_memory_ordered 1
		.amdhsa_forward_progress 1
		.amdhsa_shared_vgpr_count 0
		.amdhsa_exception_fp_ieee_invalid_op 0
		.amdhsa_exception_fp_denorm_src 0
		.amdhsa_exception_fp_ieee_div_zero 0
		.amdhsa_exception_fp_ieee_overflow 0
		.amdhsa_exception_fp_ieee_underflow 0
		.amdhsa_exception_fp_ieee_inexact 0
		.amdhsa_exception_int_div_zero 0
	.end_amdhsa_kernel
	.section	.text._ZL13mul_mat_vec_qIL9ggml_type22ELi6ELb0ELb0EEvPKvS2_PKi31ggml_cuda_mm_fusion_args_devicePfj15HIP_vector_typeIjLj3EEjjjS8_jjjS8_jjjj,"axG",@progbits,_ZL13mul_mat_vec_qIL9ggml_type22ELi6ELb0ELb0EEvPKvS2_PKi31ggml_cuda_mm_fusion_args_devicePfj15HIP_vector_typeIjLj3EEjjjS8_jjjS8_jjjj,comdat
.Lfunc_end189:
	.size	_ZL13mul_mat_vec_qIL9ggml_type22ELi6ELb0ELb0EEvPKvS2_PKi31ggml_cuda_mm_fusion_args_devicePfj15HIP_vector_typeIjLj3EEjjjS8_jjjS8_jjjj, .Lfunc_end189-_ZL13mul_mat_vec_qIL9ggml_type22ELi6ELb0ELb0EEvPKvS2_PKi31ggml_cuda_mm_fusion_args_devicePfj15HIP_vector_typeIjLj3EEjjjS8_jjjS8_jjjj
                                        ; -- End function
	.set _ZL13mul_mat_vec_qIL9ggml_type22ELi6ELb0ELb0EEvPKvS2_PKi31ggml_cuda_mm_fusion_args_devicePfj15HIP_vector_typeIjLj3EEjjjS8_jjjS8_jjjj.num_vgpr, 44
	.set _ZL13mul_mat_vec_qIL9ggml_type22ELi6ELb0ELb0EEvPKvS2_PKi31ggml_cuda_mm_fusion_args_devicePfj15HIP_vector_typeIjLj3EEjjjS8_jjjS8_jjjj.num_agpr, 0
	.set _ZL13mul_mat_vec_qIL9ggml_type22ELi6ELb0ELb0EEvPKvS2_PKi31ggml_cuda_mm_fusion_args_devicePfj15HIP_vector_typeIjLj3EEjjjS8_jjjS8_jjjj.numbered_sgpr, 28
	.set _ZL13mul_mat_vec_qIL9ggml_type22ELi6ELb0ELb0EEvPKvS2_PKi31ggml_cuda_mm_fusion_args_devicePfj15HIP_vector_typeIjLj3EEjjjS8_jjjS8_jjjj.num_named_barrier, 0
	.set _ZL13mul_mat_vec_qIL9ggml_type22ELi6ELb0ELb0EEvPKvS2_PKi31ggml_cuda_mm_fusion_args_devicePfj15HIP_vector_typeIjLj3EEjjjS8_jjjS8_jjjj.private_seg_size, 0
	.set _ZL13mul_mat_vec_qIL9ggml_type22ELi6ELb0ELb0EEvPKvS2_PKi31ggml_cuda_mm_fusion_args_devicePfj15HIP_vector_typeIjLj3EEjjjS8_jjjS8_jjjj.uses_vcc, 1
	.set _ZL13mul_mat_vec_qIL9ggml_type22ELi6ELb0ELb0EEvPKvS2_PKi31ggml_cuda_mm_fusion_args_devicePfj15HIP_vector_typeIjLj3EEjjjS8_jjjS8_jjjj.uses_flat_scratch, 0
	.set _ZL13mul_mat_vec_qIL9ggml_type22ELi6ELb0ELb0EEvPKvS2_PKi31ggml_cuda_mm_fusion_args_devicePfj15HIP_vector_typeIjLj3EEjjjS8_jjjS8_jjjj.has_dyn_sized_stack, 0
	.set _ZL13mul_mat_vec_qIL9ggml_type22ELi6ELb0ELb0EEvPKvS2_PKi31ggml_cuda_mm_fusion_args_devicePfj15HIP_vector_typeIjLj3EEjjjS8_jjjS8_jjjj.has_recursion, 0
	.set _ZL13mul_mat_vec_qIL9ggml_type22ELi6ELb0ELb0EEvPKvS2_PKi31ggml_cuda_mm_fusion_args_devicePfj15HIP_vector_typeIjLj3EEjjjS8_jjjS8_jjjj.has_indirect_call, 0
	.section	.AMDGPU.csdata,"",@progbits
; Kernel info:
; codeLenInByte = 4440
; TotalNumSgprs: 30
; NumVgprs: 44
; ScratchSize: 0
; MemoryBound: 0
; FloatMode: 240
; IeeeMode: 1
; LDSByteSize: 0 bytes/workgroup (compile time only)
; SGPRBlocks: 0
; VGPRBlocks: 5
; NumSGPRsForWavesPerEU: 30
; NumVGPRsForWavesPerEU: 44
; Occupancy: 16
; WaveLimiterHint : 0
; COMPUTE_PGM_RSRC2:SCRATCH_EN: 0
; COMPUTE_PGM_RSRC2:USER_SGPR: 6
; COMPUTE_PGM_RSRC2:TRAP_HANDLER: 0
; COMPUTE_PGM_RSRC2:TGID_X_EN: 1
; COMPUTE_PGM_RSRC2:TGID_Y_EN: 1
; COMPUTE_PGM_RSRC2:TGID_Z_EN: 1
; COMPUTE_PGM_RSRC2:TIDIG_COMP_CNT: 1
	.section	.text._ZL13mul_mat_vec_qIL9ggml_type22ELi7ELb0ELb0EEvPKvS2_PKi31ggml_cuda_mm_fusion_args_devicePfj15HIP_vector_typeIjLj3EEjjjS8_jjjS8_jjjj,"axG",@progbits,_ZL13mul_mat_vec_qIL9ggml_type22ELi7ELb0ELb0EEvPKvS2_PKi31ggml_cuda_mm_fusion_args_devicePfj15HIP_vector_typeIjLj3EEjjjS8_jjjS8_jjjj,comdat
	.globl	_ZL13mul_mat_vec_qIL9ggml_type22ELi7ELb0ELb0EEvPKvS2_PKi31ggml_cuda_mm_fusion_args_devicePfj15HIP_vector_typeIjLj3EEjjjS8_jjjS8_jjjj ; -- Begin function _ZL13mul_mat_vec_qIL9ggml_type22ELi7ELb0ELb0EEvPKvS2_PKi31ggml_cuda_mm_fusion_args_devicePfj15HIP_vector_typeIjLj3EEjjjS8_jjjS8_jjjj
	.p2align	8
	.type	_ZL13mul_mat_vec_qIL9ggml_type22ELi7ELb0ELb0EEvPKvS2_PKi31ggml_cuda_mm_fusion_args_devicePfj15HIP_vector_typeIjLj3EEjjjS8_jjjS8_jjjj,@function
_ZL13mul_mat_vec_qIL9ggml_type22ELi7ELb0ELb0EEvPKvS2_PKi31ggml_cuda_mm_fusion_args_devicePfj15HIP_vector_typeIjLj3EEjjjS8_jjjS8_jjjj: ; @_ZL13mul_mat_vec_qIL9ggml_type22ELi7ELb0ELb0EEvPKvS2_PKi31ggml_cuda_mm_fusion_args_devicePfj15HIP_vector_typeIjLj3EEjjjS8_jjjS8_jjjj
; %bb.0:
	s_clause 0x5
	s_load_dword s9, s[4:5], 0x40
	s_load_dwordx4 s[0:3], s[4:5], 0x50
	s_load_dword s11, s[4:5], 0x60
	s_load_dwordx4 s[12:15], s[4:5], 0x68
	;; [unrolled: 2-line block ×3, first 2 shown]
	v_lshl_or_b32 v2, v1, 5, v0
	v_mov_b32_e32 v11, 0
	v_mov_b32_e32 v12, 0
	;; [unrolled: 1-line block ×4, first 2 shown]
	v_lshrrev_b32_e32 v17, 3, v2
	v_mov_b32_e32 v15, 0
	v_mov_b32_e32 v16, 0
	;; [unrolled: 1-line block ×3, first 2 shown]
	s_waitcnt lgkmcnt(0)
	s_lshr_b32 s10, s9, 8
	s_mov_b32 s9, exec_lo
	v_cmpx_gt_u32_e64 s10, v17
	s_cbranch_execz .LBB190_4
; %bb.1:
	s_mul_i32 s13, s13, s7
	s_load_dwordx4 s[20:23], s[4:5], 0x0
	s_mul_hi_u32 s27, s13, 36
	s_mul_i32 s26, s13, 36
	s_mul_i32 s17, s17, s8
	v_mad_u64_u32 v[2:3], null, 0x120, v17, s[26:27]
	v_and_b32_e32 v19, 7, v0
	v_lshlrev_b32_e32 v8, 3, v17
	s_mul_hi_u32 s3, s3, s7
	s_mul_hi_u32 s15, s15, s8
	s_add_i32 s3, s7, s3
	s_add_i32 s15, s8, s15
	v_mad_u64_u32 v[4:5], null, s17, 36, v[2:3]
	s_mul_i32 s25, s17, 36
	s_lshr_b32 s3, s3, s11
	s_mul_hi_u32 s19, s17, 36
	s_lshr_b32 s11, s15, s24
	s_mul_i32 s3, s3, s12
	v_lshlrev_b32_e32 v11, 1, v19
	v_mad_u64_u32 v[9:10], null, v19, 36, v[4:5]
	s_waitcnt lgkmcnt(0)
	s_add_u32 s12, s22, s25
	s_addc_u32 s13, s23, s19
	s_add_u32 s12, s12, s26
	s_addc_u32 s13, s13, s27
	s_mul_i32 s0, s0, s6
	v_mad_u64_u32 v[2:3], null, v19, 36, s[12:13]
	v_mad_u64_u32 v[4:5], null, s1, 6, v[8:9]
	;; [unrolled: 1-line block ×4, first 2 shown]
	v_add_co_u32 v7, vcc_lo, s22, v9
	v_add_co_ci_u32_e64 v9, null, s23, v10, vcc_lo
	v_mov_b32_e32 v20, 0
	v_add_co_u32 v7, vcc_lo, v7, 16
	v_add_nc_u32_e32 v21, s1, v8
	v_lshl_add_u32 v22, s1, 2, v8
	v_lshl_add_u32 v23, s1, 1, v8
	v_add_co_ci_u32_e64 v8, null, 0, v9, vcc_lo
	v_lshlrev_b32_e32 v24, 1, v11
	v_mov_b32_e32 v11, 0
	v_mov_b32_e32 v12, 0
	v_mov_b32_e32 v13, 0
	v_mov_b32_e32 v14, 0
	v_mov_b32_e32 v15, 0
	v_mov_b32_e32 v16, 0
	v_mov_b32_e32 v18, 0
	s_mul_i32 s11, s11, s16
	s_add_i32 s3, s3, s0
	s_add_i32 s11, s11, s3
	s_mov_b32 s3, 0
.LBB190_2:                              ; =>This Inner Loop Header: Depth=1
	v_add_nc_u32_e32 v9, s11, v17
	s_getpc_b64 s[0:1]
	s_add_u32 s0, s0, _ZL9iq2s_grid@rel32@lo+4
	s_addc_u32 s1, s1, _ZL9iq2s_grid@rel32@hi+12
	v_add_nc_u32_e32 v17, 4, v17
	v_mad_i64_i32 v[9:10], null, 0x52, v9, s[20:21]
	v_add_co_u32 v25, vcc_lo, v9, v24
	v_add_co_ci_u32_e64 v26, null, 0, v10, vcc_lo
	v_add_co_u32 v27, vcc_lo, v9, v19
	v_add_co_ci_u32_e64 v28, null, 0, v10, vcc_lo
	s_clause 0x4
	global_load_dword v29, v[25:26], off offset:2
	global_load_ubyte v32, v[27:28], off offset:66
	global_load_dword v33, v[25:26], off offset:34
	global_load_ubyte v34, v[27:28], off offset:74
	global_load_ushort v9, v[9:10], off
	s_waitcnt vmcnt(4)
	v_and_b32_e32 v25, 0xff, v29
	v_lshrrev_b32_e32 v31, 24, v29
	s_waitcnt vmcnt(3)
	v_lshlrev_b32_e32 v26, 8, v32
	s_waitcnt vmcnt(2)
	v_lshlrev_b32_e32 v27, 21, v33
	v_lshrrev_b32_e32 v30, 16, v33
	s_waitcnt vmcnt(0)
	v_cvt_f32_f16_e32 v9, v9
	v_and_or_b32 v25, 0x300, v26, v25
	v_and_b32_e32 v26, 0xff, v33
	v_lshlrev_b32_e32 v25, 3, v25
	v_lshl_or_b32 v27, v26, 7, v27
	v_and_b32_e32 v28, 0x1800180, v27
	v_bfe_u32 v27, v27, 24, 1
	v_cmp_ne_u16_sdwa s12, v28, v20 src0_sel:BYTE_1 src1_sel:DWORD
	v_cmp_ne_u16_e32 vcc_lo, 0, v27
	v_lshrrev_b16 v27, 7, v28
	v_lshrrev_b32_e32 v28, 2, v33
	v_cndmask_b32_e64 v35, 0, -1, s12
	v_cndmask_b32_e64 v37, 0, -1, vcc_lo
	v_bfe_i32 v27, v27, 0, 1
	v_bfe_i32 v28, v28, 0, 1
	v_lshlrev_b16 v35, 8, v35
	v_lshlrev_b16 v37, 8, v37
	v_or_b32_sdwa v36, v27, v35 dst_sel:DWORD dst_unused:UNUSED_PAD src0_sel:BYTE_0 src1_sel:DWORD
	v_or_b32_sdwa v38, v28, v37 dst_sel:WORD_1 dst_unused:UNUSED_PAD src0_sel:BYTE_0 src1_sel:DWORD
	v_lshlrev_b16 v27, 8, v27
	v_lshlrev_b16 v28, 8, v28
	v_or_b32_sdwa v36, v36, v38 dst_sel:DWORD dst_unused:UNUSED_PAD src0_sel:WORD_0 src1_sel:DWORD
	v_lshlrev_b32_e32 v38, 17, v33
	v_lshl_or_b32 v26, v26, 3, v38
	v_and_b32_e32 v38, 0x1800180, v26
	v_bfe_u32 v26, v26, 24, 1
	v_cmp_ne_u16_sdwa s12, v38, v20 src0_sel:BYTE_1 src1_sel:DWORD
	v_cmp_ne_u16_e32 vcc_lo, 0, v26
	v_lshrrev_b16 v26, 7, v38
	v_lshrrev_b32_e32 v38, 6, v33
	v_cndmask_b32_e64 v41, 0, -1, vcc_lo
	v_bfe_i32 v39, v26, 0, 1
	v_cndmask_b32_e64 v26, 0, -1, s12
	v_bfe_i32 v38, v38, 0, 1
	v_lshlrev_b16 v41, 8, v41
	v_lshlrev_b16 v40, 8, v26
	v_or_b32_sdwa v42, v38, v41 dst_sel:WORD_1 dst_unused:UNUSED_PAD src0_sel:BYTE_0 src1_sel:DWORD
	v_or_b32_sdwa v26, v39, v40 dst_sel:DWORD dst_unused:UNUSED_PAD src0_sel:BYTE_0 src1_sel:DWORD
	v_or_b32_sdwa v42, v26, v42 dst_sel:DWORD dst_unused:UNUSED_PAD src0_sel:WORD_0 src1_sel:DWORD
	global_load_dwordx2 v[25:26], v25, s[0:1]
	s_waitcnt vmcnt(0)
	v_xor_b32_e32 v25, v25, v36
	v_xor_b32_e32 v26, v26, v42
	v_lshrrev_b32_e32 v36, 16, v25
	v_and_b32_e32 v43, 0xffffff00, v25
	v_lshlrev_b16 v25, 8, v25
	v_sub_nc_i16 v35, v43, v35 clamp
	v_sub_nc_i16 v25, v25, v27 clamp
	v_and_b32_e32 v27, 0xffffff00, v36
	v_perm_b32 v25, v25, v35, 0xc0c0105
	v_lshlrev_b16 v35, 8, v36
	v_sub_nc_i16 v27, v27, v37 clamp
	v_lshrrev_b32_e32 v36, 10, v33
	v_sub_nc_i16 v28, v35, v28 clamp
	v_lshlrev_b16 v35, 8, v39
	v_bfe_i32 v36, v36, 0, 1
	v_perm_b32 v27, v28, v27, 0xc0c0105
	v_and_b32_e32 v28, 0xffffff00, v26
	v_lshl_or_b32 v25, v27, 16, v25
	v_lshrrev_b32_e32 v27, 16, v26
	v_lshlrev_b16 v26, 8, v26
	v_sub_nc_i16 v28, v28, v40 clamp
	v_lshrrev_b32_e32 v40, 15, v33
	v_sub_nc_i16 v26, v26, v35 clamp
	v_lshlrev_b16 v35, 8, v38
	v_bfe_i32 v40, v40, 0, 1
	v_perm_b32 v26, v26, v28, 0xc0c0105
	v_and_b32_e32 v28, 0xffffff00, v27
	v_lshlrev_b16 v27, 8, v27
	v_lshlrev_b16 v40, 8, v40
	v_sub_nc_i16 v28, v28, v41 clamp
	v_sub_nc_i16 v27, v27, v35 clamp
	v_lshrrev_b32_e32 v35, 11, v33
	v_lshrrev_b32_e32 v41, 14, v33
	v_perm_b32 v27, v27, v28, 0xc0c0105
	v_lshlrev_b32_e32 v28, 6, v32
	v_bfe_i32 v35, v35, 0, 1
	v_bfe_i32 v41, v41, 0, 1
	v_lshl_or_b32 v26, v27, 16, v26
	v_bfe_u32 v27, v29, 8, 8
	v_lshlrev_b16 v35, 8, v35
	v_or_b32_sdwa v44, v41, v40 dst_sel:WORD_1 dst_unused:UNUSED_PAD src0_sel:BYTE_0 src1_sel:DWORD
	v_bfe_u32 v29, v29, 16, 8
	v_and_or_b32 v27, 0x300, v28, v27
	v_lshrrev_b32_e32 v28, 1, v33
	v_or_b32_sdwa v39, v36, v35 dst_sel:WORD_1 dst_unused:UNUSED_PAD src0_sel:BYTE_0 src1_sel:DWORD
	v_lshlrev_b16 v36, 8, v36
	v_lshlrev_b32_e32 v27, 3, v27
	v_and_b32_e32 v28, 0x180, v28
	v_cmp_ne_u16_sdwa s12, v28, v20 src0_sel:BYTE_1 src1_sel:DWORD
	v_lshrrev_b16 v28, 7, v28
	v_bfe_i32 v37, v28, 0, 1
	v_cndmask_b32_e64 v28, 0, -1, s12
	v_lshlrev_b16 v38, 8, v28
	v_or_b32_sdwa v28, v37, v38 dst_sel:DWORD dst_unused:UNUSED_PAD src0_sel:BYTE_0 src1_sel:DWORD
	v_lshlrev_b16 v37, 8, v37
	v_or_b32_sdwa v39, v28, v39 dst_sel:DWORD dst_unused:UNUSED_PAD src0_sel:WORD_0 src1_sel:DWORD
	v_lshrrev_b32_e32 v28, 5, v33
	v_and_b32_e32 v28, 0x180, v28
	v_cmp_ne_u16_sdwa s12, v28, v20 src0_sel:BYTE_1 src1_sel:DWORD
	v_lshrrev_b16 v28, 7, v28
	v_bfe_i32 v42, v28, 0, 1
	v_cndmask_b32_e64 v28, 0, -1, s12
	v_lshlrev_b16 v43, 8, v28
	v_or_b32_sdwa v28, v42, v43 dst_sel:DWORD dst_unused:UNUSED_PAD src0_sel:BYTE_0 src1_sel:DWORD
	v_or_b32_sdwa v44, v28, v44 dst_sel:DWORD dst_unused:UNUSED_PAD src0_sel:WORD_0 src1_sel:DWORD
	global_load_dwordx2 v[27:28], v27, s[0:1]
	s_waitcnt vmcnt(0)
	v_xor_b32_e32 v27, v27, v39
	v_xor_b32_e32 v28, v28, v44
	v_lshrrev_b32_e32 v39, 16, v27
	v_and_b32_e32 v45, 0xffffff00, v27
	v_lshlrev_b16 v27, 8, v27
	v_sub_nc_i16 v38, v45, v38 clamp
	v_sub_nc_i16 v27, v27, v37 clamp
	v_and_b32_e32 v37, 0xffffff00, v39
	v_perm_b32 v27, v27, v38, 0xc0c0105
	v_sub_nc_i16 v35, v37, v35 clamp
	v_lshlrev_b16 v37, 8, v39
	v_sub_nc_i16 v36, v37, v36 clamp
	v_lshlrev_b16 v37, 8, v42
	v_perm_b32 v35, v36, v35, 0xc0c0105
	v_and_b32_e32 v36, 0xffffff00, v28
	v_lshl_or_b32 v27, v35, 16, v27
	v_lshrrev_b32_e32 v35, 16, v28
	v_lshlrev_b16 v28, 8, v28
	v_sub_nc_i16 v36, v36, v43 clamp
	v_sub_nc_i16 v28, v28, v37 clamp
	v_lshlrev_b16 v37, 8, v41
	v_perm_b32 v28, v28, v36, 0xc0c0105
	v_and_b32_e32 v36, 0xffffff00, v35
	v_lshlrev_b16 v35, 8, v35
	v_sub_nc_i16 v36, v36, v40 clamp
	v_sub_nc_i16 v35, v35, v37 clamp
	v_perm_b32 v35, v35, v36, 0xc0c0105
	v_lshl_or_b32 v28, v35, 16, v28
	v_lshlrev_b32_e32 v35, 4, v32
	v_lshlrev_b32_e32 v32, 2, v32
	v_and_or_b32 v29, 0x300, v35, v29
	v_lshrrev_b32_e32 v35, 9, v33
	v_and_or_b32 v31, 0x300, v32, v31
	v_lshrrev_b32_e32 v32, 17, v33
	v_lshlrev_b32_e32 v29, 3, v29
	v_lshl_or_b32 v35, v30, 21, v35
	v_lshlrev_b32_e32 v31, 3, v31
	v_and_b32_e32 v36, 0x1800180, v35
	v_bfe_u32 v35, v35, 24, 1
	v_cmp_ne_u16_sdwa s12, v36, v20 src0_sel:BYTE_1 src1_sel:DWORD
	v_cmp_ne_u16_e32 vcc_lo, 0, v35
	v_lshrrev_b16 v35, 7, v36
	v_lshrrev_b32_e32 v36, 18, v33
	v_cndmask_b32_e64 v37, 0, -1, s12
	v_cndmask_b32_e64 v39, 0, -1, vcc_lo
	v_bfe_i32 v35, v35, 0, 1
	v_bfe_i32 v36, v36, 0, 1
	v_lshlrev_b16 v37, 8, v37
	v_lshlrev_b16 v39, 8, v39
	v_or_b32_sdwa v38, v35, v37 dst_sel:DWORD dst_unused:UNUSED_PAD src0_sel:BYTE_0 src1_sel:DWORD
	v_or_b32_sdwa v40, v36, v39 dst_sel:WORD_1 dst_unused:UNUSED_PAD src0_sel:BYTE_0 src1_sel:DWORD
	v_lshlrev_b16 v35, 8, v35
	v_lshlrev_b16 v36, 8, v36
	v_or_b32_sdwa v38, v38, v40 dst_sel:DWORD dst_unused:UNUSED_PAD src0_sel:WORD_0 src1_sel:DWORD
	v_lshrrev_b32_e32 v40, 13, v33
	v_lshl_or_b32 v30, v30, 17, v40
	v_and_b32_e32 v40, 0x1800180, v30
	v_bfe_u32 v30, v30, 24, 1
	v_cmp_ne_u16_sdwa s12, v40, v20 src0_sel:BYTE_1 src1_sel:DWORD
	v_cmp_ne_u16_e32 vcc_lo, 0, v30
	v_lshrrev_b16 v30, 7, v40
	v_lshrrev_b32_e32 v40, 22, v33
	v_cndmask_b32_e64 v43, 0, -1, vcc_lo
	v_bfe_i32 v41, v30, 0, 1
	v_cndmask_b32_e64 v30, 0, -1, s12
	v_bfe_i32 v40, v40, 0, 1
	v_lshlrev_b16 v43, 8, v43
	v_lshlrev_b16 v42, 8, v30
	v_or_b32_sdwa v44, v40, v43 dst_sel:WORD_1 dst_unused:UNUSED_PAD src0_sel:BYTE_0 src1_sel:DWORD
	v_or_b32_sdwa v30, v41, v42 dst_sel:DWORD dst_unused:UNUSED_PAD src0_sel:BYTE_0 src1_sel:DWORD
	v_or_b32_sdwa v44, v30, v44 dst_sel:DWORD dst_unused:UNUSED_PAD src0_sel:WORD_0 src1_sel:DWORD
	global_load_dwordx2 v[29:30], v29, s[0:1]
	s_waitcnt vmcnt(0)
	v_xor_b32_e32 v29, v29, v38
	v_xor_b32_e32 v30, v30, v44
	v_lshrrev_b32_e32 v38, 16, v29
	v_and_b32_e32 v45, 0xffffff00, v29
	v_lshlrev_b16 v29, 8, v29
	v_sub_nc_i16 v37, v45, v37 clamp
	v_sub_nc_i16 v29, v29, v35 clamp
	v_and_b32_e32 v35, 0xffffff00, v38
	v_perm_b32 v29, v29, v37, 0xc0c0105
	v_lshlrev_b16 v37, 8, v38
	v_sub_nc_i16 v35, v35, v39 clamp
	v_sub_nc_i16 v36, v37, v36 clamp
	v_lshlrev_b16 v37, 8, v41
	v_lshrrev_b32_e32 v41, 31, v33
	v_perm_b32 v35, v36, v35, 0xc0c0105
	v_and_b32_e32 v36, 0xffffff00, v30
	v_lshl_or_b32 v29, v35, 16, v29
	v_lshrrev_b32_e32 v35, 16, v30
	v_lshlrev_b16 v30, 8, v30
	v_sub_nc_i16 v36, v36, v42 clamp
	v_sub_nc_i16 v30, v30, v37 clamp
	v_lshlrev_b16 v37, 8, v40
	v_perm_b32 v30, v30, v36, 0xc0c0105
	v_and_b32_e32 v36, 0xffffff00, v35
	v_lshlrev_b16 v35, 8, v35
	v_sub_nc_i16 v36, v36, v43 clamp
	v_sub_nc_i16 v35, v35, v37 clamp
	v_perm_b32 v35, v35, v36, 0xc0c0105
	v_lshl_or_b32 v30, v35, 16, v30
	v_lshrrev_b32_e32 v35, 24, v33
	v_lshl_or_b32 v32, v35, 21, v32
	v_and_b32_e32 v35, 0x1800180, v32
	v_bfe_u32 v32, v32, 24, 1
	v_cmp_ne_u16_sdwa s12, v35, v20 src0_sel:BYTE_1 src1_sel:DWORD
	v_cmp_ne_u16_e32 vcc_lo, 0, v32
	v_lshrrev_b16 v32, 7, v35
	v_lshrrev_b32_e32 v35, 26, v33
	v_cndmask_b32_e64 v38, 0, -1, vcc_lo
	v_bfe_i32 v36, v32, 0, 1
	v_cndmask_b32_e64 v32, 0, -1, s12
	v_bfe_i32 v35, v35, 0, 1
	v_cmp_ne_u16_e32 vcc_lo, 0, v41
	v_lshlrev_b16 v38, 8, v38
	v_lshlrev_b16 v37, 8, v32
	v_cndmask_b32_e64 v42, 0, -1, vcc_lo
	v_or_b32_sdwa v39, v35, v38 dst_sel:WORD_1 dst_unused:UNUSED_PAD src0_sel:BYTE_0 src1_sel:DWORD
	v_lshlrev_b16 v35, 8, v35
	v_or_b32_sdwa v32, v36, v37 dst_sel:DWORD dst_unused:UNUSED_PAD src0_sel:BYTE_0 src1_sel:DWORD
	v_lshlrev_b16 v36, 8, v36
	v_lshlrev_b16 v42, 8, v42
	v_or_b32_sdwa v39, v32, v39 dst_sel:DWORD dst_unused:UNUSED_PAD src0_sel:WORD_0 src1_sel:DWORD
	v_lshrrev_b32_e32 v32, 21, v33
	v_lshrrev_b32_e32 v33, 30, v33
	v_lshrrev_b16 v40, 8, v32
	v_lshrrev_b16 v32, 7, v32
	v_bfe_i32 v33, v33, 0, 1
	v_bfe_i32 v40, v40, 0, 1
	;; [unrolled: 1-line block ×3, first 2 shown]
	v_or_b32_sdwa v43, v33, v42 dst_sel:WORD_1 dst_unused:UNUSED_PAD src0_sel:BYTE_0 src1_sel:DWORD
	v_lshlrev_b16 v33, 8, v33
	v_lshlrev_b16 v40, 8, v40
	v_or_b32_sdwa v32, v41, v40 dst_sel:DWORD dst_unused:UNUSED_PAD src0_sel:BYTE_0 src1_sel:DWORD
	v_or_b32_sdwa v43, v32, v43 dst_sel:DWORD dst_unused:UNUSED_PAD src0_sel:WORD_0 src1_sel:DWORD
	global_load_dwordx2 v[31:32], v31, s[0:1]
	s_waitcnt vmcnt(0)
	v_xor_b32_e32 v31, v31, v39
	v_xor_b32_e32 v32, v32, v43
	v_mov_b32_e32 v43, 0
	v_lshrrev_b32_e32 v39, 16, v31
	v_and_b32_e32 v44, 0xffffff00, v31
	v_lshlrev_b16 v31, 8, v31
	v_sub_nc_i16 v37, v44, v37 clamp
	v_sub_nc_i16 v31, v31, v36 clamp
	v_and_b32_e32 v36, 0xffffff00, v39
	v_perm_b32 v31, v31, v37, 0xc0c0105
	v_lshlrev_b16 v37, 8, v39
	v_sub_nc_i16 v36, v36, v38 clamp
	v_sub_nc_i16 v35, v37, v35 clamp
	v_lshlrev_b16 v37, 8, v41
	v_perm_b32 v35, v35, v36, 0xc0c0105
	v_and_b32_e32 v36, 0xffffff00, v32
	v_lshl_or_b32 v31, v35, 16, v31
	v_lshrrev_b32_e32 v35, 16, v32
	v_lshlrev_b16 v32, 8, v32
	v_sub_nc_i16 v36, v36, v40 clamp
	v_sub_nc_i16 v32, v32, v37 clamp
	v_perm_b32 v32, v32, v36, 0xc0c0105
	v_and_b32_e32 v36, 0xffffff00, v35
	v_lshlrev_b16 v35, 8, v35
	v_sub_nc_i16 v36, v36, v42 clamp
	v_sub_nc_i16 v33, v35, v33 clamp
	v_perm_b32 v33, v33, v36, 0xc0c0105
	s_clause 0x2
	global_load_dwordx4 v[35:38], v[7:8], off offset:-16
	global_load_dword v10, v[7:8], off offset:16
	global_load_dwordx4 v[39:42], v[7:8], off
	v_add_co_u32 v7, vcc_lo, 0x480, v7
	v_add_co_ci_u32_e64 v8, null, 0, v8, vcc_lo
	v_lshl_or_b32 v33, v33, 16, v32
	v_lshrrev_b32_e32 v32, 4, v34
	v_and_b32_e32 v34, 15, v34
	v_cmp_le_u32_e32 vcc_lo, s10, v17
	s_or_b32 s3, vcc_lo, s3
	s_waitcnt vmcnt(2)
	v_dot4c_i32_i8 v43, v25, v36
	v_mov_b32_e32 v36, 0
	v_cvt_f32_f16_e32 v35, v35
	v_dot4c_i32_i8 v43, v26, v37
	s_waitcnt vmcnt(0)
	v_dot4c_i32_i8 v36, v29, v40
	v_mul_f32_e32 v35, v9, v35
	v_dot4c_i32_i8 v43, v27, v38
	v_dot4c_i32_i8 v36, v30, v41
	v_dot4c_i32_i8 v43, v28, v39
	v_dot4c_i32_i8 v36, v31, v42
	v_mad_u64_u32 v[39:40], null, v21, 36, v[2:3]
	v_add_nc_u32_e32 v21, 32, v21
	v_dot4c_i32_i8 v36, v33, v10
	v_mul_lo_u32 v10, v43, v34
	v_mul_lo_u32 v37, v36, v32
	v_add_nc_u32_e32 v36, v36, v43
	v_mov_b32_e32 v43, 0
	v_lshrrev_b32_e32 v38, 31, v36
	v_add_nc_u32_e32 v36, v36, v38
	v_ashrrev_i32_e32 v36, 1, v36
	v_add3_u32 v10, v37, v10, v36
	v_ashrrev_i32_e32 v36, 31, v10
	v_lshrrev_b32_e32 v36, 30, v36
	v_add_nc_u32_e32 v10, v10, v36
	v_ashrrev_i32_e32 v10, 2, v10
	v_cvt_f32_i32_e32 v10, v10
	v_fmac_f32_e32 v18, v35, v10
	s_clause 0x2
	global_load_dwordx4 v[35:38], v[39:40], off
	global_load_dword v10, v[39:40], off offset:32
	global_load_dwordx4 v[39:42], v[39:40], off offset:16
	s_waitcnt vmcnt(2)
	v_dot4c_i32_i8 v43, v25, v36
	v_mov_b32_e32 v36, 0
	v_cvt_f32_f16_e32 v35, v35
	v_dot4c_i32_i8 v43, v26, v37
	s_waitcnt vmcnt(0)
	v_dot4c_i32_i8 v36, v29, v40
	v_mul_f32_e32 v35, v9, v35
	v_dot4c_i32_i8 v43, v27, v38
	v_dot4c_i32_i8 v36, v30, v41
	v_dot4c_i32_i8 v43, v28, v39
	v_dot4c_i32_i8 v36, v31, v42
	v_mad_u64_u32 v[39:40], null, v23, 36, v[2:3]
	v_add_nc_u32_e32 v23, 32, v23
	v_dot4c_i32_i8 v36, v33, v10
	v_mul_lo_u32 v10, v43, v34
	v_mul_lo_u32 v37, v36, v32
	v_add_nc_u32_e32 v36, v36, v43
	v_mov_b32_e32 v43, 0
	v_lshrrev_b32_e32 v38, 31, v36
	v_add_nc_u32_e32 v36, v36, v38
	v_ashrrev_i32_e32 v36, 1, v36
	v_add3_u32 v10, v37, v10, v36
	v_ashrrev_i32_e32 v36, 31, v10
	v_lshrrev_b32_e32 v36, 30, v36
	v_add_nc_u32_e32 v10, v10, v36
	v_ashrrev_i32_e32 v10, 2, v10
	v_cvt_f32_i32_e32 v10, v10
	v_fmac_f32_e32 v16, v35, v10
	s_clause 0x2
	global_load_dwordx4 v[35:38], v[39:40], off
	global_load_dword v10, v[39:40], off offset:32
	global_load_dwordx4 v[39:42], v[39:40], off offset:16
	;; [unrolled: 33-line block ×6, first 2 shown]
	s_waitcnt vmcnt(2)
	v_dot4c_i32_i8 v43, v25, v36
	v_mov_b32_e32 v25, 0
	v_dot4c_i32_i8 v43, v26, v37
	s_waitcnt vmcnt(0)
	v_dot4c_i32_i8 v25, v29, v40
	v_dot4c_i32_i8 v43, v27, v38
	;; [unrolled: 1-line block ×6, first 2 shown]
	v_mul_lo_u32 v10, v43, v34
	v_mul_lo_u32 v26, v25, v32
	v_add_nc_u32_e32 v25, v25, v43
	v_lshrrev_b32_e32 v27, 31, v25
	v_add_nc_u32_e32 v25, v25, v27
	v_ashrrev_i32_e32 v25, 1, v25
	v_add3_u32 v10, v26, v10, v25
	v_ashrrev_i32_e32 v25, 31, v10
	v_lshrrev_b32_e32 v25, 30, v25
	v_add_nc_u32_e32 v10, v10, v25
	v_cvt_f32_f16_e32 v25, v35
	v_ashrrev_i32_e32 v10, 2, v10
	v_mul_f32_e32 v9, v9, v25
	v_cvt_f32_i32_e32 v10, v10
	v_fmac_f32_e32 v11, v9, v10
	s_andn2_b32 exec_lo, exec_lo, s3
	s_cbranch_execnz .LBB190_2
; %bb.3:
	s_or_b32 exec_lo, exec_lo, s3
.LBB190_4:
	s_or_b32 exec_lo, exec_lo, s9
	s_mov_b32 s1, 0
	; wave barrier
	buffer_gl0_inv
	s_mov_b32 s0, exec_lo
	v_cmpx_eq_u32_e32 0, v1
	s_cbranch_execz .LBB190_19
; %bb.5:
	v_mbcnt_lo_u32_b32 v5, -1, 0
	s_load_dwordx2 s[4:5], s[4:5], 0x38
	s_mul_i32 s0, s14, s7
	s_mul_i32 s3, s18, s8
	s_add_i32 s0, s0, s6
	v_xor_b32_e32 v1, 16, v5
	v_xor_b32_e32 v2, 8, v5
	v_xor_b32_e32 v8, 1, v5
	s_add_i32 s0, s0, s3
	s_lshl_b64 s[0:1], s[0:1], 2
	v_cmp_gt_i32_e32 vcc_lo, 32, v1
	v_cndmask_b32_e32 v1, v5, v1, vcc_lo
	v_cmp_gt_i32_e32 vcc_lo, 32, v2
	v_lshlrev_b32_e32 v1, 2, v1
	v_cndmask_b32_e32 v2, v5, v2, vcc_lo
	s_waitcnt lgkmcnt(0)
	s_add_u32 s0, s4, s0
	s_addc_u32 s1, s5, s1
	ds_bpermute_b32 v3, v1, v18
	v_lshlrev_b32_e32 v2, 2, v2
	s_waitcnt lgkmcnt(0)
	v_add_f32_e32 v4, v18, v3
	v_xor_b32_e32 v3, 4, v5
	ds_bpermute_b32 v6, v2, v4
	v_cmp_gt_i32_e32 vcc_lo, 32, v3
	v_cndmask_b32_e32 v3, v5, v3, vcc_lo
	v_lshlrev_b32_e32 v3, 2, v3
	s_waitcnt lgkmcnt(0)
	v_add_f32_e32 v6, v4, v6
	v_xor_b32_e32 v4, 2, v5
	ds_bpermute_b32 v7, v3, v6
	v_cmp_gt_i32_e32 vcc_lo, 32, v4
	v_cndmask_b32_e32 v4, v5, v4, vcc_lo
	v_cmp_gt_i32_e32 vcc_lo, 32, v8
	v_lshlrev_b32_e32 v4, 2, v4
	v_cndmask_b32_e32 v5, v5, v8, vcc_lo
	v_cmp_eq_u32_e32 vcc_lo, 0, v0
	v_lshlrev_b32_e32 v5, 2, v5
	s_waitcnt lgkmcnt(0)
	v_add_f32_e32 v6, v6, v7
	ds_bpermute_b32 v7, v4, v6
	s_waitcnt lgkmcnt(0)
	v_add_f32_e32 v6, v6, v7
	ds_bpermute_b32 v7, v5, v6
	s_and_saveexec_b32 s3, vcc_lo
	s_cbranch_execz .LBB190_7
; %bb.6:
	s_waitcnt lgkmcnt(0)
	v_add_f32_e32 v0, v6, v7
	v_mov_b32_e32 v6, 0
	global_store_dword v6, v0, s[0:1]
.LBB190_7:
	s_or_b32 exec_lo, exec_lo, s3
	ds_bpermute_b32 v0, v1, v16
	s_waitcnt lgkmcnt(0)
	v_add_f32_e32 v0, v16, v0
	ds_bpermute_b32 v6, v2, v0
	s_waitcnt lgkmcnt(0)
	v_add_f32_e32 v0, v0, v6
	;; [unrolled: 3-line block ×4, first 2 shown]
	ds_bpermute_b32 v6, v5, v0
	s_and_saveexec_b32 s4, vcc_lo
	s_cbranch_execz .LBB190_9
; %bb.8:
	s_mov_b32 s3, 0
	s_waitcnt lgkmcnt(0)
	v_add_f32_e32 v0, v0, v6
	s_lshl_b64 s[6:7], s[2:3], 2
	v_mov_b32_e32 v6, 0
	s_add_u32 s6, s0, s6
	s_addc_u32 s7, s1, s7
	global_store_dword v6, v0, s[6:7]
.LBB190_9:
	s_or_b32 exec_lo, exec_lo, s4
	ds_bpermute_b32 v0, v1, v15
	s_waitcnt lgkmcnt(0)
	v_add_f32_e32 v0, v15, v0
	ds_bpermute_b32 v6, v2, v0
	s_waitcnt lgkmcnt(0)
	v_add_f32_e32 v0, v0, v6
	;; [unrolled: 3-line block ×4, first 2 shown]
	ds_bpermute_b32 v6, v5, v0
	s_and_saveexec_b32 s3, vcc_lo
	s_cbranch_execz .LBB190_11
; %bb.10:
	s_lshl_b32 s4, s2, 1
	s_mov_b32 s5, 0
	s_waitcnt lgkmcnt(0)
	v_add_f32_e32 v0, v0, v6
	s_lshl_b64 s[4:5], s[4:5], 2
	v_mov_b32_e32 v6, 0
	s_add_u32 s4, s0, s4
	s_addc_u32 s5, s1, s5
	global_store_dword v6, v0, s[4:5]
.LBB190_11:
	s_or_b32 exec_lo, exec_lo, s3
	ds_bpermute_b32 v0, v1, v14
	s_waitcnt lgkmcnt(0)
	v_add_f32_e32 v0, v14, v0
	ds_bpermute_b32 v6, v2, v0
	s_waitcnt lgkmcnt(0)
	v_add_f32_e32 v0, v0, v6
	;; [unrolled: 3-line block ×4, first 2 shown]
	ds_bpermute_b32 v6, v5, v0
	s_and_saveexec_b32 s3, vcc_lo
	s_cbranch_execz .LBB190_13
; %bb.12:
	s_mul_i32 s4, s2, 3
	s_mov_b32 s5, 0
	s_waitcnt lgkmcnt(0)
	v_add_f32_e32 v0, v0, v6
	s_lshl_b64 s[4:5], s[4:5], 2
	v_mov_b32_e32 v6, 0
	s_add_u32 s4, s0, s4
	s_addc_u32 s5, s1, s5
	global_store_dword v6, v0, s[4:5]
.LBB190_13:
	s_or_b32 exec_lo, exec_lo, s3
	ds_bpermute_b32 v0, v1, v13
	s_waitcnt lgkmcnt(0)
	v_add_f32_e32 v0, v13, v0
	ds_bpermute_b32 v6, v2, v0
	s_waitcnt lgkmcnt(0)
	v_add_f32_e32 v0, v0, v6
	;; [unrolled: 3-line block ×4, first 2 shown]
	ds_bpermute_b32 v6, v5, v0
	s_and_saveexec_b32 s3, vcc_lo
	s_cbranch_execz .LBB190_15
; %bb.14:
	s_lshl_b32 s4, s2, 2
	s_mov_b32 s5, 0
	s_waitcnt lgkmcnt(0)
	v_add_f32_e32 v0, v0, v6
	s_lshl_b64 s[4:5], s[4:5], 2
	v_mov_b32_e32 v6, 0
	s_add_u32 s4, s0, s4
	s_addc_u32 s5, s1, s5
	global_store_dword v6, v0, s[4:5]
.LBB190_15:
	s_or_b32 exec_lo, exec_lo, s3
	ds_bpermute_b32 v0, v1, v12
	s_waitcnt lgkmcnt(0)
	v_add_f32_e32 v0, v12, v0
	ds_bpermute_b32 v6, v2, v0
	s_waitcnt lgkmcnt(0)
	v_add_f32_e32 v0, v0, v6
	ds_bpermute_b32 v6, v3, v0
	s_waitcnt lgkmcnt(0)
	v_add_f32_e32 v0, v0, v6
	ds_bpermute_b32 v6, v4, v0
	s_waitcnt lgkmcnt(0)
	v_add_f32_e32 v0, v0, v6
	ds_bpermute_b32 v6, v5, v0
	s_and_saveexec_b32 s3, vcc_lo
	s_cbranch_execz .LBB190_17
; %bb.16:
	s_mul_i32 s4, s2, 5
	s_mov_b32 s5, 0
	s_waitcnt lgkmcnt(0)
	v_add_f32_e32 v0, v0, v6
	s_lshl_b64 s[4:5], s[4:5], 2
	v_mov_b32_e32 v6, 0
	s_add_u32 s4, s0, s4
	s_addc_u32 s5, s1, s5
	global_store_dword v6, v0, s[4:5]
.LBB190_17:
	s_or_b32 exec_lo, exec_lo, s3
	ds_bpermute_b32 v0, v1, v11
	s_waitcnt lgkmcnt(0)
	v_add_f32_e32 v0, v11, v0
	ds_bpermute_b32 v1, v2, v0
	s_waitcnt lgkmcnt(0)
	v_add_f32_e32 v0, v0, v1
	;; [unrolled: 3-line block ×4, first 2 shown]
	ds_bpermute_b32 v1, v5, v0
	s_and_b32 exec_lo, exec_lo, vcc_lo
	s_cbranch_execz .LBB190_19
; %bb.18:
	s_mul_i32 s2, s2, 6
	s_mov_b32 s3, 0
	s_waitcnt lgkmcnt(0)
	v_add_f32_e32 v0, v0, v1
	s_lshl_b64 s[2:3], s[2:3], 2
	v_mov_b32_e32 v1, 0
	s_add_u32 s0, s0, s2
	s_addc_u32 s1, s1, s3
	global_store_dword v1, v0, s[0:1]
.LBB190_19:
	s_endpgm
	.section	.rodata,"a",@progbits
	.p2align	6, 0x0
	.amdhsa_kernel _ZL13mul_mat_vec_qIL9ggml_type22ELi7ELb0ELb0EEvPKvS2_PKi31ggml_cuda_mm_fusion_args_devicePfj15HIP_vector_typeIjLj3EEjjjS8_jjjS8_jjjj
		.amdhsa_group_segment_fixed_size 0
		.amdhsa_private_segment_fixed_size 0
		.amdhsa_kernarg_size 144
		.amdhsa_user_sgpr_count 6
		.amdhsa_user_sgpr_private_segment_buffer 1
		.amdhsa_user_sgpr_dispatch_ptr 0
		.amdhsa_user_sgpr_queue_ptr 0
		.amdhsa_user_sgpr_kernarg_segment_ptr 1
		.amdhsa_user_sgpr_dispatch_id 0
		.amdhsa_user_sgpr_flat_scratch_init 0
		.amdhsa_user_sgpr_private_segment_size 0
		.amdhsa_wavefront_size32 1
		.amdhsa_uses_dynamic_stack 0
		.amdhsa_system_sgpr_private_segment_wavefront_offset 0
		.amdhsa_system_sgpr_workgroup_id_x 1
		.amdhsa_system_sgpr_workgroup_id_y 1
		.amdhsa_system_sgpr_workgroup_id_z 1
		.amdhsa_system_sgpr_workgroup_info 0
		.amdhsa_system_vgpr_workitem_id 1
		.amdhsa_next_free_vgpr 46
		.amdhsa_next_free_sgpr 28
		.amdhsa_reserve_vcc 1
		.amdhsa_reserve_flat_scratch 0
		.amdhsa_float_round_mode_32 0
		.amdhsa_float_round_mode_16_64 0
		.amdhsa_float_denorm_mode_32 3
		.amdhsa_float_denorm_mode_16_64 3
		.amdhsa_dx10_clamp 1
		.amdhsa_ieee_mode 1
		.amdhsa_fp16_overflow 0
		.amdhsa_workgroup_processor_mode 1
		.amdhsa_memory_ordered 1
		.amdhsa_forward_progress 1
		.amdhsa_shared_vgpr_count 0
		.amdhsa_exception_fp_ieee_invalid_op 0
		.amdhsa_exception_fp_denorm_src 0
		.amdhsa_exception_fp_ieee_div_zero 0
		.amdhsa_exception_fp_ieee_overflow 0
		.amdhsa_exception_fp_ieee_underflow 0
		.amdhsa_exception_fp_ieee_inexact 0
		.amdhsa_exception_int_div_zero 0
	.end_amdhsa_kernel
	.section	.text._ZL13mul_mat_vec_qIL9ggml_type22ELi7ELb0ELb0EEvPKvS2_PKi31ggml_cuda_mm_fusion_args_devicePfj15HIP_vector_typeIjLj3EEjjjS8_jjjS8_jjjj,"axG",@progbits,_ZL13mul_mat_vec_qIL9ggml_type22ELi7ELb0ELb0EEvPKvS2_PKi31ggml_cuda_mm_fusion_args_devicePfj15HIP_vector_typeIjLj3EEjjjS8_jjjS8_jjjj,comdat
.Lfunc_end190:
	.size	_ZL13mul_mat_vec_qIL9ggml_type22ELi7ELb0ELb0EEvPKvS2_PKi31ggml_cuda_mm_fusion_args_devicePfj15HIP_vector_typeIjLj3EEjjjS8_jjjS8_jjjj, .Lfunc_end190-_ZL13mul_mat_vec_qIL9ggml_type22ELi7ELb0ELb0EEvPKvS2_PKi31ggml_cuda_mm_fusion_args_devicePfj15HIP_vector_typeIjLj3EEjjjS8_jjjS8_jjjj
                                        ; -- End function
	.set _ZL13mul_mat_vec_qIL9ggml_type22ELi7ELb0ELb0EEvPKvS2_PKi31ggml_cuda_mm_fusion_args_devicePfj15HIP_vector_typeIjLj3EEjjjS8_jjjS8_jjjj.num_vgpr, 46
	.set _ZL13mul_mat_vec_qIL9ggml_type22ELi7ELb0ELb0EEvPKvS2_PKi31ggml_cuda_mm_fusion_args_devicePfj15HIP_vector_typeIjLj3EEjjjS8_jjjS8_jjjj.num_agpr, 0
	.set _ZL13mul_mat_vec_qIL9ggml_type22ELi7ELb0ELb0EEvPKvS2_PKi31ggml_cuda_mm_fusion_args_devicePfj15HIP_vector_typeIjLj3EEjjjS8_jjjS8_jjjj.numbered_sgpr, 28
	.set _ZL13mul_mat_vec_qIL9ggml_type22ELi7ELb0ELb0EEvPKvS2_PKi31ggml_cuda_mm_fusion_args_devicePfj15HIP_vector_typeIjLj3EEjjjS8_jjjS8_jjjj.num_named_barrier, 0
	.set _ZL13mul_mat_vec_qIL9ggml_type22ELi7ELb0ELb0EEvPKvS2_PKi31ggml_cuda_mm_fusion_args_devicePfj15HIP_vector_typeIjLj3EEjjjS8_jjjS8_jjjj.private_seg_size, 0
	.set _ZL13mul_mat_vec_qIL9ggml_type22ELi7ELb0ELb0EEvPKvS2_PKi31ggml_cuda_mm_fusion_args_devicePfj15HIP_vector_typeIjLj3EEjjjS8_jjjS8_jjjj.uses_vcc, 1
	.set _ZL13mul_mat_vec_qIL9ggml_type22ELi7ELb0ELb0EEvPKvS2_PKi31ggml_cuda_mm_fusion_args_devicePfj15HIP_vector_typeIjLj3EEjjjS8_jjjS8_jjjj.uses_flat_scratch, 0
	.set _ZL13mul_mat_vec_qIL9ggml_type22ELi7ELb0ELb0EEvPKvS2_PKi31ggml_cuda_mm_fusion_args_devicePfj15HIP_vector_typeIjLj3EEjjjS8_jjjS8_jjjj.has_dyn_sized_stack, 0
	.set _ZL13mul_mat_vec_qIL9ggml_type22ELi7ELb0ELb0EEvPKvS2_PKi31ggml_cuda_mm_fusion_args_devicePfj15HIP_vector_typeIjLj3EEjjjS8_jjjS8_jjjj.has_recursion, 0
	.set _ZL13mul_mat_vec_qIL9ggml_type22ELi7ELb0ELb0EEvPKvS2_PKi31ggml_cuda_mm_fusion_args_devicePfj15HIP_vector_typeIjLj3EEjjjS8_jjjS8_jjjj.has_indirect_call, 0
	.section	.AMDGPU.csdata,"",@progbits
; Kernel info:
; codeLenInByte = 4744
; TotalNumSgprs: 30
; NumVgprs: 46
; ScratchSize: 0
; MemoryBound: 0
; FloatMode: 240
; IeeeMode: 1
; LDSByteSize: 0 bytes/workgroup (compile time only)
; SGPRBlocks: 0
; VGPRBlocks: 5
; NumSGPRsForWavesPerEU: 30
; NumVGPRsForWavesPerEU: 46
; Occupancy: 16
; WaveLimiterHint : 0
; COMPUTE_PGM_RSRC2:SCRATCH_EN: 0
; COMPUTE_PGM_RSRC2:USER_SGPR: 6
; COMPUTE_PGM_RSRC2:TRAP_HANDLER: 0
; COMPUTE_PGM_RSRC2:TGID_X_EN: 1
; COMPUTE_PGM_RSRC2:TGID_Y_EN: 1
; COMPUTE_PGM_RSRC2:TGID_Z_EN: 1
; COMPUTE_PGM_RSRC2:TIDIG_COMP_CNT: 1
	.section	.text._ZL13mul_mat_vec_qIL9ggml_type22ELi8ELb0ELb0EEvPKvS2_PKi31ggml_cuda_mm_fusion_args_devicePfj15HIP_vector_typeIjLj3EEjjjS8_jjjS8_jjjj,"axG",@progbits,_ZL13mul_mat_vec_qIL9ggml_type22ELi8ELb0ELb0EEvPKvS2_PKi31ggml_cuda_mm_fusion_args_devicePfj15HIP_vector_typeIjLj3EEjjjS8_jjjS8_jjjj,comdat
	.globl	_ZL13mul_mat_vec_qIL9ggml_type22ELi8ELb0ELb0EEvPKvS2_PKi31ggml_cuda_mm_fusion_args_devicePfj15HIP_vector_typeIjLj3EEjjjS8_jjjS8_jjjj ; -- Begin function _ZL13mul_mat_vec_qIL9ggml_type22ELi8ELb0ELb0EEvPKvS2_PKi31ggml_cuda_mm_fusion_args_devicePfj15HIP_vector_typeIjLj3EEjjjS8_jjjS8_jjjj
	.p2align	8
	.type	_ZL13mul_mat_vec_qIL9ggml_type22ELi8ELb0ELb0EEvPKvS2_PKi31ggml_cuda_mm_fusion_args_devicePfj15HIP_vector_typeIjLj3EEjjjS8_jjjS8_jjjj,@function
_ZL13mul_mat_vec_qIL9ggml_type22ELi8ELb0ELb0EEvPKvS2_PKi31ggml_cuda_mm_fusion_args_devicePfj15HIP_vector_typeIjLj3EEjjjS8_jjjS8_jjjj: ; @_ZL13mul_mat_vec_qIL9ggml_type22ELi8ELb0ELb0EEvPKvS2_PKi31ggml_cuda_mm_fusion_args_devicePfj15HIP_vector_typeIjLj3EEjjjS8_jjjS8_jjjj
; %bb.0:
	s_clause 0x5
	s_load_dword s9, s[4:5], 0x40
	s_load_dwordx4 s[0:3], s[4:5], 0x50
	s_load_dword s11, s[4:5], 0x60
	s_load_dwordx4 s[12:15], s[4:5], 0x68
	;; [unrolled: 2-line block ×3, first 2 shown]
	v_lshl_or_b32 v2, v1, 5, v0
	v_mov_b32_e32 v8, 0
	v_mov_b32_e32 v9, 0
	;; [unrolled: 1-line block ×4, first 2 shown]
	v_lshrrev_b32_e32 v15, 3, v2
	v_mov_b32_e32 v12, 0
	v_mov_b32_e32 v13, 0
	;; [unrolled: 1-line block ×4, first 2 shown]
	s_waitcnt lgkmcnt(0)
	s_lshr_b32 s19, s9, 8
	s_mov_b32 s9, exec_lo
	v_cmpx_gt_u32_e64 s19, v15
	s_cbranch_execz .LBB191_4
; %bb.1:
	s_mul_i32 s13, s13, s7
	s_load_dwordx4 s[20:23], s[4:5], 0x0
	s_mul_hi_u32 s25, s13, 36
	s_mul_i32 s24, s13, 36
	s_mul_i32 s17, s17, s8
	v_mad_u64_u32 v[2:3], null, 0x120, v15, s[24:25]
	v_and_b32_e32 v17, 7, v0
	s_mul_hi_u32 s3, s3, s7
	s_mul_hi_u32 s15, s15, s8
	s_add_i32 s3, s7, s3
	s_add_i32 s15, s8, s15
	s_mul_i32 s27, s17, 36
	v_mad_u64_u32 v[2:3], null, s17, 36, v[2:3]
	s_lshr_b32 s3, s3, s11
	s_lshr_b32 s10, s15, s10
	s_mul_hi_u32 s26, s17, 36
	s_mul_i32 s3, s3, s12
	s_mul_i32 s12, s10, s16
	v_lshlrev_b32_e32 v6, 1, v17
	v_mad_u64_u32 v[4:5], null, v17, 36, v[2:3]
	s_waitcnt lgkmcnt(0)
	s_add_u32 s10, s22, s27
	s_addc_u32 s11, s23, s26
	s_add_u32 s10, s10, s24
	s_addc_u32 s11, s11, s25
	s_mul_i32 s0, s0, s6
	v_mad_u64_u32 v[2:3], null, v17, 36, s[10:11]
	v_add_co_u32 v4, vcc_lo, s22, v4
	v_add_co_ci_u32_e64 v5, null, s23, v5, vcc_lo
	v_mov_b32_e32 v18, 0
	v_add_co_u32 v4, vcc_lo, v4, 16
	v_lshlrev_b32_e32 v19, 3, v15
	v_add_co_ci_u32_e64 v5, null, 0, v5, vcc_lo
	v_lshlrev_b32_e32 v20, 1, v6
	v_mov_b32_e32 v8, 0
	v_mov_b32_e32 v9, 0
	;; [unrolled: 1-line block ×8, first 2 shown]
	s_add_i32 s3, s3, s0
	s_mul_i32 s13, s1, 5
	s_add_i32 s0, s12, s3
	s_mul_i32 s3, s1, 7
	s_mul_i32 s12, s1, 6
	s_lshl_b32 s15, s1, 2
	s_mul_i32 s16, s1, 3
	s_lshl_b32 s22, s1, 1
	s_mov_b32 s17, 0
	s_getpc_b64 s[10:11]
	s_add_u32 s10, s10, _ZL9iq2s_grid@rel32@lo+4
	s_addc_u32 s11, s11, _ZL9iq2s_grid@rel32@hi+12
.LBB191_2:                              ; =>This Inner Loop Header: Depth=1
	v_add_nc_u32_e32 v6, s0, v15
	v_add_nc_u32_e32 v15, 4, v15
	v_mad_i64_i32 v[6:7], null, 0x52, v6, s[20:21]
	v_add_co_u32 v21, vcc_lo, v6, v20
	v_add_co_ci_u32_e64 v22, null, 0, v7, vcc_lo
	v_add_co_u32 v23, vcc_lo, v6, v17
	v_add_co_ci_u32_e64 v24, null, 0, v7, vcc_lo
	s_clause 0x4
	global_load_dword v25, v[21:22], off offset:2
	global_load_ubyte v28, v[23:24], off offset:66
	global_load_dword v29, v[21:22], off offset:34
	global_load_ubyte v30, v[23:24], off offset:74
	global_load_ushort v6, v[6:7], off
	s_waitcnt vmcnt(4)
	v_and_b32_e32 v21, 0xff, v25
	v_lshrrev_b32_e32 v27, 24, v25
	s_waitcnt vmcnt(3)
	v_lshlrev_b32_e32 v22, 8, v28
	s_waitcnt vmcnt(2)
	v_lshlrev_b32_e32 v23, 21, v29
	v_lshrrev_b32_e32 v26, 16, v29
	s_waitcnt vmcnt(0)
	v_cvt_f32_f16_e32 v6, v6
	v_and_or_b32 v21, 0x300, v22, v21
	v_and_b32_e32 v22, 0xff, v29
	v_lshlrev_b32_e32 v21, 3, v21
	v_lshl_or_b32 v23, v22, 7, v23
	v_and_b32_e32 v24, 0x1800180, v23
	v_bfe_u32 v23, v23, 24, 1
	v_cmp_ne_u16_sdwa s23, v24, v18 src0_sel:BYTE_1 src1_sel:DWORD
	v_cmp_ne_u16_e32 vcc_lo, 0, v23
	v_lshrrev_b16 v23, 7, v24
	v_lshrrev_b32_e32 v24, 2, v29
	v_cndmask_b32_e64 v31, 0, -1, s23
	v_cndmask_b32_e64 v33, 0, -1, vcc_lo
	v_bfe_i32 v23, v23, 0, 1
	v_bfe_i32 v24, v24, 0, 1
	v_lshlrev_b16 v31, 8, v31
	v_lshlrev_b16 v33, 8, v33
	v_or_b32_sdwa v32, v23, v31 dst_sel:DWORD dst_unused:UNUSED_PAD src0_sel:BYTE_0 src1_sel:DWORD
	v_or_b32_sdwa v34, v24, v33 dst_sel:WORD_1 dst_unused:UNUSED_PAD src0_sel:BYTE_0 src1_sel:DWORD
	v_lshlrev_b16 v23, 8, v23
	v_lshlrev_b16 v24, 8, v24
	v_or_b32_sdwa v32, v32, v34 dst_sel:DWORD dst_unused:UNUSED_PAD src0_sel:WORD_0 src1_sel:DWORD
	v_lshlrev_b32_e32 v34, 17, v29
	v_lshl_or_b32 v22, v22, 3, v34
	v_and_b32_e32 v34, 0x1800180, v22
	v_bfe_u32 v22, v22, 24, 1
	v_cmp_ne_u16_sdwa s23, v34, v18 src0_sel:BYTE_1 src1_sel:DWORD
	v_cmp_ne_u16_e32 vcc_lo, 0, v22
	v_lshrrev_b16 v22, 7, v34
	v_lshrrev_b32_e32 v34, 6, v29
	v_cndmask_b32_e64 v37, 0, -1, vcc_lo
	v_bfe_i32 v35, v22, 0, 1
	v_cndmask_b32_e64 v22, 0, -1, s23
	v_bfe_i32 v34, v34, 0, 1
	v_lshlrev_b16 v37, 8, v37
	v_lshlrev_b16 v36, 8, v22
	v_or_b32_sdwa v38, v34, v37 dst_sel:WORD_1 dst_unused:UNUSED_PAD src0_sel:BYTE_0 src1_sel:DWORD
	v_or_b32_sdwa v22, v35, v36 dst_sel:DWORD dst_unused:UNUSED_PAD src0_sel:BYTE_0 src1_sel:DWORD
	v_or_b32_sdwa v38, v22, v38 dst_sel:DWORD dst_unused:UNUSED_PAD src0_sel:WORD_0 src1_sel:DWORD
	global_load_dwordx2 v[21:22], v21, s[10:11]
	s_waitcnt vmcnt(0)
	v_xor_b32_e32 v21, v21, v32
	v_xor_b32_e32 v22, v22, v38
	v_lshrrev_b32_e32 v32, 16, v21
	v_and_b32_e32 v39, 0xffffff00, v21
	v_lshlrev_b16 v21, 8, v21
	v_sub_nc_i16 v31, v39, v31 clamp
	v_sub_nc_i16 v21, v21, v23 clamp
	v_and_b32_e32 v23, 0xffffff00, v32
	v_perm_b32 v21, v21, v31, 0xc0c0105
	v_lshlrev_b16 v31, 8, v32
	v_sub_nc_i16 v23, v23, v33 clamp
	v_lshrrev_b32_e32 v32, 10, v29
	v_sub_nc_i16 v24, v31, v24 clamp
	v_lshlrev_b16 v31, 8, v35
	v_bfe_i32 v32, v32, 0, 1
	v_perm_b32 v23, v24, v23, 0xc0c0105
	v_and_b32_e32 v24, 0xffffff00, v22
	v_lshl_or_b32 v21, v23, 16, v21
	v_lshrrev_b32_e32 v23, 16, v22
	v_lshlrev_b16 v22, 8, v22
	v_sub_nc_i16 v24, v24, v36 clamp
	v_lshrrev_b32_e32 v36, 15, v29
	v_sub_nc_i16 v22, v22, v31 clamp
	v_lshlrev_b16 v31, 8, v34
	v_bfe_i32 v36, v36, 0, 1
	v_perm_b32 v22, v22, v24, 0xc0c0105
	v_and_b32_e32 v24, 0xffffff00, v23
	v_lshlrev_b16 v23, 8, v23
	v_lshlrev_b16 v36, 8, v36
	v_sub_nc_i16 v24, v24, v37 clamp
	v_sub_nc_i16 v23, v23, v31 clamp
	v_lshrrev_b32_e32 v31, 11, v29
	v_lshrrev_b32_e32 v37, 14, v29
	v_perm_b32 v23, v23, v24, 0xc0c0105
	v_lshlrev_b32_e32 v24, 6, v28
	v_bfe_i32 v31, v31, 0, 1
	v_bfe_i32 v37, v37, 0, 1
	v_lshl_or_b32 v22, v23, 16, v22
	v_bfe_u32 v23, v25, 8, 8
	v_lshlrev_b16 v31, 8, v31
	v_or_b32_sdwa v40, v37, v36 dst_sel:WORD_1 dst_unused:UNUSED_PAD src0_sel:BYTE_0 src1_sel:DWORD
	v_bfe_u32 v25, v25, 16, 8
	v_and_or_b32 v23, 0x300, v24, v23
	v_lshrrev_b32_e32 v24, 1, v29
	v_or_b32_sdwa v35, v32, v31 dst_sel:WORD_1 dst_unused:UNUSED_PAD src0_sel:BYTE_0 src1_sel:DWORD
	v_lshlrev_b16 v32, 8, v32
	v_lshlrev_b32_e32 v23, 3, v23
	v_and_b32_e32 v24, 0x180, v24
	v_cmp_ne_u16_sdwa s23, v24, v18 src0_sel:BYTE_1 src1_sel:DWORD
	v_lshrrev_b16 v24, 7, v24
	v_bfe_i32 v33, v24, 0, 1
	v_cndmask_b32_e64 v24, 0, -1, s23
	v_lshlrev_b16 v34, 8, v24
	v_or_b32_sdwa v24, v33, v34 dst_sel:DWORD dst_unused:UNUSED_PAD src0_sel:BYTE_0 src1_sel:DWORD
	v_lshlrev_b16 v33, 8, v33
	v_or_b32_sdwa v35, v24, v35 dst_sel:DWORD dst_unused:UNUSED_PAD src0_sel:WORD_0 src1_sel:DWORD
	v_lshrrev_b32_e32 v24, 5, v29
	v_and_b32_e32 v24, 0x180, v24
	v_cmp_ne_u16_sdwa s23, v24, v18 src0_sel:BYTE_1 src1_sel:DWORD
	v_lshrrev_b16 v24, 7, v24
	v_bfe_i32 v38, v24, 0, 1
	v_cndmask_b32_e64 v24, 0, -1, s23
	v_lshlrev_b16 v39, 8, v24
	v_or_b32_sdwa v24, v38, v39 dst_sel:DWORD dst_unused:UNUSED_PAD src0_sel:BYTE_0 src1_sel:DWORD
	v_or_b32_sdwa v40, v24, v40 dst_sel:DWORD dst_unused:UNUSED_PAD src0_sel:WORD_0 src1_sel:DWORD
	global_load_dwordx2 v[23:24], v23, s[10:11]
	s_waitcnt vmcnt(0)
	v_xor_b32_e32 v23, v23, v35
	v_xor_b32_e32 v24, v24, v40
	v_lshrrev_b32_e32 v35, 16, v23
	v_and_b32_e32 v41, 0xffffff00, v23
	v_lshlrev_b16 v23, 8, v23
	v_sub_nc_i16 v34, v41, v34 clamp
	v_sub_nc_i16 v23, v23, v33 clamp
	v_and_b32_e32 v33, 0xffffff00, v35
	v_perm_b32 v23, v23, v34, 0xc0c0105
	v_sub_nc_i16 v31, v33, v31 clamp
	v_lshlrev_b16 v33, 8, v35
	v_sub_nc_i16 v32, v33, v32 clamp
	v_lshlrev_b16 v33, 8, v38
	v_perm_b32 v31, v32, v31, 0xc0c0105
	v_and_b32_e32 v32, 0xffffff00, v24
	v_lshl_or_b32 v23, v31, 16, v23
	v_lshrrev_b32_e32 v31, 16, v24
	v_lshlrev_b16 v24, 8, v24
	v_sub_nc_i16 v32, v32, v39 clamp
	v_sub_nc_i16 v24, v24, v33 clamp
	v_lshlrev_b16 v33, 8, v37
	v_perm_b32 v24, v24, v32, 0xc0c0105
	v_and_b32_e32 v32, 0xffffff00, v31
	v_lshlrev_b16 v31, 8, v31
	v_sub_nc_i16 v32, v32, v36 clamp
	v_sub_nc_i16 v31, v31, v33 clamp
	v_perm_b32 v31, v31, v32, 0xc0c0105
	v_lshl_or_b32 v24, v31, 16, v24
	v_lshlrev_b32_e32 v31, 4, v28
	v_lshlrev_b32_e32 v28, 2, v28
	v_and_or_b32 v25, 0x300, v31, v25
	v_lshrrev_b32_e32 v31, 9, v29
	v_and_or_b32 v27, 0x300, v28, v27
	v_lshrrev_b32_e32 v28, 17, v29
	v_lshlrev_b32_e32 v25, 3, v25
	v_lshl_or_b32 v31, v26, 21, v31
	v_lshlrev_b32_e32 v27, 3, v27
	v_and_b32_e32 v32, 0x1800180, v31
	v_bfe_u32 v31, v31, 24, 1
	v_cmp_ne_u16_sdwa s23, v32, v18 src0_sel:BYTE_1 src1_sel:DWORD
	v_cmp_ne_u16_e32 vcc_lo, 0, v31
	v_lshrrev_b16 v31, 7, v32
	v_lshrrev_b32_e32 v32, 18, v29
	v_cndmask_b32_e64 v33, 0, -1, s23
	v_cndmask_b32_e64 v35, 0, -1, vcc_lo
	v_bfe_i32 v31, v31, 0, 1
	v_bfe_i32 v32, v32, 0, 1
	v_lshlrev_b16 v33, 8, v33
	v_lshlrev_b16 v35, 8, v35
	v_or_b32_sdwa v34, v31, v33 dst_sel:DWORD dst_unused:UNUSED_PAD src0_sel:BYTE_0 src1_sel:DWORD
	v_or_b32_sdwa v36, v32, v35 dst_sel:WORD_1 dst_unused:UNUSED_PAD src0_sel:BYTE_0 src1_sel:DWORD
	v_lshlrev_b16 v31, 8, v31
	v_lshlrev_b16 v32, 8, v32
	v_or_b32_sdwa v34, v34, v36 dst_sel:DWORD dst_unused:UNUSED_PAD src0_sel:WORD_0 src1_sel:DWORD
	v_lshrrev_b32_e32 v36, 13, v29
	v_lshl_or_b32 v26, v26, 17, v36
	v_and_b32_e32 v36, 0x1800180, v26
	v_bfe_u32 v26, v26, 24, 1
	v_cmp_ne_u16_sdwa s23, v36, v18 src0_sel:BYTE_1 src1_sel:DWORD
	v_cmp_ne_u16_e32 vcc_lo, 0, v26
	v_lshrrev_b16 v26, 7, v36
	v_lshrrev_b32_e32 v36, 22, v29
	v_cndmask_b32_e64 v39, 0, -1, vcc_lo
	v_bfe_i32 v37, v26, 0, 1
	v_cndmask_b32_e64 v26, 0, -1, s23
	v_bfe_i32 v36, v36, 0, 1
	v_lshlrev_b16 v39, 8, v39
	v_lshlrev_b16 v38, 8, v26
	v_or_b32_sdwa v40, v36, v39 dst_sel:WORD_1 dst_unused:UNUSED_PAD src0_sel:BYTE_0 src1_sel:DWORD
	v_or_b32_sdwa v26, v37, v38 dst_sel:DWORD dst_unused:UNUSED_PAD src0_sel:BYTE_0 src1_sel:DWORD
	v_or_b32_sdwa v40, v26, v40 dst_sel:DWORD dst_unused:UNUSED_PAD src0_sel:WORD_0 src1_sel:DWORD
	global_load_dwordx2 v[25:26], v25, s[10:11]
	s_waitcnt vmcnt(0)
	v_xor_b32_e32 v25, v25, v34
	v_xor_b32_e32 v26, v26, v40
	v_lshrrev_b32_e32 v34, 16, v25
	v_and_b32_e32 v41, 0xffffff00, v25
	v_lshlrev_b16 v25, 8, v25
	v_sub_nc_i16 v33, v41, v33 clamp
	v_sub_nc_i16 v25, v25, v31 clamp
	v_and_b32_e32 v31, 0xffffff00, v34
	v_perm_b32 v25, v25, v33, 0xc0c0105
	v_lshlrev_b16 v33, 8, v34
	v_sub_nc_i16 v31, v31, v35 clamp
	v_sub_nc_i16 v32, v33, v32 clamp
	v_lshlrev_b16 v33, 8, v37
	v_lshrrev_b32_e32 v37, 31, v29
	v_perm_b32 v31, v32, v31, 0xc0c0105
	v_and_b32_e32 v32, 0xffffff00, v26
	v_lshl_or_b32 v25, v31, 16, v25
	v_lshrrev_b32_e32 v31, 16, v26
	v_lshlrev_b16 v26, 8, v26
	v_sub_nc_i16 v32, v32, v38 clamp
	v_sub_nc_i16 v26, v26, v33 clamp
	v_lshlrev_b16 v33, 8, v36
	v_perm_b32 v26, v26, v32, 0xc0c0105
	v_and_b32_e32 v32, 0xffffff00, v31
	v_lshlrev_b16 v31, 8, v31
	v_sub_nc_i16 v32, v32, v39 clamp
	v_sub_nc_i16 v31, v31, v33 clamp
	v_perm_b32 v31, v31, v32, 0xc0c0105
	v_lshl_or_b32 v26, v31, 16, v26
	v_lshrrev_b32_e32 v31, 24, v29
	v_lshl_or_b32 v28, v31, 21, v28
	v_and_b32_e32 v31, 0x1800180, v28
	v_bfe_u32 v28, v28, 24, 1
	v_cmp_ne_u16_sdwa s23, v31, v18 src0_sel:BYTE_1 src1_sel:DWORD
	v_cmp_ne_u16_e32 vcc_lo, 0, v28
	v_lshrrev_b16 v28, 7, v31
	v_lshrrev_b32_e32 v31, 26, v29
	v_cndmask_b32_e64 v34, 0, -1, vcc_lo
	v_bfe_i32 v32, v28, 0, 1
	v_cndmask_b32_e64 v28, 0, -1, s23
	v_bfe_i32 v31, v31, 0, 1
	v_cmp_ne_u16_e32 vcc_lo, 0, v37
	v_lshlrev_b16 v34, 8, v34
	v_lshlrev_b16 v33, 8, v28
	v_cndmask_b32_e64 v38, 0, -1, vcc_lo
	v_or_b32_sdwa v35, v31, v34 dst_sel:WORD_1 dst_unused:UNUSED_PAD src0_sel:BYTE_0 src1_sel:DWORD
	v_lshlrev_b16 v31, 8, v31
	v_or_b32_sdwa v28, v32, v33 dst_sel:DWORD dst_unused:UNUSED_PAD src0_sel:BYTE_0 src1_sel:DWORD
	v_lshlrev_b16 v32, 8, v32
	v_lshlrev_b16 v38, 8, v38
	v_or_b32_sdwa v35, v28, v35 dst_sel:DWORD dst_unused:UNUSED_PAD src0_sel:WORD_0 src1_sel:DWORD
	v_lshrrev_b32_e32 v28, 21, v29
	v_lshrrev_b32_e32 v29, 30, v29
	v_lshrrev_b16 v36, 8, v28
	v_lshrrev_b16 v28, 7, v28
	v_bfe_i32 v29, v29, 0, 1
	v_bfe_i32 v36, v36, 0, 1
	;; [unrolled: 1-line block ×3, first 2 shown]
	v_or_b32_sdwa v39, v29, v38 dst_sel:WORD_1 dst_unused:UNUSED_PAD src0_sel:BYTE_0 src1_sel:DWORD
	v_lshlrev_b16 v29, 8, v29
	v_lshlrev_b16 v36, 8, v36
	v_or_b32_sdwa v28, v37, v36 dst_sel:DWORD dst_unused:UNUSED_PAD src0_sel:BYTE_0 src1_sel:DWORD
	v_or_b32_sdwa v39, v28, v39 dst_sel:DWORD dst_unused:UNUSED_PAD src0_sel:WORD_0 src1_sel:DWORD
	global_load_dwordx2 v[27:28], v27, s[10:11]
	s_waitcnt vmcnt(0)
	v_xor_b32_e32 v27, v27, v35
	v_xor_b32_e32 v28, v28, v39
	v_mov_b32_e32 v39, 0
	v_lshrrev_b32_e32 v35, 16, v27
	v_and_b32_e32 v40, 0xffffff00, v27
	v_lshlrev_b16 v27, 8, v27
	v_sub_nc_i16 v33, v40, v33 clamp
	v_sub_nc_i16 v27, v27, v32 clamp
	v_and_b32_e32 v32, 0xffffff00, v35
	v_perm_b32 v27, v27, v33, 0xc0c0105
	v_lshlrev_b16 v33, 8, v35
	v_sub_nc_i16 v32, v32, v34 clamp
	v_sub_nc_i16 v31, v33, v31 clamp
	v_lshlrev_b16 v33, 8, v37
	v_perm_b32 v31, v31, v32, 0xc0c0105
	v_and_b32_e32 v32, 0xffffff00, v28
	v_lshl_or_b32 v27, v31, 16, v27
	v_lshrrev_b32_e32 v31, 16, v28
	v_lshlrev_b16 v28, 8, v28
	v_sub_nc_i16 v32, v32, v36 clamp
	v_sub_nc_i16 v28, v28, v33 clamp
	v_perm_b32 v28, v28, v32, 0xc0c0105
	v_and_b32_e32 v32, 0xffffff00, v31
	v_lshlrev_b16 v31, 8, v31
	v_sub_nc_i16 v32, v32, v38 clamp
	v_sub_nc_i16 v29, v31, v29 clamp
	v_perm_b32 v29, v29, v32, 0xc0c0105
	s_clause 0x2
	global_load_dwordx4 v[31:34], v[4:5], off offset:-16
	global_load_dword v7, v[4:5], off offset:16
	global_load_dwordx4 v[35:38], v[4:5], off
	v_add_co_u32 v4, vcc_lo, 0x480, v4
	v_add_co_ci_u32_e64 v5, null, 0, v5, vcc_lo
	v_lshl_or_b32 v29, v29, 16, v28
	v_lshrrev_b32_e32 v28, 4, v30
	v_and_b32_e32 v30, 15, v30
	v_cmp_le_u32_e32 vcc_lo, s19, v15
	s_or_b32 s17, vcc_lo, s17
	s_waitcnt vmcnt(2)
	v_dot4c_i32_i8 v39, v21, v32
	v_mov_b32_e32 v32, 0
	v_cvt_f32_f16_e32 v31, v31
	v_dot4c_i32_i8 v39, v22, v33
	s_waitcnt vmcnt(0)
	v_dot4c_i32_i8 v32, v25, v36
	v_mul_f32_e32 v31, v6, v31
	v_dot4c_i32_i8 v39, v23, v34
	v_dot4c_i32_i8 v32, v26, v37
	v_dot4c_i32_i8 v39, v24, v35
	v_dot4c_i32_i8 v32, v27, v38
	v_dot4c_i32_i8 v32, v29, v7
	v_mul_lo_u32 v7, v39, v30
	v_mul_lo_u32 v33, v32, v28
	v_add_nc_u32_e32 v32, v32, v39
	v_mov_b32_e32 v39, 0
	v_lshrrev_b32_e32 v34, 31, v32
	v_add_nc_u32_e32 v32, v32, v34
	v_ashrrev_i32_e32 v32, 1, v32
	v_add3_u32 v7, v33, v7, v32
	v_ashrrev_i32_e32 v32, 31, v7
	v_lshrrev_b32_e32 v32, 30, v32
	v_add_nc_u32_e32 v7, v7, v32
	v_ashrrev_i32_e32 v7, 2, v7
	v_cvt_f32_i32_e32 v7, v7
	v_fmac_f32_e32 v16, v31, v7
	v_add_nc_u32_e32 v7, s1, v19
	v_mad_u64_u32 v[35:36], null, v7, 36, v[2:3]
	s_clause 0x2
	global_load_dwordx4 v[31:34], v[35:36], off
	global_load_dword v7, v[35:36], off offset:32
	global_load_dwordx4 v[35:38], v[35:36], off offset:16
	s_waitcnt vmcnt(2)
	v_dot4c_i32_i8 v39, v21, v32
	v_mov_b32_e32 v32, 0
	v_cvt_f32_f16_e32 v31, v31
	v_dot4c_i32_i8 v39, v22, v33
	s_waitcnt vmcnt(0)
	v_dot4c_i32_i8 v32, v25, v36
	v_mul_f32_e32 v31, v6, v31
	v_dot4c_i32_i8 v39, v23, v34
	v_dot4c_i32_i8 v32, v26, v37
	v_dot4c_i32_i8 v39, v24, v35
	v_dot4c_i32_i8 v32, v27, v38
	v_dot4c_i32_i8 v32, v29, v7
	v_mul_lo_u32 v7, v39, v30
	v_mul_lo_u32 v33, v32, v28
	v_add_nc_u32_e32 v32, v32, v39
	v_mov_b32_e32 v39, 0
	v_lshrrev_b32_e32 v34, 31, v32
	v_add_nc_u32_e32 v32, v32, v34
	v_ashrrev_i32_e32 v32, 1, v32
	v_add3_u32 v7, v33, v7, v32
	v_ashrrev_i32_e32 v32, 31, v7
	v_lshrrev_b32_e32 v32, 30, v32
	v_add_nc_u32_e32 v7, v7, v32
	v_ashrrev_i32_e32 v7, 2, v7
	v_cvt_f32_i32_e32 v7, v7
	v_fmac_f32_e32 v14, v31, v7
	v_add_nc_u32_e32 v7, s22, v19
	v_mad_u64_u32 v[35:36], null, v7, 36, v[2:3]
	s_clause 0x2
	global_load_dwordx4 v[31:34], v[35:36], off
	global_load_dword v7, v[35:36], off offset:32
	global_load_dwordx4 v[35:38], v[35:36], off offset:16
	;; [unrolled: 33-line block ×6, first 2 shown]
	s_waitcnt vmcnt(2)
	v_dot4c_i32_i8 v39, v21, v32
	v_mov_b32_e32 v32, 0
	v_cvt_f32_f16_e32 v31, v31
	v_dot4c_i32_i8 v39, v22, v33
	s_waitcnt vmcnt(0)
	v_dot4c_i32_i8 v32, v25, v36
	v_mul_f32_e32 v31, v6, v31
	v_dot4c_i32_i8 v39, v23, v34
	v_dot4c_i32_i8 v32, v26, v37
	v_dot4c_i32_i8 v39, v24, v35
	v_dot4c_i32_i8 v32, v27, v38
	v_dot4c_i32_i8 v32, v29, v7
	v_mul_lo_u32 v7, v39, v30
	v_mul_lo_u32 v33, v32, v28
	v_add_nc_u32_e32 v32, v32, v39
	v_mov_b32_e32 v39, 0
	v_lshrrev_b32_e32 v34, 31, v32
	v_add_nc_u32_e32 v32, v32, v34
	v_ashrrev_i32_e32 v32, 1, v32
	v_add3_u32 v7, v33, v7, v32
	v_ashrrev_i32_e32 v32, 31, v7
	v_lshrrev_b32_e32 v32, 30, v32
	v_add_nc_u32_e32 v7, v7, v32
	v_ashrrev_i32_e32 v7, 2, v7
	v_cvt_f32_i32_e32 v7, v7
	v_fmac_f32_e32 v9, v31, v7
	v_add_nc_u32_e32 v7, s3, v19
	v_add_nc_u32_e32 v19, 32, v19
	v_mad_u64_u32 v[35:36], null, v7, 36, v[2:3]
	s_clause 0x2
	global_load_dwordx4 v[31:34], v[35:36], off
	global_load_dword v7, v[35:36], off offset:32
	global_load_dwordx4 v[35:38], v[35:36], off offset:16
	s_waitcnt vmcnt(2)
	v_dot4c_i32_i8 v39, v21, v32
	v_mov_b32_e32 v21, 0
	v_dot4c_i32_i8 v39, v22, v33
	s_waitcnt vmcnt(0)
	v_dot4c_i32_i8 v21, v25, v36
	v_dot4c_i32_i8 v39, v23, v34
	;; [unrolled: 1-line block ×6, first 2 shown]
	v_mul_lo_u32 v7, v39, v30
	v_mul_lo_u32 v22, v21, v28
	v_add_nc_u32_e32 v21, v21, v39
	v_lshrrev_b32_e32 v23, 31, v21
	v_add_nc_u32_e32 v21, v21, v23
	v_ashrrev_i32_e32 v21, 1, v21
	v_add3_u32 v7, v22, v7, v21
	v_ashrrev_i32_e32 v21, 31, v7
	v_lshrrev_b32_e32 v21, 30, v21
	v_add_nc_u32_e32 v7, v7, v21
	v_cvt_f32_f16_e32 v21, v31
	v_ashrrev_i32_e32 v7, 2, v7
	v_mul_f32_e32 v6, v6, v21
	v_cvt_f32_i32_e32 v7, v7
	v_fmac_f32_e32 v8, v6, v7
	s_andn2_b32 exec_lo, exec_lo, s17
	s_cbranch_execnz .LBB191_2
; %bb.3:
	s_or_b32 exec_lo, exec_lo, s17
.LBB191_4:
	s_or_b32 exec_lo, exec_lo, s9
	s_mov_b32 s1, 0
	; wave barrier
	buffer_gl0_inv
	s_mov_b32 s0, exec_lo
	v_cmpx_eq_u32_e32 0, v1
	s_cbranch_execz .LBB191_21
; %bb.5:
	v_mbcnt_lo_u32_b32 v5, -1, 0
	s_load_dwordx2 s[4:5], s[4:5], 0x38
	s_mul_i32 s0, s14, s7
	s_mul_i32 s3, s18, s8
	s_add_i32 s0, s0, s6
	v_xor_b32_e32 v1, 16, v5
	v_xor_b32_e32 v2, 8, v5
	;; [unrolled: 1-line block ×3, first 2 shown]
	s_add_i32 s0, s0, s3
	s_lshl_b64 s[0:1], s[0:1], 2
	v_cmp_gt_i32_e32 vcc_lo, 32, v1
	v_cndmask_b32_e32 v1, v5, v1, vcc_lo
	v_cmp_gt_i32_e32 vcc_lo, 32, v2
	v_lshlrev_b32_e32 v1, 2, v1
	v_cndmask_b32_e32 v2, v5, v2, vcc_lo
	s_waitcnt lgkmcnt(0)
	s_add_u32 s0, s4, s0
	s_addc_u32 s1, s5, s1
	ds_bpermute_b32 v3, v1, v16
	v_lshlrev_b32_e32 v2, 2, v2
	s_waitcnt lgkmcnt(0)
	v_add_f32_e32 v4, v16, v3
	v_xor_b32_e32 v3, 4, v5
	ds_bpermute_b32 v6, v2, v4
	v_cmp_gt_i32_e32 vcc_lo, 32, v3
	v_cndmask_b32_e32 v3, v5, v3, vcc_lo
	v_lshlrev_b32_e32 v3, 2, v3
	s_waitcnt lgkmcnt(0)
	v_add_f32_e32 v6, v4, v6
	v_xor_b32_e32 v4, 2, v5
	ds_bpermute_b32 v7, v3, v6
	v_cmp_gt_i32_e32 vcc_lo, 32, v4
	v_cndmask_b32_e32 v4, v5, v4, vcc_lo
	v_cmp_gt_i32_e32 vcc_lo, 32, v15
	v_lshlrev_b32_e32 v4, 2, v4
	v_cndmask_b32_e32 v5, v5, v15, vcc_lo
	v_cmp_eq_u32_e32 vcc_lo, 0, v0
	v_lshlrev_b32_e32 v5, 2, v5
	s_waitcnt lgkmcnt(0)
	v_add_f32_e32 v6, v6, v7
	ds_bpermute_b32 v7, v4, v6
	s_waitcnt lgkmcnt(0)
	v_add_f32_e32 v6, v6, v7
	ds_bpermute_b32 v7, v5, v6
	s_and_saveexec_b32 s3, vcc_lo
	s_cbranch_execz .LBB191_7
; %bb.6:
	s_waitcnt lgkmcnt(0)
	v_add_f32_e32 v0, v6, v7
	v_mov_b32_e32 v6, 0
	global_store_dword v6, v0, s[0:1]
.LBB191_7:
	s_or_b32 exec_lo, exec_lo, s3
	ds_bpermute_b32 v0, v1, v14
	s_waitcnt lgkmcnt(0)
	v_add_f32_e32 v0, v14, v0
	ds_bpermute_b32 v6, v2, v0
	s_waitcnt lgkmcnt(0)
	v_add_f32_e32 v0, v0, v6
	;; [unrolled: 3-line block ×4, first 2 shown]
	ds_bpermute_b32 v6, v5, v0
	s_and_saveexec_b32 s4, vcc_lo
	s_cbranch_execz .LBB191_9
; %bb.8:
	s_mov_b32 s3, 0
	s_waitcnt lgkmcnt(0)
	v_add_f32_e32 v0, v0, v6
	s_lshl_b64 s[6:7], s[2:3], 2
	v_mov_b32_e32 v6, 0
	s_add_u32 s6, s0, s6
	s_addc_u32 s7, s1, s7
	global_store_dword v6, v0, s[6:7]
.LBB191_9:
	s_or_b32 exec_lo, exec_lo, s4
	ds_bpermute_b32 v0, v1, v13
	s_waitcnt lgkmcnt(0)
	v_add_f32_e32 v0, v13, v0
	ds_bpermute_b32 v6, v2, v0
	s_waitcnt lgkmcnt(0)
	v_add_f32_e32 v0, v0, v6
	;; [unrolled: 3-line block ×4, first 2 shown]
	ds_bpermute_b32 v6, v5, v0
	s_and_saveexec_b32 s3, vcc_lo
	s_cbranch_execz .LBB191_11
; %bb.10:
	s_lshl_b32 s4, s2, 1
	s_mov_b32 s5, 0
	s_waitcnt lgkmcnt(0)
	v_add_f32_e32 v0, v0, v6
	s_lshl_b64 s[4:5], s[4:5], 2
	v_mov_b32_e32 v6, 0
	s_add_u32 s4, s0, s4
	s_addc_u32 s5, s1, s5
	global_store_dword v6, v0, s[4:5]
.LBB191_11:
	s_or_b32 exec_lo, exec_lo, s3
	ds_bpermute_b32 v0, v1, v12
	s_waitcnt lgkmcnt(0)
	v_add_f32_e32 v0, v12, v0
	ds_bpermute_b32 v6, v2, v0
	s_waitcnt lgkmcnt(0)
	v_add_f32_e32 v0, v0, v6
	ds_bpermute_b32 v6, v3, v0
	s_waitcnt lgkmcnt(0)
	v_add_f32_e32 v0, v0, v6
	ds_bpermute_b32 v6, v4, v0
	s_waitcnt lgkmcnt(0)
	v_add_f32_e32 v0, v0, v6
	ds_bpermute_b32 v6, v5, v0
	s_and_saveexec_b32 s3, vcc_lo
	s_cbranch_execz .LBB191_13
; %bb.12:
	s_mul_i32 s4, s2, 3
	s_mov_b32 s5, 0
	s_waitcnt lgkmcnt(0)
	v_add_f32_e32 v0, v0, v6
	s_lshl_b64 s[4:5], s[4:5], 2
	v_mov_b32_e32 v6, 0
	s_add_u32 s4, s0, s4
	s_addc_u32 s5, s1, s5
	global_store_dword v6, v0, s[4:5]
.LBB191_13:
	s_or_b32 exec_lo, exec_lo, s3
	ds_bpermute_b32 v0, v1, v11
	s_waitcnt lgkmcnt(0)
	v_add_f32_e32 v0, v11, v0
	ds_bpermute_b32 v6, v2, v0
	s_waitcnt lgkmcnt(0)
	v_add_f32_e32 v0, v0, v6
	;; [unrolled: 3-line block ×4, first 2 shown]
	ds_bpermute_b32 v6, v5, v0
	s_and_saveexec_b32 s3, vcc_lo
	s_cbranch_execz .LBB191_15
; %bb.14:
	s_lshl_b32 s4, s2, 2
	s_mov_b32 s5, 0
	s_waitcnt lgkmcnt(0)
	v_add_f32_e32 v0, v0, v6
	s_lshl_b64 s[4:5], s[4:5], 2
	v_mov_b32_e32 v6, 0
	s_add_u32 s4, s0, s4
	s_addc_u32 s5, s1, s5
	global_store_dword v6, v0, s[4:5]
.LBB191_15:
	s_or_b32 exec_lo, exec_lo, s3
	ds_bpermute_b32 v0, v1, v10
	s_waitcnt lgkmcnt(0)
	v_add_f32_e32 v0, v10, v0
	ds_bpermute_b32 v6, v2, v0
	s_waitcnt lgkmcnt(0)
	v_add_f32_e32 v0, v0, v6
	;; [unrolled: 3-line block ×4, first 2 shown]
	ds_bpermute_b32 v6, v5, v0
	s_and_saveexec_b32 s3, vcc_lo
	s_cbranch_execz .LBB191_17
; %bb.16:
	s_mul_i32 s4, s2, 5
	s_mov_b32 s5, 0
	s_waitcnt lgkmcnt(0)
	v_add_f32_e32 v0, v0, v6
	s_lshl_b64 s[4:5], s[4:5], 2
	v_mov_b32_e32 v6, 0
	s_add_u32 s4, s0, s4
	s_addc_u32 s5, s1, s5
	global_store_dword v6, v0, s[4:5]
.LBB191_17:
	s_or_b32 exec_lo, exec_lo, s3
	ds_bpermute_b32 v0, v1, v9
	s_waitcnt lgkmcnt(0)
	v_add_f32_e32 v0, v9, v0
	ds_bpermute_b32 v6, v2, v0
	s_waitcnt lgkmcnt(0)
	v_add_f32_e32 v0, v0, v6
	;; [unrolled: 3-line block ×4, first 2 shown]
	ds_bpermute_b32 v6, v5, v0
	s_and_saveexec_b32 s3, vcc_lo
	s_cbranch_execz .LBB191_19
; %bb.18:
	s_mul_i32 s4, s2, 6
	s_mov_b32 s5, 0
	s_waitcnt lgkmcnt(0)
	v_add_f32_e32 v0, v0, v6
	s_lshl_b64 s[4:5], s[4:5], 2
	v_mov_b32_e32 v6, 0
	s_add_u32 s4, s0, s4
	s_addc_u32 s5, s1, s5
	global_store_dword v6, v0, s[4:5]
.LBB191_19:
	s_or_b32 exec_lo, exec_lo, s3
	ds_bpermute_b32 v0, v1, v8
	s_waitcnt lgkmcnt(0)
	v_add_f32_e32 v0, v8, v0
	ds_bpermute_b32 v1, v2, v0
	s_waitcnt lgkmcnt(0)
	v_add_f32_e32 v0, v0, v1
	ds_bpermute_b32 v1, v3, v0
	s_waitcnt lgkmcnt(0)
	v_add_f32_e32 v0, v0, v1
	ds_bpermute_b32 v1, v4, v0
	s_waitcnt lgkmcnt(0)
	v_add_f32_e32 v0, v0, v1
	ds_bpermute_b32 v1, v5, v0
	s_and_b32 exec_lo, exec_lo, vcc_lo
	s_cbranch_execz .LBB191_21
; %bb.20:
	s_mul_i32 s2, s2, 7
	s_mov_b32 s3, 0
	s_waitcnt lgkmcnt(0)
	v_add_f32_e32 v0, v0, v1
	s_lshl_b64 s[2:3], s[2:3], 2
	v_mov_b32_e32 v1, 0
	s_add_u32 s0, s0, s2
	s_addc_u32 s1, s1, s3
	global_store_dword v1, v0, s[0:1]
.LBB191_21:
	s_endpgm
	.section	.rodata,"a",@progbits
	.p2align	6, 0x0
	.amdhsa_kernel _ZL13mul_mat_vec_qIL9ggml_type22ELi8ELb0ELb0EEvPKvS2_PKi31ggml_cuda_mm_fusion_args_devicePfj15HIP_vector_typeIjLj3EEjjjS8_jjjS8_jjjj
		.amdhsa_group_segment_fixed_size 0
		.amdhsa_private_segment_fixed_size 0
		.amdhsa_kernarg_size 144
		.amdhsa_user_sgpr_count 6
		.amdhsa_user_sgpr_private_segment_buffer 1
		.amdhsa_user_sgpr_dispatch_ptr 0
		.amdhsa_user_sgpr_queue_ptr 0
		.amdhsa_user_sgpr_kernarg_segment_ptr 1
		.amdhsa_user_sgpr_dispatch_id 0
		.amdhsa_user_sgpr_flat_scratch_init 0
		.amdhsa_user_sgpr_private_segment_size 0
		.amdhsa_wavefront_size32 1
		.amdhsa_uses_dynamic_stack 0
		.amdhsa_system_sgpr_private_segment_wavefront_offset 0
		.amdhsa_system_sgpr_workgroup_id_x 1
		.amdhsa_system_sgpr_workgroup_id_y 1
		.amdhsa_system_sgpr_workgroup_id_z 1
		.amdhsa_system_sgpr_workgroup_info 0
		.amdhsa_system_vgpr_workitem_id 1
		.amdhsa_next_free_vgpr 42
		.amdhsa_next_free_sgpr 28
		.amdhsa_reserve_vcc 1
		.amdhsa_reserve_flat_scratch 0
		.amdhsa_float_round_mode_32 0
		.amdhsa_float_round_mode_16_64 0
		.amdhsa_float_denorm_mode_32 3
		.amdhsa_float_denorm_mode_16_64 3
		.amdhsa_dx10_clamp 1
		.amdhsa_ieee_mode 1
		.amdhsa_fp16_overflow 0
		.amdhsa_workgroup_processor_mode 1
		.amdhsa_memory_ordered 1
		.amdhsa_forward_progress 1
		.amdhsa_shared_vgpr_count 0
		.amdhsa_exception_fp_ieee_invalid_op 0
		.amdhsa_exception_fp_denorm_src 0
		.amdhsa_exception_fp_ieee_div_zero 0
		.amdhsa_exception_fp_ieee_overflow 0
		.amdhsa_exception_fp_ieee_underflow 0
		.amdhsa_exception_fp_ieee_inexact 0
		.amdhsa_exception_int_div_zero 0
	.end_amdhsa_kernel
	.section	.text._ZL13mul_mat_vec_qIL9ggml_type22ELi8ELb0ELb0EEvPKvS2_PKi31ggml_cuda_mm_fusion_args_devicePfj15HIP_vector_typeIjLj3EEjjjS8_jjjS8_jjjj,"axG",@progbits,_ZL13mul_mat_vec_qIL9ggml_type22ELi8ELb0ELb0EEvPKvS2_PKi31ggml_cuda_mm_fusion_args_devicePfj15HIP_vector_typeIjLj3EEjjjS8_jjjS8_jjjj,comdat
.Lfunc_end191:
	.size	_ZL13mul_mat_vec_qIL9ggml_type22ELi8ELb0ELb0EEvPKvS2_PKi31ggml_cuda_mm_fusion_args_devicePfj15HIP_vector_typeIjLj3EEjjjS8_jjjS8_jjjj, .Lfunc_end191-_ZL13mul_mat_vec_qIL9ggml_type22ELi8ELb0ELb0EEvPKvS2_PKi31ggml_cuda_mm_fusion_args_devicePfj15HIP_vector_typeIjLj3EEjjjS8_jjjS8_jjjj
                                        ; -- End function
	.set _ZL13mul_mat_vec_qIL9ggml_type22ELi8ELb0ELb0EEvPKvS2_PKi31ggml_cuda_mm_fusion_args_devicePfj15HIP_vector_typeIjLj3EEjjjS8_jjjS8_jjjj.num_vgpr, 42
	.set _ZL13mul_mat_vec_qIL9ggml_type22ELi8ELb0ELb0EEvPKvS2_PKi31ggml_cuda_mm_fusion_args_devicePfj15HIP_vector_typeIjLj3EEjjjS8_jjjS8_jjjj.num_agpr, 0
	.set _ZL13mul_mat_vec_qIL9ggml_type22ELi8ELb0ELb0EEvPKvS2_PKi31ggml_cuda_mm_fusion_args_devicePfj15HIP_vector_typeIjLj3EEjjjS8_jjjS8_jjjj.numbered_sgpr, 28
	.set _ZL13mul_mat_vec_qIL9ggml_type22ELi8ELb0ELb0EEvPKvS2_PKi31ggml_cuda_mm_fusion_args_devicePfj15HIP_vector_typeIjLj3EEjjjS8_jjjS8_jjjj.num_named_barrier, 0
	.set _ZL13mul_mat_vec_qIL9ggml_type22ELi8ELb0ELb0EEvPKvS2_PKi31ggml_cuda_mm_fusion_args_devicePfj15HIP_vector_typeIjLj3EEjjjS8_jjjS8_jjjj.private_seg_size, 0
	.set _ZL13mul_mat_vec_qIL9ggml_type22ELi8ELb0ELb0EEvPKvS2_PKi31ggml_cuda_mm_fusion_args_devicePfj15HIP_vector_typeIjLj3EEjjjS8_jjjS8_jjjj.uses_vcc, 1
	.set _ZL13mul_mat_vec_qIL9ggml_type22ELi8ELb0ELb0EEvPKvS2_PKi31ggml_cuda_mm_fusion_args_devicePfj15HIP_vector_typeIjLj3EEjjjS8_jjjS8_jjjj.uses_flat_scratch, 0
	.set _ZL13mul_mat_vec_qIL9ggml_type22ELi8ELb0ELb0EEvPKvS2_PKi31ggml_cuda_mm_fusion_args_devicePfj15HIP_vector_typeIjLj3EEjjjS8_jjjS8_jjjj.has_dyn_sized_stack, 0
	.set _ZL13mul_mat_vec_qIL9ggml_type22ELi8ELb0ELb0EEvPKvS2_PKi31ggml_cuda_mm_fusion_args_devicePfj15HIP_vector_typeIjLj3EEjjjS8_jjjS8_jjjj.has_recursion, 0
	.set _ZL13mul_mat_vec_qIL9ggml_type22ELi8ELb0ELb0EEvPKvS2_PKi31ggml_cuda_mm_fusion_args_devicePfj15HIP_vector_typeIjLj3EEjjjS8_jjjS8_jjjj.has_indirect_call, 0
	.section	.AMDGPU.csdata,"",@progbits
; Kernel info:
; codeLenInByte = 5020
; TotalNumSgprs: 30
; NumVgprs: 42
; ScratchSize: 0
; MemoryBound: 0
; FloatMode: 240
; IeeeMode: 1
; LDSByteSize: 0 bytes/workgroup (compile time only)
; SGPRBlocks: 0
; VGPRBlocks: 5
; NumSGPRsForWavesPerEU: 30
; NumVGPRsForWavesPerEU: 42
; Occupancy: 16
; WaveLimiterHint : 0
; COMPUTE_PGM_RSRC2:SCRATCH_EN: 0
; COMPUTE_PGM_RSRC2:USER_SGPR: 6
; COMPUTE_PGM_RSRC2:TRAP_HANDLER: 0
; COMPUTE_PGM_RSRC2:TGID_X_EN: 1
; COMPUTE_PGM_RSRC2:TGID_Y_EN: 1
; COMPUTE_PGM_RSRC2:TGID_Z_EN: 1
; COMPUTE_PGM_RSRC2:TIDIG_COMP_CNT: 1
	.section	.text._ZL17mul_mat_vec_q_moeIL9ggml_type18ELi2EEvPKvS2_PKiPfj15HIP_vector_typeIjLj3EEjjjjjjjjj,"axG",@progbits,_ZL17mul_mat_vec_q_moeIL9ggml_type18ELi2EEvPKvS2_PKiPfj15HIP_vector_typeIjLj3EEjjjjjjjjj,comdat
	.globl	_ZL17mul_mat_vec_q_moeIL9ggml_type18ELi2EEvPKvS2_PKiPfj15HIP_vector_typeIjLj3EEjjjjjjjjj ; -- Begin function _ZL17mul_mat_vec_q_moeIL9ggml_type18ELi2EEvPKvS2_PKiPfj15HIP_vector_typeIjLj3EEjjjjjjjjj
	.p2align	8
	.type	_ZL17mul_mat_vec_q_moeIL9ggml_type18ELi2EEvPKvS2_PKiPfj15HIP_vector_typeIjLj3EEjjjjjjjjj,@function
_ZL17mul_mat_vec_q_moeIL9ggml_type18ELi2EEvPKvS2_PKiPfj15HIP_vector_typeIjLj3EEjjjjjjjjj: ; @_ZL17mul_mat_vec_q_moeIL9ggml_type18ELi2EEvPKvS2_PKiPfj15HIP_vector_typeIjLj3EEjjjjjjjjj
; %bb.0:
	s_load_dwordx8 s[16:23], s[4:5], 0x30
	s_mov_b32 s0, exec_lo
	s_waitcnt lgkmcnt(0)
	v_cmpx_gt_u32_e64 s23, v1
	s_cbranch_execz .LBB192_7
; %bb.1:
	s_clause 0x2
	s_load_dword s1, s[4:5], 0x20
	s_load_dword s0, s[4:5], 0x50
	s_load_dwordx8 s[8:15], s[4:5], 0x0
	v_lshrrev_b32_e32 v16, 3, v0
	v_mov_b32_e32 v15, 0
	v_mov_b32_e32 v17, 0
	s_mov_b32 s2, s7
	s_lshl_b32 s3, s6, 1
	s_mov_b32 s6, exec_lo
	s_waitcnt lgkmcnt(0)
	s_lshr_b32 s7, s1, 8
	v_cmpx_gt_u32_e64 s7, v16
	s_cbranch_execz .LBB192_5
; %bb.2:
	v_mad_u64_u32 v[9:10], null, s0, v1, s[2:3]
	v_mov_b32_e32 v10, 0
	s_load_dwordx4 s[24:27], s[4:5], 0x24
	v_lshrrev_b32_e32 v5, 3, v0
	v_and_b32_e32 v6, 7, v0
	v_mov_b32_e32 v20, 2
	v_mov_b32_e32 v17, 0
	v_lshlrev_b64 v[2:3], 2, v[9:10]
	s_mov_b32 s4, 0
	v_add_co_u32 v2, vcc_lo, s12, v2
	v_add_co_ci_u32_e64 v3, null, s13, v3, vcc_lo
	global_load_dword v4, v[2:3], off
	v_mul_lo_u32 v2, s18, v1
	s_waitcnt lgkmcnt(0)
	s_mul_hi_u32 s0, s24, s2
	s_add_i32 s0, s2, s0
	s_lshr_b32 s0, s0, s25
	s_mul_i32 s0, s0, s26
	v_mad_u64_u32 v[2:3], null, v2, 36, 0
	s_sub_i32 s0, s2, s0
	s_mul_i32 s0, s0, s21
	v_mad_u64_u32 v[2:3], null, 0x120, v5, v[2:3]
	v_lshlrev_b32_e32 v5, 1, v0
	v_and_b32_e32 v5, 14, v5
	v_mad_u64_u32 v[2:3], null, s0, 36, v[2:3]
	s_add_i32 s0, s3, 1
	v_lshlrev_b32_e32 v19, 1, v5
	v_mad_u64_u32 v[2:3], null, v6, 36, v[2:3]
	v_lshlrev_b32_e32 v6, 1, v5
	v_lshlrev_b32_e32 v18, 1, v6
	v_add_co_u32 v2, vcc_lo, s10, v2
	v_add_co_ci_u32_e64 v3, null, s11, v3, vcc_lo
	v_add_co_u32 v11, vcc_lo, v2, 32
	v_add_co_ci_u32_e64 v12, null, 0, v3, vcc_lo
	s_waitcnt vmcnt(0)
	v_mul_lo_u32 v4, v4, s20
	v_mad_u64_u32 v[13:14], null, s3, s17, v[4:5]
	v_mad_u64_u32 v[14:15], null, s17, s0, v[4:5]
	v_mov_b32_e32 v15, 0
.LBB192_3:                              ; =>This Inner Loop Header: Depth=1
	v_add_nc_u32_e32 v21, v13, v16
	v_add_nc_u32_e32 v22, v14, v16
	s_clause 0x2
	global_load_dwordx4 v[2:5], v[11:12], off offset:-32
	global_load_dwordx4 v[6:9], v[11:12], off offset:-16
	global_load_dword v23, v[11:12], off
	s_getpc_b64 s[0:1]
	s_add_u32 s0, s0, _ZL11iq3xxs_grid@rel32@lo+4
	s_addc_u32 s1, s1, _ZL11iq3xxs_grid@rel32@hi+12
	v_add_nc_u32_e32 v16, 4, v16
	v_mad_i64_i32 v[26:27], null, 0x62, v21, s[8:9]
	v_mad_i64_i32 v[21:22], null, 0x62, v22, s[8:9]
	v_add_co_u32 v24, vcc_lo, v26, v18
	v_add_co_ci_u32_e64 v25, null, 0, v27, vcc_lo
	v_add_co_u32 v28, vcc_lo, v26, v19
	v_add_co_ci_u32_e64 v29, null, 0, v27, vcc_lo
	;; [unrolled: 2-line block ×4, first 2 shown]
	s_clause 0x5
	global_load_dwordx2 v[34:35], v[24:25], off offset:2
	global_load_dword v25, v[28:29], off offset:66
	global_load_dwordx2 v[28:29], v[30:31], off offset:2
	global_load_dword v24, v[32:33], off offset:66
	global_load_ushort v21, v[21:22], off
	global_load_ushort v22, v[26:27], off
	v_add_co_u32 v11, vcc_lo, 0x480, v11
	v_add_co_ci_u32_e64 v12, null, 0, v12, vcc_lo
	s_waitcnt vmcnt(8)
	v_cvt_f32_f16_e32 v2, v2
	s_waitcnt vmcnt(5)
	v_lshlrev_b32_sdwa v26, v20, v34 dst_sel:DWORD dst_unused:UNUSED_PAD src0_sel:DWORD src1_sel:BYTE_0
	v_lshlrev_b32_sdwa v27, v20, v34 dst_sel:DWORD dst_unused:UNUSED_PAD src0_sel:DWORD src1_sel:BYTE_1
	v_lshlrev_b32_sdwa v31, v20, v34 dst_sel:DWORD dst_unused:UNUSED_PAD src0_sel:DWORD src1_sel:BYTE_2
	v_lshlrev_b32_sdwa v32, v20, v34 dst_sel:DWORD dst_unused:UNUSED_PAD src0_sel:DWORD src1_sel:BYTE_3
	v_lshlrev_b32_sdwa v34, v20, v35 dst_sel:DWORD dst_unused:UNUSED_PAD src0_sel:DWORD src1_sel:BYTE_0
	v_lshlrev_b32_sdwa v36, v20, v35 dst_sel:DWORD dst_unused:UNUSED_PAD src0_sel:DWORD src1_sel:BYTE_1
	v_lshlrev_b32_sdwa v38, v20, v35 dst_sel:DWORD dst_unused:UNUSED_PAD src0_sel:DWORD src1_sel:BYTE_2
	v_lshlrev_b32_sdwa v35, v20, v35 dst_sel:DWORD dst_unused:UNUSED_PAD src0_sel:DWORD src1_sel:BYTE_3
	s_waitcnt vmcnt(3)
	v_lshlrev_b32_sdwa v40, v20, v28 dst_sel:DWORD dst_unused:UNUSED_PAD src0_sel:DWORD src1_sel:BYTE_0
	v_lshlrev_b32_sdwa v41, v20, v28 dst_sel:DWORD dst_unused:UNUSED_PAD src0_sel:DWORD src1_sel:BYTE_1
	v_lshlrev_b32_sdwa v43, v20, v28 dst_sel:DWORD dst_unused:UNUSED_PAD src0_sel:DWORD src1_sel:BYTE_2
	v_lshlrev_b32_sdwa v28, v20, v28 dst_sel:DWORD dst_unused:UNUSED_PAD src0_sel:DWORD src1_sel:BYTE_3
	v_lshlrev_b32_sdwa v45, v20, v29 dst_sel:DWORD dst_unused:UNUSED_PAD src0_sel:DWORD src1_sel:BYTE_0
	v_lshlrev_b32_sdwa v46, v20, v29 dst_sel:DWORD dst_unused:UNUSED_PAD src0_sel:DWORD src1_sel:BYTE_1
	v_lshlrev_b32_sdwa v48, v20, v29 dst_sel:DWORD dst_unused:UNUSED_PAD src0_sel:DWORD src1_sel:BYTE_2
	v_lshlrev_b32_sdwa v29, v20, v29 dst_sel:DWORD dst_unused:UNUSED_PAD src0_sel:DWORD src1_sel:BYTE_3
	s_clause 0xf
	global_load_dword v26, v26, s[0:1]
	global_load_dword v27, v27, s[0:1]
	;; [unrolled: 1-line block ×16, first 2 shown]
	v_and_b32_e32 v30, 0xff, v25
	v_bfe_u32 v33, v25, 7, 8
	v_bfe_u32 v39, v25, 21, 8
	s_waitcnt vmcnt(18)
	v_and_b32_e32 v42, 0xff, v24
	v_bfe_u32 v37, v25, 14, 8
	v_bcnt_u32_b32 v50, v30, 0
	v_bcnt_u32_b32 v51, v33, 0
	;; [unrolled: 1-line block ×4, first 2 shown]
	v_bfe_u32 v49, v24, 21, 8
	v_and_b32_e32 v50, 1, v50
	v_and_b32_e32 v51, 1, v51
	;; [unrolled: 1-line block ×4, first 2 shown]
	v_bcnt_u32_b32 v52, v37, 0
	v_lshlrev_b32_e32 v50, 7, v50
	v_lshlrev_b32_e32 v51, 7, v51
	;; [unrolled: 1-line block ×3, first 2 shown]
	v_bcnt_u32_b32 v57, v49, 0
	v_lshlrev_b32_e32 v54, 7, v54
	v_xor_b32_e32 v30, v50, v30
	v_xor_b32_e32 v33, v51, v33
	;; [unrolled: 1-line block ×3, first 2 shown]
	v_and_b32_e32 v52, 1, v52
	v_and_b32_e32 v57, 1, v57
	v_mul_lo_u32 v30, 0x1010101, v30
	v_mul_lo_u32 v33, 0x1010101, v33
	v_xor_b32_e32 v42, v54, v42
	v_lshlrev_b32_e32 v52, 7, v52
	v_lshlrev_b32_e32 v57, 7, v57
	v_mul_lo_u32 v39, 0x1010101, v39
	v_bfe_u32 v44, v24, 7, 8
	v_mul_lo_u32 v42, 0x1010101, v42
	v_and_b32_e32 v50, 0x8040201, v30
	v_and_b32_e32 v53, 0x80402010, v30
	;; [unrolled: 1-line block ×3, first 2 shown]
	v_xor_b32_e32 v37, v52, v37
	v_xor_b32_e32 v49, v57, v49
	v_cmp_ne_u16_sdwa s0, v50, v10 src0_sel:BYTE_1 src1_sel:DWORD
	v_lshrrev_b16 v83, 4, v53
	v_and_b32_e32 v57, 0x80402010, v33
	v_mul_lo_u32 v37, 0x1010101, v37
	v_and_b32_e32 v59, 0x8040201, v39
	v_cndmask_b32_e64 v82, 0, -1, s0
	v_cmp_ne_u16_sdwa s0, v50, v10 src0_sel:BYTE_3 src1_sel:DWORD
	v_lshrrev_b16 v86, 4, v57
	v_and_b32_e32 v69, 0x80402010, v39
	v_bcnt_u32_b32 v55, v44, 0
	v_and_b32_e32 v60, 0x8040201, v42
	v_cndmask_b32_e64 v50, 0, -1, s0
	v_cmp_ne_u16_sdwa s0, v53, v10 src0_sel:BYTE_1 src1_sel:DWORD
	v_and_b32_e32 v58, 0x8040201, v37
	v_and_b32_e32 v66, 0x80402010, v37
	;; [unrolled: 1-line block ×3, first 2 shown]
	v_lshrrev_b16 v92, 4, v69
	v_cndmask_b32_e64 v84, 0, -1, s0
	v_cmp_ne_u16_sdwa s0, v53, v10 src0_sel:BYTE_3 src1_sel:DWORD
	v_lshrrev_b16 v89, 4, v66
	v_lshlrev_b32_e32 v55, 7, v55
	v_bfe_u32 v47, v24, 14, 8
	v_and_b32_e32 v72, 0x80402010, v42
	v_cndmask_b32_e64 v53, 0, -1, s0
	v_cmp_ne_u16_sdwa s0, v54, v10 src0_sel:BYTE_1 src1_sel:DWORD
	v_xor_b32_e32 v44, v55, v44
	v_bcnt_u32_b32 v56, v47, 0
	v_lshrrev_b16 v95, 4, v72
	v_mul_lo_u32 v49, 0x1010101, v49
	v_cndmask_b32_e64 v85, 0, -1, s0
	v_cmp_ne_u16_sdwa s0, v54, v10 src0_sel:BYTE_3 src1_sel:DWORD
	v_mul_lo_u32 v44, 0x1010101, v44
	v_and_b32_e32 v56, 1, v56
	v_lshrrev_b32_e32 v51, 18, v30
	v_bfe_i32 v52, v30, 0, 1
	v_cndmask_b32_e64 v54, 0, -1, s0
	v_cmp_ne_u16_sdwa s0, v57, v10 src0_sel:BYTE_1 src1_sel:DWORD
	v_lshlrev_b32_e32 v56, 7, v56
	v_and_b32_e32 v63, 0x8040201, v49
	v_and_b32_e32 v61, 0x8040201, v44
	;; [unrolled: 1-line block ×3, first 2 shown]
	v_cndmask_b32_e64 v87, 0, -1, s0
	v_cmp_ne_u16_sdwa s0, v57, v10 src0_sel:BYTE_3 src1_sel:DWORD
	v_xor_b32_e32 v47, v56, v47
	v_lshrrev_b32_e32 v30, 22, v30
	v_lshrrev_b16 v98, 4, v75
	v_lshrrev_b32_e32 v55, 18, v33
	v_cndmask_b32_e64 v57, 0, -1, s0
	v_cmp_ne_u16_sdwa s0, v58, v10 src0_sel:BYTE_1 src1_sel:DWORD
	v_mul_lo_u32 v47, 0x1010101, v47
	v_bfe_i32 v56, v33, 0, 1
	v_lshrrev_b32_e32 v33, 22, v33
	v_lshrrev_b32_e32 v64, 18, v37
	v_cndmask_b32_e64 v88, 0, -1, s0
	v_cmp_ne_u16_sdwa s0, v58, v10 src0_sel:BYTE_3 src1_sel:DWORD
	v_bfe_i32 v65, v37, 0, 1
	v_lshrrev_b32_e32 v37, 22, v37
	v_and_b32_e32 v62, 0x8040201, v47
	v_and_b32_e32 v78, 0x80402010, v47
	v_cndmask_b32_e64 v58, 0, -1, s0
	v_cmp_ne_u16_sdwa s0, v66, v10 src0_sel:BYTE_1 src1_sel:DWORD
	v_lshrrev_b32_e32 v67, 18, v39
	v_bfe_i32 v68, v39, 0, 1
	v_lshrrev_b16 v101, 4, v78
	v_lshrrev_b32_e32 v39, 22, v39
	v_cndmask_b32_e64 v90, 0, -1, s0
	v_cmp_ne_u16_sdwa s0, v66, v10 src0_sel:BYTE_3 src1_sel:DWORD
	v_lshrrev_b32_e32 v70, 18, v42
	v_and_b32_e32 v81, 0x80402010, v49
	v_bfe_i32 v51, v51, 0, 1
	v_lshlrev_b16 v82, 8, v82
	v_cndmask_b32_e64 v66, 0, -1, s0
	v_cmp_ne_u16_sdwa s0, v59, v10 src0_sel:BYTE_1 src1_sel:DWORD
	v_lshlrev_b16 v50, 8, v50
	v_bfe_i32 v71, v42, 0, 1
	v_lshrrev_b32_e32 v42, 22, v42
	v_lshrrev_b32_e32 v73, 18, v44
	v_cndmask_b32_e64 v91, 0, -1, s0
	v_cmp_ne_u16_sdwa s0, v59, v10 src0_sel:BYTE_3 src1_sel:DWORD
	v_bfe_i32 v74, v44, 0, 1
	v_lshrrev_b32_e32 v44, 22, v44
	v_lshrrev_b32_e32 v76, 18, v47
	v_bfe_i32 v30, v30, 0, 1
	v_cndmask_b32_e64 v59, 0, -1, s0
	v_cmp_ne_u16_sdwa s0, v69, v10 src0_sel:BYTE_1 src1_sel:DWORD
	v_bfe_i32 v55, v55, 0, 1
	v_bfe_i32 v33, v33, 0, 1
	;; [unrolled: 1-line block ×4, first 2 shown]
	v_cndmask_b32_e64 v93, 0, -1, s0
	v_cmp_ne_u16_sdwa s0, v69, v10 src0_sel:BYTE_3 src1_sel:DWORD
	v_bfe_i32 v67, v67, 0, 1
	v_bfe_i32 v39, v39, 0, 1
	;; [unrolled: 1-line block ×4, first 2 shown]
	v_cndmask_b32_e64 v69, 0, -1, s0
	v_cmp_ne_u16_sdwa s0, v60, v10 src0_sel:BYTE_1 src1_sel:DWORD
	v_lshlrev_b16 v84, 8, v84
	v_lshlrev_b16 v53, 8, v53
	;; [unrolled: 1-line block ×4, first 2 shown]
	v_cndmask_b32_e64 v94, 0, -1, s0
	v_cmp_ne_u16_sdwa s0, v60, v10 src0_sel:BYTE_3 src1_sel:DWORD
	v_bfe_i32 v86, v86, 0, 1
	v_lshlrev_b16 v87, 8, v87
	v_lshlrev_b16 v57, 8, v57
	;; [unrolled: 1-line block ×3, first 2 shown]
	v_cndmask_b32_e64 v60, 0, -1, s0
	v_cmp_ne_u16_sdwa s0, v72, v10 src0_sel:BYTE_1 src1_sel:DWORD
	v_lshlrev_b16 v58, 8, v58
	v_bfe_i32 v89, v89, 0, 1
	v_lshlrev_b16 v90, 8, v90
	v_lshlrev_b16 v66, 8, v66
	v_cndmask_b32_e64 v96, 0, -1, s0
	v_cmp_ne_u16_sdwa s0, v72, v10 src0_sel:BYTE_3 src1_sel:DWORD
	v_lshlrev_b16 v91, 8, v91
	v_lshlrev_b16 v59, 8, v59
	v_bfe_i32 v92, v92, 0, 1
	v_lshlrev_b16 v93, 8, v93
	v_cndmask_b32_e64 v72, 0, -1, s0
	v_cmp_ne_u16_sdwa s0, v61, v10 src0_sel:BYTE_1 src1_sel:DWORD
	v_lshlrev_b16 v69, 8, v69
	v_lshlrev_b16 v94, 8, v94
	;; [unrolled: 1-line block ×3, first 2 shown]
	v_or_b32_sdwa v106, v52, v82 dst_sel:DWORD dst_unused:UNUSED_PAD src0_sel:BYTE_0 src1_sel:DWORD
	v_cndmask_b32_e64 v97, 0, -1, s0
	v_cmp_ne_u16_sdwa s0, v61, v10 src0_sel:BYTE_3 src1_sel:DWORD
	v_or_b32_sdwa v107, v51, v50 dst_sel:WORD_1 dst_unused:UNUSED_PAD src0_sel:BYTE_0 src1_sel:DWORD
	v_bfe_i32 v77, v47, 0, 1
	v_lshrrev_b32_e32 v47, 22, v47
	v_lshrrev_b32_e32 v79, 18, v49
	v_cndmask_b32_e64 v61, 0, -1, s0
	v_cmp_ne_u16_sdwa s0, v75, v10 src0_sel:BYTE_1 src1_sel:DWORD
	v_bfe_i32 v42, v42, 0, 1
	v_bfe_i32 v73, v73, 0, 1
	;; [unrolled: 1-line block ×4, first 2 shown]
	v_cndmask_b32_e64 v99, 0, -1, s0
	v_cmp_ne_u16_sdwa s0, v75, v10 src0_sel:BYTE_3 src1_sel:DWORD
	v_bfe_i32 v95, v95, 0, 1
	v_lshlrev_b16 v96, 8, v96
	v_lshlrev_b16 v72, 8, v72
	;; [unrolled: 1-line block ×3, first 2 shown]
	v_cndmask_b32_e64 v75, 0, -1, s0
	v_cmp_ne_u16_sdwa s0, v62, v10 src0_sel:BYTE_1 src1_sel:DWORD
	v_lshlrev_b16 v61, 8, v61
	v_bfe_i32 v98, v98, 0, 1
	v_lshlrev_b16 v99, 8, v99
	v_lshlrev_b16 v75, 8, v75
	v_cndmask_b32_e64 v100, 0, -1, s0
	v_cmp_ne_u16_sdwa s0, v62, v10 src0_sel:BYTE_3 src1_sel:DWORD
	v_or_b32_sdwa v108, v83, v84 dst_sel:DWORD dst_unused:UNUSED_PAD src0_sel:BYTE_0 src1_sel:DWORD
	v_or_b32_sdwa v109, v30, v53 dst_sel:WORD_1 dst_unused:UNUSED_PAD src0_sel:BYTE_0 src1_sel:DWORD
	v_or_b32_sdwa v110, v56, v85 dst_sel:DWORD dst_unused:UNUSED_PAD src0_sel:BYTE_0 src1_sel:DWORD
	v_lshlrev_b16 v100, 8, v100
	v_cndmask_b32_e64 v62, 0, -1, s0
	v_cmp_ne_u16_sdwa s0, v78, v10 src0_sel:BYTE_1 src1_sel:DWORD
	v_or_b32_sdwa v111, v55, v54 dst_sel:WORD_1 dst_unused:UNUSED_PAD src0_sel:BYTE_0 src1_sel:DWORD
	v_or_b32_sdwa v112, v86, v87 dst_sel:DWORD dst_unused:UNUSED_PAD src0_sel:BYTE_0 src1_sel:DWORD
	v_or_b32_sdwa v113, v33, v57 dst_sel:WORD_1 dst_unused:UNUSED_PAD src0_sel:BYTE_0 src1_sel:DWORD
	v_lshlrev_b16 v62, 8, v62
	v_cndmask_b32_e64 v102, 0, -1, s0
	v_cmp_ne_u16_sdwa s0, v78, v10 src0_sel:BYTE_3 src1_sel:DWORD
	v_or_b32_sdwa v114, v65, v88 dst_sel:DWORD dst_unused:UNUSED_PAD src0_sel:BYTE_0 src1_sel:DWORD
	v_or_b32_sdwa v115, v64, v58 dst_sel:WORD_1 dst_unused:UNUSED_PAD src0_sel:BYTE_0 src1_sel:DWORD
	v_or_b32_sdwa v116, v89, v90 dst_sel:DWORD dst_unused:UNUSED_PAD src0_sel:BYTE_0 src1_sel:DWORD
	v_or_b32_sdwa v117, v37, v66 dst_sel:WORD_1 dst_unused:UNUSED_PAD src0_sel:BYTE_0 src1_sel:DWORD
	v_cndmask_b32_e64 v78, 0, -1, s0
	v_cmp_ne_u16_sdwa s0, v63, v10 src0_sel:BYTE_1 src1_sel:DWORD
	v_or_b32_sdwa v118, v68, v91 dst_sel:DWORD dst_unused:UNUSED_PAD src0_sel:BYTE_0 src1_sel:DWORD
	v_or_b32_sdwa v119, v67, v59 dst_sel:WORD_1 dst_unused:UNUSED_PAD src0_sel:BYTE_0 src1_sel:DWORD
	v_or_b32_sdwa v120, v92, v93 dst_sel:DWORD dst_unused:UNUSED_PAD src0_sel:BYTE_0 src1_sel:DWORD
	v_or_b32_sdwa v121, v39, v69 dst_sel:WORD_1 dst_unused:UNUSED_PAD src0_sel:BYTE_0 src1_sel:DWORD
	v_cndmask_b32_e64 v103, 0, -1, s0
	v_cmp_ne_u16_sdwa s0, v63, v10 src0_sel:BYTE_3 src1_sel:DWORD
	v_or_b32_sdwa v122, v71, v94 dst_sel:DWORD dst_unused:UNUSED_PAD src0_sel:BYTE_0 src1_sel:DWORD
	v_or_b32_sdwa v106, v106, v107 dst_sel:DWORD dst_unused:UNUSED_PAD src0_sel:WORD_0 src1_sel:DWORD
	v_or_b32_sdwa v107, v70, v60 dst_sel:WORD_1 dst_unused:UNUSED_PAD src0_sel:BYTE_0 src1_sel:DWORD
	v_bfe_i32 v80, v49, 0, 1
	v_cndmask_b32_e64 v63, 0, -1, s0
	v_cmp_ne_u16_sdwa s0, v81, v10 src0_sel:BYTE_1 src1_sel:DWORD
	v_lshrrev_b32_e32 v49, 22, v49
	v_bfe_i32 v47, v47, 0, 1
	v_bfe_i32 v79, v79, 0, 1
	v_lshrrev_b16 v104, 4, v81
	v_cndmask_b32_e64 v105, 0, -1, s0
	v_cmp_ne_u16_sdwa s0, v81, v10 src0_sel:BYTE_3 src1_sel:DWORD
	v_bfe_i32 v101, v101, 0, 1
	v_lshlrev_b16 v102, 8, v102
	v_lshlrev_b16 v78, 8, v78
	;; [unrolled: 1-line block ×3, first 2 shown]
	v_cndmask_b32_e64 v81, 0, -1, s0
	v_lshlrev_b16 v63, 8, v63
	v_or_b32_sdwa v108, v108, v109 dst_sel:DWORD dst_unused:UNUSED_PAD src0_sel:WORD_0 src1_sel:DWORD
	v_or_b32_sdwa v109, v95, v96 dst_sel:DWORD dst_unused:UNUSED_PAD src0_sel:BYTE_0 src1_sel:DWORD
	v_or_b32_sdwa v110, v110, v111 dst_sel:DWORD dst_unused:UNUSED_PAD src0_sel:WORD_0 src1_sel:DWORD
	v_or_b32_sdwa v111, v42, v72 dst_sel:WORD_1 dst_unused:UNUSED_PAD src0_sel:BYTE_0 src1_sel:DWORD
	v_or_b32_sdwa v112, v112, v113 dst_sel:DWORD dst_unused:UNUSED_PAD src0_sel:WORD_0 src1_sel:DWORD
	v_or_b32_sdwa v113, v74, v97 dst_sel:DWORD dst_unused:UNUSED_PAD src0_sel:BYTE_0 src1_sel:DWORD
	v_or_b32_sdwa v114, v114, v115 dst_sel:DWORD dst_unused:UNUSED_PAD src0_sel:WORD_0 src1_sel:DWORD
	v_or_b32_sdwa v115, v73, v61 dst_sel:WORD_1 dst_unused:UNUSED_PAD src0_sel:BYTE_0 src1_sel:DWORD
	v_or_b32_sdwa v116, v116, v117 dst_sel:DWORD dst_unused:UNUSED_PAD src0_sel:WORD_0 src1_sel:DWORD
	v_or_b32_sdwa v117, v98, v99 dst_sel:DWORD dst_unused:UNUSED_PAD src0_sel:BYTE_0 src1_sel:DWORD
	v_or_b32_sdwa v118, v118, v119 dst_sel:DWORD dst_unused:UNUSED_PAD src0_sel:WORD_0 src1_sel:DWORD
	v_or_b32_sdwa v119, v44, v75 dst_sel:WORD_1 dst_unused:UNUSED_PAD src0_sel:BYTE_0 src1_sel:DWORD
	v_or_b32_sdwa v120, v120, v121 dst_sel:DWORD dst_unused:UNUSED_PAD src0_sel:WORD_0 src1_sel:DWORD
	v_or_b32_sdwa v121, v77, v100 dst_sel:DWORD dst_unused:UNUSED_PAD src0_sel:BYTE_0 src1_sel:DWORD
	v_or_b32_sdwa v107, v122, v107 dst_sel:DWORD dst_unused:UNUSED_PAD src0_sel:WORD_0 src1_sel:DWORD
	v_or_b32_sdwa v122, v76, v62 dst_sel:WORD_1 dst_unused:UNUSED_PAD src0_sel:BYTE_0 src1_sel:DWORD
	v_bfe_i32 v49, v49, 0, 1
	v_bfe_i32 v104, v104, 0, 1
	v_lshlrev_b16 v105, 8, v105
	v_lshlrev_b16 v81, 8, v81
	v_or_b32_sdwa v109, v109, v111 dst_sel:DWORD dst_unused:UNUSED_PAD src0_sel:WORD_0 src1_sel:DWORD
	v_or_b32_sdwa v111, v101, v102 dst_sel:DWORD dst_unused:UNUSED_PAD src0_sel:BYTE_0 src1_sel:DWORD
	v_or_b32_sdwa v113, v113, v115 dst_sel:DWORD dst_unused:UNUSED_PAD src0_sel:WORD_0 src1_sel:DWORD
	v_or_b32_sdwa v115, v47, v78 dst_sel:WORD_1 dst_unused:UNUSED_PAD src0_sel:BYTE_0 src1_sel:DWORD
	v_or_b32_sdwa v117, v117, v119 dst_sel:DWORD dst_unused:UNUSED_PAD src0_sel:WORD_0 src1_sel:DWORD
	v_or_b32_sdwa v119, v80, v103 dst_sel:DWORD dst_unused:UNUSED_PAD src0_sel:BYTE_0 src1_sel:DWORD
	v_or_b32_sdwa v121, v121, v122 dst_sel:DWORD dst_unused:UNUSED_PAD src0_sel:WORD_0 src1_sel:DWORD
	v_or_b32_sdwa v122, v79, v63 dst_sel:WORD_1 dst_unused:UNUSED_PAD src0_sel:BYTE_0 src1_sel:DWORD
	v_or_b32_sdwa v111, v111, v115 dst_sel:DWORD dst_unused:UNUSED_PAD src0_sel:WORD_0 src1_sel:DWORD
	v_or_b32_sdwa v115, v104, v105 dst_sel:DWORD dst_unused:UNUSED_PAD src0_sel:BYTE_0 src1_sel:DWORD
	v_lshlrev_b16 v52, 8, v52
	v_lshlrev_b16 v56, 8, v56
	v_or_b32_sdwa v119, v119, v122 dst_sel:DWORD dst_unused:UNUSED_PAD src0_sel:WORD_0 src1_sel:DWORD
	v_or_b32_sdwa v122, v49, v81 dst_sel:WORD_1 dst_unused:UNUSED_PAD src0_sel:BYTE_0 src1_sel:DWORD
	v_lshlrev_b16 v83, 8, v83
	v_lshlrev_b16 v92, 8, v92
	;; [unrolled: 1-line block ×4, first 2 shown]
	v_or_b32_sdwa v115, v115, v122 dst_sel:DWORD dst_unused:UNUSED_PAD src0_sel:WORD_0 src1_sel:DWORD
	v_lshlrev_b16 v86, 8, v86
	v_lshlrev_b16 v95, 8, v95
	;; [unrolled: 1-line block ×19, first 2 shown]
	v_mov_b32_e32 v122, 0
	v_lshlrev_b16 v44, 8, v44
	v_lshlrev_b16 v101, 8, v101
	;; [unrolled: 1-line block ×7, first 2 shown]
	v_cmp_le_u32_e64 s0, s7, v16
	s_or_b32 s4, s0, s4
	s_waitcnt vmcnt(15)
	v_xor_b32_e32 v26, v26, v106
	s_waitcnt vmcnt(14)
	v_xor_b32_e32 v27, v27, v108
	s_waitcnt vmcnt(13)
	v_xor_b32_e32 v31, v31, v110
	s_waitcnt vmcnt(12)
	v_xor_b32_e32 v32, v32, v112
	s_waitcnt vmcnt(11)
	v_xor_b32_e32 v34, v34, v114
	v_lshlrev_b16 v108, 8, v26
	s_waitcnt vmcnt(10)
	v_xor_b32_e32 v36, v36, v116
	s_waitcnt vmcnt(8)
	v_xor_b32_e32 v35, v35, v120
	;; [unrolled: 2-line block ×3, first 2 shown]
	v_and_b32_e32 v107, 0xffffff00, v26
	s_waitcnt vmcnt(6)
	v_xor_b32_e32 v41, v41, v109
	s_waitcnt vmcnt(5)
	v_xor_b32_e32 v43, v43, v113
	;; [unrolled: 2-line block ×4, first 2 shown]
	v_and_b32_e32 v109, 0xffffff00, v27
	s_waitcnt vmcnt(0)
	v_xor_b32_e32 v29, v29, v115
	v_lshlrev_b16 v110, 8, v27
	v_and_b32_e32 v111, 0xffffff00, v31
	v_lshlrev_b16 v112, 8, v31
	v_and_b32_e32 v115, 0xffffff00, v34
	v_sub_nc_i16 v82, v107, v82 clamp
	v_lshlrev_b16 v107, 8, v35
	v_sub_nc_i16 v52, v108, v52 clamp
	v_and_b32_e32 v108, 0xffffff00, v40
	v_xor_b32_e32 v38, v38, v118
	v_xor_b32_e32 v45, v45, v121
	v_and_b32_e32 v113, 0xffffff00, v32
	v_lshlrev_b16 v114, 8, v32
	v_lshlrev_b16 v116, 8, v34
	v_and_b32_e32 v117, 0xffffff00, v36
	v_lshlrev_b16 v118, 8, v36
	v_sub_nc_i16 v84, v109, v84 clamp
	v_lshlrev_b16 v109, 8, v40
	v_sub_nc_i16 v83, v110, v83 clamp
	v_and_b32_e32 v110, 0xffffff00, v41
	v_sub_nc_i16 v85, v111, v85 clamp
	v_lshlrev_b16 v111, 8, v41
	v_sub_nc_i16 v56, v112, v56 clamp
	v_and_b32_e32 v112, 0xffffff00, v43
	v_sub_nc_i16 v88, v115, v88 clamp
	v_lshlrev_b16 v115, 8, v28
	v_sub_nc_i16 v92, v107, v92 clamp
	v_and_b32_e32 v107, 0xffffff00, v29
	v_sub_nc_i16 v94, v108, v94 clamp
	v_lshlrev_b16 v108, 8, v29
	v_lshrrev_b32_e32 v26, 16, v26
	v_lshrrev_b32_e32 v27, 16, v27
	;; [unrolled: 1-line block ×7, first 2 shown]
	v_xor_b32_e32 v48, v48, v119
	v_and_b32_e32 v119, 0xffffff00, v38
	v_lshlrev_b16 v120, 8, v38
	v_and_b32_e32 v121, 0xffffff00, v35
	v_sub_nc_i16 v87, v113, v87 clamp
	v_lshlrev_b16 v113, 8, v43
	v_sub_nc_i16 v86, v114, v86 clamp
	v_and_b32_e32 v114, 0xffffff00, v28
	v_sub_nc_i16 v65, v116, v65 clamp
	v_and_b32_e32 v116, 0xffffff00, v45
	v_lshrrev_b32_e32 v38, 16, v38
	v_lshrrev_b32_e32 v35, 16, v35
	;; [unrolled: 1-line block ×3, first 2 shown]
	v_sub_nc_i16 v71, v109, v71 clamp
	v_sub_nc_i16 v96, v110, v96 clamp
	;; [unrolled: 1-line block ×7, first 2 shown]
	v_and_b32_e32 v107, 0xffffff00, v26
	v_lshlrev_b16 v26, 8, v26
	v_and_b32_e32 v108, 0xffffff00, v27
	v_lshlrev_b16 v27, 8, v27
	;; [unrolled: 2-line block ×7, first 2 shown]
	v_sub_nc_i16 v90, v117, v90 clamp
	v_lshlrev_b16 v117, 8, v45
	v_sub_nc_i16 v89, v118, v89 clamp
	v_sub_nc_i16 v91, v119, v91 clamp
	v_sub_nc_i16 v68, v120, v68 clamp
	v_lshrrev_b32_e32 v43, 16, v43
	v_sub_nc_i16 v74, v113, v74 clamp
	v_sub_nc_i16 v99, v114, v99 clamp
	;; [unrolled: 1-line block ×3, first 2 shown]
	v_and_b32_e32 v113, 0xffffff00, v38
	v_lshlrev_b16 v38, 8, v38
	v_and_b32_e32 v114, 0xffffff00, v35
	v_lshlrev_b16 v35, 8, v35
	;; [unrolled: 2-line block ×3, first 2 shown]
	v_sub_nc_i16 v50, v107, v50 clamp
	v_sub_nc_i16 v26, v26, v51 clamp
	;; [unrolled: 1-line block ×3, first 2 shown]
	v_perm_b32 v30, v56, v85, 0xc0c0105
	v_sub_nc_i16 v54, v109, v54 clamp
	v_sub_nc_i16 v31, v31, v55 clamp
	;; [unrolled: 1-line block ×10, first 2 shown]
	v_and_b32_e32 v118, 0xffffff00, v46
	v_lshrrev_b32_e32 v28, 16, v28
	v_sub_nc_i16 v77, v117, v77 clamp
	v_and_b32_e32 v117, 0xffffff00, v43
	v_lshlrev_b16 v43, 8, v43
	v_perm_b32 v52, v52, v82, 0xc0c0105
	v_sub_nc_i16 v53, v108, v53 clamp
	v_perm_b32 v55, v86, v87, 0xc0c0105
	v_perm_b32 v33, v65, v88, 0xc0c0105
	;; [unrolled: 1-line block ×4, first 2 shown]
	v_sub_nc_i16 v59, v113, v59 clamp
	v_sub_nc_i16 v38, v38, v67 clamp
	;; [unrolled: 1-line block ×3, first 2 shown]
	v_perm_b32 v39, v71, v94, 0xc0c0105
	v_sub_nc_i16 v68, v116, v72 clamp
	v_sub_nc_i16 v41, v41, v42 clamp
	v_perm_b32 v26, v26, v50, 0xc0c0105
	v_perm_b32 v31, v31, v54, 0xc0c0105
	;; [unrolled: 1-line block ×6, first 2 shown]
	v_mov_b32_e32 v106, 0
	v_lshlrev_b16 v119, 8, v46
	v_lshrrev_b32_e32 v45, 16, v45
	v_sub_nc_i16 v102, v118, v102 clamp
	v_and_b32_e32 v118, 0xffffff00, v28
	v_lshlrev_b16 v28, 8, v28
	v_perm_b32 v51, v83, v84, 0xc0c0105
	v_perm_b32 v67, v95, v96, 0xc0c0105
	v_sub_nc_i16 v61, v117, v61 clamp
	v_sub_nc_i16 v43, v43, v73 clamp
	v_perm_b32 v27, v27, v53, 0xc0c0105
	v_perm_b32 v38, v38, v59, 0xc0c0105
	v_perm_b32 v41, v41, v68, 0xc0c0105
	v_lshl_or_b32 v26, v26, 16, v52
	v_lshl_or_b32 v30, v31, 16, v30
	;; [unrolled: 1-line block ×6, first 2 shown]
	v_and_b32_e32 v120, 0xffffff00, v48
	v_lshrrev_b32_e32 v46, 16, v46
	v_sub_nc_i16 v101, v119, v101 clamp
	v_and_b32_e32 v119, 0xffffff00, v45
	v_lshlrev_b16 v45, 8, v45
	v_perm_b32 v42, v74, v97, 0xc0c0105
	v_sub_nc_i16 v70, v118, v75 clamp
	v_sub_nc_i16 v28, v28, v44 clamp
	v_perm_b32 v43, v43, v61, 0xc0c0105
	v_lshl_or_b32 v27, v27, 16, v51
	v_lshl_or_b32 v34, v38, 16, v37
	;; [unrolled: 1-line block ×3, first 2 shown]
	v_dot4c_i32_i8 v122, v26, v3
	v_dot4c_i32_i8 v106, v36, v3
	v_sub_nc_i16 v93, v121, v93 clamp
	v_lshlrev_b16 v121, 8, v48
	v_lshrrev_b32_e32 v48, 16, v48
	v_sub_nc_i16 v103, v120, v103 clamp
	v_and_b32_e32 v120, 0xffffff00, v46
	v_lshlrev_b16 v46, 8, v46
	v_sub_nc_i16 v66, v114, v69 clamp
	v_perm_b32 v69, v98, v99, 0xc0c0105
	v_sub_nc_i16 v62, v119, v62 clamp
	v_sub_nc_i16 v45, v45, v76 clamp
	v_perm_b32 v28, v28, v70, 0xc0c0105
	v_lshl_or_b32 v3, v43, 16, v42
	v_dot4c_i32_i8 v122, v27, v4
	v_dot4c_i32_i8 v106, v37, v4
	v_lshrrev_b32_e32 v29, 16, v29
	v_sub_nc_i16 v80, v121, v80 clamp
	v_and_b32_e32 v121, 0xffffff00, v48
	v_lshlrev_b16 v48, 8, v48
	v_perm_b32 v44, v77, v100, 0xc0c0105
	v_sub_nc_i16 v72, v120, v78 clamp
	v_sub_nc_i16 v46, v46, v47 clamp
	v_perm_b32 v45, v45, v62, 0xc0c0105
	v_lshl_or_b32 v4, v28, 16, v69
	v_dot4c_i32_i8 v122, v30, v5
	v_dot4c_i32_i8 v106, v3, v5
	v_and_b32_e32 v82, 0xffffff00, v29
	v_lshlrev_b16 v29, 8, v29
	v_perm_b32 v71, v101, v102, 0xc0c0105
	v_sub_nc_i16 v63, v121, v63 clamp
	v_sub_nc_i16 v48, v48, v79 clamp
	v_perm_b32 v46, v46, v72, 0xc0c0105
	v_lshl_or_b32 v3, v45, 16, v44
	v_dot4c_i32_i8 v122, v31, v6
	v_dot4c_i32_i8 v106, v4, v6
	v_perm_b32 v47, v80, v103, 0xc0c0105
	v_sub_nc_i16 v74, v82, v81 clamp
	v_sub_nc_i16 v29, v29, v49 clamp
	v_perm_b32 v48, v48, v63, 0xc0c0105
	v_lshl_or_b32 v4, v46, 16, v71
	v_dot4c_i32_i8 v122, v32, v7
	v_dot4c_i32_i8 v106, v3, v7
	v_perm_b32 v65, v92, v93, 0xc0c0105
	v_perm_b32 v73, v104, v105, 0xc0c0105
	;; [unrolled: 1-line block ×4, first 2 shown]
	v_lshl_or_b32 v3, v48, 16, v47
	v_dot4c_i32_i8 v122, v33, v8
	v_dot4c_i32_i8 v106, v4, v8
	v_lshl_or_b32 v35, v35, 16, v65
	v_lshl_or_b32 v4, v29, 16, v73
	v_lshrrev_b32_e32 v5, 28, v25
	v_dot4c_i32_i8 v122, v34, v9
	v_dot4c_i32_i8 v106, v3, v9
	v_lshrrev_b32_e32 v7, 28, v24
	v_dot4c_i32_i8 v122, v35, v23
	v_dot4c_i32_i8 v106, v4, v23
	v_lshrrev_b32_e32 v3, 31, v122
	v_lshrrev_b32_e32 v4, 31, v106
	v_add_nc_u32_e32 v3, v122, v3
	v_add_nc_u32_e32 v4, v106, v4
	v_ashrrev_i32_e32 v3, 1, v3
	v_ashrrev_i32_e32 v4, 1, v4
	v_mad_u64_u32 v[5:6], null, v122, v5, v[3:4]
	v_mad_u64_u32 v[3:4], null, v106, v7, v[4:5]
	v_lshrrev_b32_e32 v4, 31, v5
	v_add_nc_u32_e32 v4, v5, v4
	v_lshrrev_b32_e32 v6, 31, v3
	v_cvt_f32_f16_e32 v5, v22
	v_ashrrev_i32_e32 v4, 1, v4
	v_add_nc_u32_e32 v3, v3, v6
	v_cvt_f32_f16_e32 v6, v21
	v_mul_f32_e32 v5, v5, v2
	v_cvt_f32_i32_e32 v4, v4
	v_ashrrev_i32_e32 v3, 1, v3
	v_mul_f32_e32 v2, v6, v2
	v_fmac_f32_e32 v17, v5, v4
	v_cvt_f32_i32_e32 v3, v3
	v_fmac_f32_e32 v15, v2, v3
	s_andn2_b32 exec_lo, exec_lo, s4
	s_cbranch_execnz .LBB192_3
; %bb.4:
	s_or_b32 exec_lo, exec_lo, s4
.LBB192_5:
	s_or_b32 exec_lo, exec_lo, s6
	v_mbcnt_lo_u32_b32 v2, -1, 0
	v_xor_b32_e32 v3, 16, v2
	v_xor_b32_e32 v5, 8, v2
	;; [unrolled: 1-line block ×3, first 2 shown]
	v_cmp_gt_i32_e32 vcc_lo, 32, v3
	v_cndmask_b32_e32 v3, v2, v3, vcc_lo
	v_cmp_gt_i32_e32 vcc_lo, 32, v5
	v_lshlrev_b32_e32 v3, 2, v3
	v_cndmask_b32_e32 v5, v2, v5, vcc_lo
	v_cmp_gt_i32_e32 vcc_lo, 32, v7
	ds_bpermute_b32 v4, v3, v17
	ds_bpermute_b32 v3, v3, v15
	v_lshlrev_b32_e32 v5, 2, v5
	v_cndmask_b32_e32 v7, v2, v7, vcc_lo
	v_lshlrev_b32_e32 v7, 2, v7
	s_waitcnt lgkmcnt(1)
	v_add_f32_e32 v4, v17, v4
	s_waitcnt lgkmcnt(0)
	v_add_f32_e32 v3, v15, v3
	ds_bpermute_b32 v6, v5, v4
	ds_bpermute_b32 v5, v5, v3
	s_waitcnt lgkmcnt(1)
	v_add_f32_e32 v4, v4, v6
	s_waitcnt lgkmcnt(0)
	v_add_f32_e32 v3, v3, v5
	ds_bpermute_b32 v5, v7, v4
	ds_bpermute_b32 v6, v7, v3
	v_xor_b32_e32 v7, 2, v2
	v_cmp_gt_i32_e32 vcc_lo, 32, v7
	v_cndmask_b32_e32 v7, v2, v7, vcc_lo
	v_lshlrev_b32_e32 v7, 2, v7
	s_waitcnt lgkmcnt(1)
	v_add_f32_e32 v4, v4, v5
	s_waitcnt lgkmcnt(0)
	v_add_f32_e32 v3, v3, v6
	ds_bpermute_b32 v5, v7, v4
	ds_bpermute_b32 v6, v7, v3
	v_xor_b32_e32 v7, 1, v2
	v_cmp_gt_i32_e32 vcc_lo, 32, v7
	v_cndmask_b32_e32 v2, v2, v7, vcc_lo
	v_cmp_gt_u32_e32 vcc_lo, 2, v0
	v_lshlrev_b32_e32 v7, 2, v2
	s_waitcnt lgkmcnt(1)
	v_add_f32_e32 v2, v4, v5
	s_waitcnt lgkmcnt(0)
	v_add_f32_e32 v3, v3, v6
	v_add_nc_u32_e32 v6, s3, v0
	ds_bpermute_b32 v4, v7, v2
	ds_bpermute_b32 v5, v7, v3
	v_cmp_gt_u32_e64 s0, s16, v6
	s_and_b32 s0, vcc_lo, s0
	s_and_b32 exec_lo, exec_lo, s0
	s_cbranch_execz .LBB192_7
; %bb.6:
	v_mul_lo_u32 v1, s19, v1
	v_or_b32_e32 v6, s3, v0
	s_mul_i32 s0, s22, s2
	v_mov_b32_e32 v7, 0
	s_waitcnt lgkmcnt(1)
	v_add_f32_e32 v4, v2, v4
	s_waitcnt lgkmcnt(0)
	v_add_f32_e32 v3, v3, v5
	v_cmp_eq_u32_e32 vcc_lo, 1, v0
	v_add3_u32 v6, v6, v1, s0
	v_cndmask_b32_e32 v3, v4, v3, vcc_lo
	v_lshlrev_b64 v[1:2], 2, v[6:7]
	v_add_co_u32 v0, vcc_lo, s14, v1
	v_add_co_ci_u32_e64 v1, null, s15, v2, vcc_lo
	global_store_dword v[0:1], v3, off
.LBB192_7:
	s_endpgm
	.section	.rodata,"a",@progbits
	.p2align	6, 0x0
	.amdhsa_kernel _ZL17mul_mat_vec_q_moeIL9ggml_type18ELi2EEvPKvS2_PKiPfj15HIP_vector_typeIjLj3EEjjjjjjjjj
		.amdhsa_group_segment_fixed_size 0
		.amdhsa_private_segment_fixed_size 0
		.amdhsa_kernarg_size 84
		.amdhsa_user_sgpr_count 6
		.amdhsa_user_sgpr_private_segment_buffer 1
		.amdhsa_user_sgpr_dispatch_ptr 0
		.amdhsa_user_sgpr_queue_ptr 0
		.amdhsa_user_sgpr_kernarg_segment_ptr 1
		.amdhsa_user_sgpr_dispatch_id 0
		.amdhsa_user_sgpr_flat_scratch_init 0
		.amdhsa_user_sgpr_private_segment_size 0
		.amdhsa_wavefront_size32 1
		.amdhsa_uses_dynamic_stack 0
		.amdhsa_system_sgpr_private_segment_wavefront_offset 0
		.amdhsa_system_sgpr_workgroup_id_x 1
		.amdhsa_system_sgpr_workgroup_id_y 1
		.amdhsa_system_sgpr_workgroup_id_z 0
		.amdhsa_system_sgpr_workgroup_info 0
		.amdhsa_system_vgpr_workitem_id 1
		.amdhsa_next_free_vgpr 123
		.amdhsa_next_free_sgpr 28
		.amdhsa_reserve_vcc 1
		.amdhsa_reserve_flat_scratch 0
		.amdhsa_float_round_mode_32 0
		.amdhsa_float_round_mode_16_64 0
		.amdhsa_float_denorm_mode_32 3
		.amdhsa_float_denorm_mode_16_64 3
		.amdhsa_dx10_clamp 1
		.amdhsa_ieee_mode 1
		.amdhsa_fp16_overflow 0
		.amdhsa_workgroup_processor_mode 1
		.amdhsa_memory_ordered 1
		.amdhsa_forward_progress 1
		.amdhsa_shared_vgpr_count 0
		.amdhsa_exception_fp_ieee_invalid_op 0
		.amdhsa_exception_fp_denorm_src 0
		.amdhsa_exception_fp_ieee_div_zero 0
		.amdhsa_exception_fp_ieee_overflow 0
		.amdhsa_exception_fp_ieee_underflow 0
		.amdhsa_exception_fp_ieee_inexact 0
		.amdhsa_exception_int_div_zero 0
	.end_amdhsa_kernel
	.section	.text._ZL17mul_mat_vec_q_moeIL9ggml_type18ELi2EEvPKvS2_PKiPfj15HIP_vector_typeIjLj3EEjjjjjjjjj,"axG",@progbits,_ZL17mul_mat_vec_q_moeIL9ggml_type18ELi2EEvPKvS2_PKiPfj15HIP_vector_typeIjLj3EEjjjjjjjjj,comdat
.Lfunc_end192:
	.size	_ZL17mul_mat_vec_q_moeIL9ggml_type18ELi2EEvPKvS2_PKiPfj15HIP_vector_typeIjLj3EEjjjjjjjjj, .Lfunc_end192-_ZL17mul_mat_vec_q_moeIL9ggml_type18ELi2EEvPKvS2_PKiPfj15HIP_vector_typeIjLj3EEjjjjjjjjj
                                        ; -- End function
	.set _ZL17mul_mat_vec_q_moeIL9ggml_type18ELi2EEvPKvS2_PKiPfj15HIP_vector_typeIjLj3EEjjjjjjjjj.num_vgpr, 123
	.set _ZL17mul_mat_vec_q_moeIL9ggml_type18ELi2EEvPKvS2_PKiPfj15HIP_vector_typeIjLj3EEjjjjjjjjj.num_agpr, 0
	.set _ZL17mul_mat_vec_q_moeIL9ggml_type18ELi2EEvPKvS2_PKiPfj15HIP_vector_typeIjLj3EEjjjjjjjjj.numbered_sgpr, 28
	.set _ZL17mul_mat_vec_q_moeIL9ggml_type18ELi2EEvPKvS2_PKiPfj15HIP_vector_typeIjLj3EEjjjjjjjjj.num_named_barrier, 0
	.set _ZL17mul_mat_vec_q_moeIL9ggml_type18ELi2EEvPKvS2_PKiPfj15HIP_vector_typeIjLj3EEjjjjjjjjj.private_seg_size, 0
	.set _ZL17mul_mat_vec_q_moeIL9ggml_type18ELi2EEvPKvS2_PKiPfj15HIP_vector_typeIjLj3EEjjjjjjjjj.uses_vcc, 1
	.set _ZL17mul_mat_vec_q_moeIL9ggml_type18ELi2EEvPKvS2_PKiPfj15HIP_vector_typeIjLj3EEjjjjjjjjj.uses_flat_scratch, 0
	.set _ZL17mul_mat_vec_q_moeIL9ggml_type18ELi2EEvPKvS2_PKiPfj15HIP_vector_typeIjLj3EEjjjjjjjjj.has_dyn_sized_stack, 0
	.set _ZL17mul_mat_vec_q_moeIL9ggml_type18ELi2EEvPKvS2_PKiPfj15HIP_vector_typeIjLj3EEjjjjjjjjj.has_recursion, 0
	.set _ZL17mul_mat_vec_q_moeIL9ggml_type18ELi2EEvPKvS2_PKiPfj15HIP_vector_typeIjLj3EEjjjjjjjjj.has_indirect_call, 0
	.section	.AMDGPU.csdata,"",@progbits
; Kernel info:
; codeLenInByte = 5340
; TotalNumSgprs: 30
; NumVgprs: 123
; ScratchSize: 0
; MemoryBound: 0
; FloatMode: 240
; IeeeMode: 1
; LDSByteSize: 0 bytes/workgroup (compile time only)
; SGPRBlocks: 0
; VGPRBlocks: 15
; NumSGPRsForWavesPerEU: 30
; NumVGPRsForWavesPerEU: 123
; Occupancy: 8
; WaveLimiterHint : 1
; COMPUTE_PGM_RSRC2:SCRATCH_EN: 0
; COMPUTE_PGM_RSRC2:USER_SGPR: 6
; COMPUTE_PGM_RSRC2:TRAP_HANDLER: 0
; COMPUTE_PGM_RSRC2:TGID_X_EN: 1
; COMPUTE_PGM_RSRC2:TGID_Y_EN: 1
; COMPUTE_PGM_RSRC2:TGID_Z_EN: 0
; COMPUTE_PGM_RSRC2:TIDIG_COMP_CNT: 1
	.section	.text._ZL13mul_mat_vec_qIL9ggml_type18ELi1ELb1ELb1EEvPKvS2_PKi31ggml_cuda_mm_fusion_args_devicePfj15HIP_vector_typeIjLj3EEjjjS8_jjjS8_jjjj,"axG",@progbits,_ZL13mul_mat_vec_qIL9ggml_type18ELi1ELb1ELb1EEvPKvS2_PKi31ggml_cuda_mm_fusion_args_devicePfj15HIP_vector_typeIjLj3EEjjjS8_jjjS8_jjjj,comdat
	.globl	_ZL13mul_mat_vec_qIL9ggml_type18ELi1ELb1ELb1EEvPKvS2_PKi31ggml_cuda_mm_fusion_args_devicePfj15HIP_vector_typeIjLj3EEjjjS8_jjjS8_jjjj ; -- Begin function _ZL13mul_mat_vec_qIL9ggml_type18ELi1ELb1ELb1EEvPKvS2_PKi31ggml_cuda_mm_fusion_args_devicePfj15HIP_vector_typeIjLj3EEjjjS8_jjjS8_jjjj
	.p2align	8
	.type	_ZL13mul_mat_vec_qIL9ggml_type18ELi1ELb1ELb1EEvPKvS2_PKi31ggml_cuda_mm_fusion_args_devicePfj15HIP_vector_typeIjLj3EEjjjS8_jjjS8_jjjj,@function
_ZL13mul_mat_vec_qIL9ggml_type18ELi1ELb1ELb1EEvPKvS2_PKi31ggml_cuda_mm_fusion_args_devicePfj15HIP_vector_typeIjLj3EEjjjS8_jjjS8_jjjj: ; @_ZL13mul_mat_vec_qIL9ggml_type18ELi1ELb1ELb1EEvPKvS2_PKi31ggml_cuda_mm_fusion_args_devicePfj15HIP_vector_typeIjLj3EEjjjS8_jjjS8_jjjj
; %bb.0:
	s_clause 0x3
	s_load_dwordx8 s[12:19], s[4:5], 0x0
	s_load_dwordx4 s[28:31], s[4:5], 0x20
	s_load_dwordx4 s[36:39], s[4:5], 0x40
	;; [unrolled: 1-line block ×3, first 2 shown]
	s_mov_b32 s10, s7
	s_waitcnt lgkmcnt(0)
	s_cmp_lg_u64 s[16:17], 0
	s_cselect_b32 s0, -1, 0
	s_cmp_eq_u64 s[16:17], 0
	s_cbranch_scc1 .LBB193_5
; %bb.1:
	s_mov_b32 s11, 0
	s_lshl_b64 s[2:3], s[10:11], 2
	s_add_u32 s2, s16, s2
	s_addc_u32 s3, s17, s3
	s_load_dword s34, s[2:3], 0x0
	s_clause 0x1
	s_load_dword s35, s[4:5], 0x50
	s_load_dword s33, s[4:5], 0x78
	s_cbranch_execnz .LBB193_3
.LBB193_2:
	s_load_dwordx2 s[2:3], s[4:5], 0x5c
	s_waitcnt lgkmcnt(0)
	s_mul_hi_u32 s1, s2, s10
	s_add_i32 s1, s10, s1
	s_lshr_b32 s34, s1, s3
.LBB193_3:
	s_andn2_b32 vcc_lo, exec_lo, s0
	s_cbranch_vccnz .LBB193_6
; %bb.4:
	s_mul_hi_u32 s0, s37, s10
	s_waitcnt lgkmcnt(0)
	s_mov_b32 s1, s34
	s_add_i32 s0, s10, s0
	s_lshr_b32 s0, s0, s38
	s_mul_i32 s0, s0, s39
	s_sub_i32 s37, s10, s0
	s_branch .LBB193_7
.LBB193_5:
                                        ; implicit-def: $sgpr34
	s_clause 0x1
	s_load_dword s35, s[4:5], 0x50
	s_load_dword s33, s[4:5], 0x78
	s_branch .LBB193_2
.LBB193_6:
	s_mov_b32 s1, s10
	s_mov_b32 s37, s10
.LBB193_7:
	s_load_dwordx4 s[24:27], s[4:5], 0x80
	v_or_b32_e32 v2, v0, v1
	s_cmp_lg_u64 s[18:19], 0
	v_mov_b32_e32 v14, 0
	v_mov_b32_e32 v15, 0
	s_cselect_b32 s0, -1, 0
	v_cmp_eq_u32_e32 vcc_lo, 0, v2
	s_mov_b32 s17, 0
	s_mul_i32 s2, s1, s22
	s_and_b32 s3, s0, vcc_lo
	s_and_saveexec_b32 s1, s3
	s_cbranch_execz .LBB193_9
; %bb.8:
	s_waitcnt lgkmcnt(0)
	s_mul_i32 s16, s26, s8
	s_mov_b32 s3, s17
	s_lshl_b64 s[38:39], s[16:17], 2
	v_lshlrev_b32_e32 v2, 2, v0
	s_add_u32 s7, s18, s38
	s_addc_u32 s9, s19, s39
	s_lshl_b64 s[16:17], s[2:3], 2
	s_add_u32 s3, s7, s16
	s_addc_u32 s9, s9, s17
	s_ashr_i32 s7, s6, 31
	s_lshl_b64 s[16:17], s[6:7], 2
	s_add_u32 s16, s3, s16
	s_addc_u32 s17, s9, s17
	global_load_dword v15, v2, s[16:17]
.LBB193_9:
	s_or_b32 exec_lo, exec_lo, s1
	s_cmp_lg_u64 s[28:29], 0
	s_cselect_b32 s9, -1, 0
	s_cmp_lg_u64 s[30:31], 0
	s_cselect_b32 s1, -1, 0
	s_and_b32 s3, s1, s9
	s_and_b32 s3, s3, vcc_lo
	s_and_saveexec_b32 s11, s3
	s_cbranch_execz .LBB193_11
; %bb.10:
	s_waitcnt lgkmcnt(0)
	s_mul_i32 s16, s26, s8
	s_mov_b32 s17, 0
	v_lshlrev_b32_e32 v2, 2, v0
	s_lshl_b64 s[18:19], s[16:17], 2
	s_mov_b32 s3, s17
	s_add_u32 s7, s30, s18
	s_addc_u32 s16, s31, s19
	s_lshl_b64 s[2:3], s[2:3], 2
	s_add_u32 s17, s7, s2
	s_addc_u32 s16, s16, s3
	s_ashr_i32 s7, s6, 31
	s_lshl_b64 s[2:3], s[6:7], 2
	s_add_u32 s2, s17, s2
	s_addc_u32 s3, s16, s3
	global_load_dword v14, v2, s[2:3]
.LBB193_11:
	s_or_b32 exec_lo, exec_lo, s11
	v_lshl_or_b32 v2, v1, 5, v0
	v_mov_b32_e32 v19, 0
	v_cndmask_b32_e64 v16, 0, 1, s9
	v_mov_b32_e32 v17, 0
	s_lshr_b32 s7, s36, 8
	v_lshrrev_b32_e32 v18, 3, v2
	s_mov_b32 s11, exec_lo
	v_cmpx_gt_u32_e64 s7, v18
	s_cbranch_execz .LBB193_17
; %bb.12:
	v_lshrrev_b32_e32 v2, 3, v2
	s_mul_i32 s2, s37, s21
	s_waitcnt lgkmcnt(0)
	s_mul_i32 s16, s25, s8
	s_mul_hi_u32 s3, s2, 36
	s_mul_i32 s2, s2, 36
	v_and_b32_e32 v5, 7, v0
	v_mad_u64_u32 v[2:3], null, 0x120, v2, s[2:3]
	v_lshlrev_b32_e32 v4, 1, v0
	s_mul_hi_u32 s2, s23, s8
	s_mul_i32 s35, s35, s6
	s_add_i32 s2, s8, s2
	v_mov_b32_e32 v20, 0
	v_and_b32_e32 v4, 14, v4
	v_mad_u64_u32 v[2:3], null, s16, 36, v[2:3]
	s_lshr_b32 s2, s2, s33
	v_mov_b32_e32 v21, 2
	s_mul_i32 s2, s2, s24
	v_mov_b32_e32 v19, 0
	v_lshlrev_b32_e32 v22, 1, v4
	v_mov_b32_e32 v17, 0
	v_mad_u64_u32 v[2:3], null, v5, 36, v[2:3]
	v_lshlrev_b32_e32 v5, 1, v4
	s_mul_i32 s3, s34, s20
	s_add_i32 s2, s2, s35
	v_lshlrev_b32_e32 v23, 1, v5
	v_add_co_u32 v2, vcc_lo, s14, v2
	v_add_co_ci_u32_e64 v3, null, s15, v3, vcc_lo
	s_add_i32 s15, s3, s2
	v_add_co_u32 v10, vcc_lo, v2, 32
	v_add_co_ci_u32_e64 v11, null, 0, v3, vcc_lo
	s_mov_b32 s14, 0
	s_branch .LBB193_14
.LBB193_13:                             ;   in Loop: Header=BB193_14 Depth=1
	s_waitcnt vmcnt(9)
	v_and_b32_e32 v12, 0xff, v24
	v_bfe_u32 v13, v24, 7, 8
	v_add_nc_u32_e32 v18, 4, v18
	v_bcnt_u32_b32 v35, v12, 0
	v_bcnt_u32_b32 v36, v13, 0
	v_cmp_le_u32_e32 vcc_lo, s7, v18
	v_and_b32_e32 v35, 1, v35
	v_and_b32_e32 v36, 1, v36
	s_or_b32 s14, vcc_lo, s14
	v_lshlrev_b32_e32 v35, 7, v35
	v_lshlrev_b32_e32 v36, 7, v36
	v_xor_b32_e32 v12, v35, v12
	v_xor_b32_e32 v13, v36, v13
	v_mul_lo_u32 v12, 0x1010101, v12
	v_mul_lo_u32 v13, 0x1010101, v13
	v_and_b32_e32 v35, 0x8040201, v12
	v_and_b32_e32 v38, 0x80402010, v12
	v_lshrrev_b32_e32 v36, 18, v12
	v_bfe_i32 v37, v12, 0, 1
	v_lshrrev_b32_e32 v12, 22, v12
	v_cmp_ne_u16_sdwa s2, v35, v20 src0_sel:BYTE_1 src1_sel:DWORD
	v_lshrrev_b16 v44, 4, v38
	v_bfe_i32 v36, v36, 0, 1
	v_lshlrev_b16 v43, 8, v37
	v_and_b32_e32 v39, 0x8040201, v13
	v_cndmask_b32_e64 v42, 0, -1, s2
	v_cmp_ne_u16_sdwa s2, v35, v20 src0_sel:BYTE_3 src1_sel:DWORD
	v_bfe_i32 v12, v12, 0, 1
	v_bfe_i32 v44, v44, 0, 1
	v_lshrrev_b32_e32 v40, 18, v13
	v_lshlrev_b16 v42, 8, v42
	v_cndmask_b32_e64 v35, 0, -1, s2
	v_cmp_ne_u16_sdwa s2, v38, v20 src0_sel:BYTE_1 src1_sel:DWORD
	v_bfe_i32 v41, v13, 0, 1
	v_bfe_i32 v40, v40, 0, 1
	v_or_b32_sdwa v37, v37, v42 dst_sel:DWORD dst_unused:UNUSED_PAD src0_sel:BYTE_0 src1_sel:DWORD
	v_lshlrev_b16 v35, 8, v35
	v_cndmask_b32_e64 v45, 0, -1, s2
	v_cmp_ne_u16_sdwa s2, v38, v20 src0_sel:BYTE_3 src1_sel:DWORD
	v_or_b32_sdwa v47, v36, v35 dst_sel:WORD_1 dst_unused:UNUSED_PAD src0_sel:BYTE_0 src1_sel:DWORD
	v_lshlrev_b16 v45, 8, v45
	v_cndmask_b32_e64 v38, 0, -1, s2
	v_cmp_ne_u16_sdwa s2, v39, v20 src0_sel:BYTE_1 src1_sel:DWORD
	v_lshlrev_b16 v36, 8, v36
	v_or_b32_sdwa v37, v37, v47 dst_sel:DWORD dst_unused:UNUSED_PAD src0_sel:WORD_0 src1_sel:DWORD
	v_or_b32_sdwa v48, v44, v45 dst_sel:DWORD dst_unused:UNUSED_PAD src0_sel:BYTE_0 src1_sel:DWORD
	v_lshlrev_b16 v38, 8, v38
	v_cndmask_b32_e64 v46, 0, -1, s2
	v_cmp_ne_u16_sdwa s2, v39, v20 src0_sel:BYTE_3 src1_sel:DWORD
	s_waitcnt vmcnt(7)
	v_xor_b32_e32 v34, v34, v37
	v_lshlrev_b16 v37, 8, v44
	v_or_b32_sdwa v49, v12, v38 dst_sel:WORD_1 dst_unused:UNUSED_PAD src0_sel:BYTE_0 src1_sel:DWORD
	v_lshlrev_b16 v46, 8, v46
	v_cndmask_b32_e64 v39, 0, -1, s2
	v_lshlrev_b16 v12, 8, v12
	v_or_b32_sdwa v47, v48, v49 dst_sel:DWORD dst_unused:UNUSED_PAD src0_sel:WORD_0 src1_sel:DWORD
	v_lshrrev_b32_e32 v48, 16, v34
	v_and_b32_e32 v49, 0xffffff00, v34
	v_lshlrev_b16 v34, 8, v34
	v_lshlrev_b16 v39, 8, v39
	s_waitcnt vmcnt(6)
	v_xor_b32_e32 v33, v33, v47
	v_or_b32_sdwa v44, v41, v46 dst_sel:DWORD dst_unused:UNUSED_PAD src0_sel:BYTE_0 src1_sel:DWORD
	v_sub_nc_i16 v42, v49, v42 clamp
	v_sub_nc_i16 v34, v34, v43 clamp
	v_and_b32_e32 v43, 0xffffff00, v48
	v_lshlrev_b16 v48, 8, v48
	v_lshrrev_b32_e32 v50, 16, v33
	v_or_b32_sdwa v47, v40, v39 dst_sel:WORD_1 dst_unused:UNUSED_PAD src0_sel:BYTE_0 src1_sel:DWORD
	v_and_b32_e32 v51, 0xffffff00, v33
	v_sub_nc_i16 v35, v43, v35 clamp
	v_sub_nc_i16 v36, v48, v36 clamp
	v_lshlrev_b16 v33, 8, v33
	v_and_b32_e32 v49, 0xffffff00, v50
	v_perm_b32 v34, v34, v42, 0xc0c0105
	v_lshlrev_b16 v50, 8, v50
	v_perm_b32 v35, v36, v35, 0xc0c0105
	v_sub_nc_i16 v33, v33, v37 clamp
	v_sub_nc_i16 v37, v49, v38 clamp
	v_or_b32_sdwa v38, v44, v47 dst_sel:DWORD dst_unused:UNUSED_PAD src0_sel:WORD_0 src1_sel:DWORD
	v_and_b32_e32 v36, 0x80402010, v13
	v_lshl_or_b32 v34, v35, 16, v34
	v_bfe_u32 v35, v24, 14, 8
	v_sub_nc_i16 v45, v51, v45 clamp
	s_waitcnt vmcnt(5)
	v_xor_b32_e32 v32, v32, v38
	v_sub_nc_i16 v12, v50, v12 clamp
	v_cmp_ne_u16_sdwa s2, v36, v20 src0_sel:BYTE_1 src1_sel:DWORD
	v_bcnt_u32_b32 v38, v35, 0
	v_perm_b32 v33, v33, v45, 0xc0c0105
	v_lshrrev_b32_e32 v13, 22, v13
	v_perm_b32 v12, v12, v37, 0xc0c0105
	v_cndmask_b32_e64 v37, 0, -1, s2
	v_and_b32_e32 v38, 1, v38
	v_cmp_ne_u16_sdwa s2, v36, v20 src0_sel:BYTE_3 src1_sel:DWORD
	v_bfe_i32 v13, v13, 0, 1
	v_lshl_or_b32 v12, v12, 16, v33
	v_lshrrev_b16 v33, 4, v36
	v_lshlrev_b32_e32 v38, 7, v38
	v_cndmask_b32_e64 v36, 0, -1, s2
	v_lshlrev_b16 v37, 8, v37
	v_and_b32_e32 v43, 0xffffff00, v32
	v_bfe_i32 v33, v33, 0, 1
	v_xor_b32_e32 v35, v38, v35
	v_lshlrev_b16 v36, 8, v36
	v_lshlrev_b16 v47, 8, v32
	;; [unrolled: 1-line block ×3, first 2 shown]
	v_lshrrev_b32_e32 v32, 16, v32
	v_mul_lo_u32 v35, 0x1010101, v35
	v_mov_b32_e32 v42, 0
	v_or_b32_sdwa v44, v33, v37 dst_sel:DWORD dst_unused:UNUSED_PAD src0_sel:BYTE_0 src1_sel:DWORD
	v_or_b32_sdwa v45, v13, v36 dst_sel:WORD_1 dst_unused:UNUSED_PAD src0_sel:BYTE_0 src1_sel:DWORD
	v_sub_nc_i16 v38, v43, v46 clamp
	v_sub_nc_i16 v41, v47, v41 clamp
	v_and_b32_e32 v43, 0xffffff00, v32
	v_dot4c_i32_i8 v42, v34, v7
	v_or_b32_sdwa v44, v44, v45 dst_sel:DWORD dst_unused:UNUSED_PAD src0_sel:WORD_0 src1_sel:DWORD
	v_lshlrev_b16 v32, 8, v32
	v_perm_b32 v7, v41, v38, 0xc0c0105
	v_sub_nc_i16 v38, v43, v39 clamp
	v_and_b32_e32 v39, 0x8040201, v35
	s_waitcnt vmcnt(4)
	v_xor_b32_e32 v31, v31, v44
	v_lshlrev_b16 v40, 8, v40
	v_bfe_i32 v43, v35, 0, 1
	v_lshlrev_b16 v33, 8, v33
	v_cmp_ne_u16_sdwa s2, v39, v20 src0_sel:BYTE_1 src1_sel:DWORD
	v_and_b32_e32 v34, 0xffffff00, v31
	v_sub_nc_i16 v32, v32, v40 clamp
	v_lshrrev_b32_e32 v40, 16, v31
	v_lshlrev_b16 v31, 8, v31
	v_cndmask_b32_e64 v41, 0, -1, s2
	v_cmp_ne_u16_sdwa s2, v39, v20 src0_sel:BYTE_3 src1_sel:DWORD
	v_sub_nc_i16 v34, v34, v37 clamp
	v_lshrrev_b32_e32 v37, 18, v35
	v_and_b32_e32 v44, 0xffffff00, v40
	v_lshlrev_b16 v41, 8, v41
	v_cndmask_b32_e64 v39, 0, -1, s2
	v_lshlrev_b16 v40, 8, v40
	v_bfe_i32 v37, v37, 0, 1
	v_lshlrev_b16 v13, 8, v13
	v_or_b32_sdwa v45, v43, v41 dst_sel:DWORD dst_unused:UNUSED_PAD src0_sel:BYTE_0 src1_sel:DWORD
	v_lshlrev_b16 v39, 8, v39
	v_sub_nc_i16 v31, v31, v33 clamp
	v_sub_nc_i16 v33, v44, v36 clamp
	;; [unrolled: 1-line block ×3, first 2 shown]
	v_dot4c_i32_i8 v42, v12, v8
	v_or_b32_sdwa v46, v37, v39 dst_sel:WORD_1 dst_unused:UNUSED_PAD src0_sel:BYTE_0 src1_sel:DWORD
	v_perm_b32 v8, v31, v34, 0xc0c0105
	v_bfe_u32 v31, v24, 21, 8
	v_perm_b32 v12, v13, v33, 0xc0c0105
	v_perm_b32 v32, v32, v38, 0xc0c0105
	v_or_b32_sdwa v36, v45, v46 dst_sel:DWORD dst_unused:UNUSED_PAD src0_sel:WORD_0 src1_sel:DWORD
	v_lshlrev_b16 v38, 8, v43
	v_bcnt_u32_b32 v33, v31, 0
	v_lshl_or_b32 v8, v12, 16, v8
	v_lshl_or_b32 v7, v32, 16, v7
	s_waitcnt vmcnt(3)
	v_xor_b32_e32 v13, v30, v36
	v_and_b32_e32 v30, 0x80402010, v35
	v_and_b32_e32 v33, 1, v33
	v_dot4c_i32_i8 v42, v7, v9
	v_lshrrev_b32_e32 v9, 22, v35
	v_cmp_ne_u16_sdwa s2, v30, v20 src0_sel:BYTE_1 src1_sel:DWORD
	v_lshrrev_b16 v12, 4, v30
	v_lshlrev_b32_e32 v33, 7, v33
	v_lshrrev_b32_e32 v34, 16, v13
	v_bfe_i32 v9, v9, 0, 1
	v_cndmask_b32_e64 v32, 0, -1, s2
	v_cmp_ne_u16_sdwa s2, v30, v20 src0_sel:BYTE_3 src1_sel:DWORD
	v_bfe_i32 v12, v12, 0, 1
	v_xor_b32_e32 v31, v33, v31
	v_and_b32_e32 v7, 0xffffff00, v13
	v_lshlrev_b16 v32, 8, v32
	v_cndmask_b32_e64 v30, 0, -1, s2
	v_lshlrev_b16 v13, 8, v13
	v_mul_lo_u32 v31, 0x1010101, v31
	v_and_b32_e32 v40, 0xffffff00, v34
	v_or_b32_sdwa v35, v12, v32 dst_sel:DWORD dst_unused:UNUSED_PAD src0_sel:BYTE_0 src1_sel:DWORD
	v_lshlrev_b16 v30, 8, v30
	v_lshlrev_b16 v33, 8, v34
	;; [unrolled: 1-line block ×3, first 2 shown]
	v_dot4c_i32_i8 v42, v8, v2
	v_sub_nc_i16 v7, v7, v41 clamp
	v_or_b32_sdwa v36, v9, v30 dst_sel:WORD_1 dst_unused:UNUSED_PAD src0_sel:BYTE_0 src1_sel:DWORD
	v_and_b32_e32 v8, 0x8040201, v31
	v_sub_nc_i16 v13, v13, v38 clamp
	v_sub_nc_i16 v33, v33, v34 clamp
	v_lshlrev_b16 v12, 8, v12
	v_or_b32_sdwa v35, v35, v36 dst_sel:DWORD dst_unused:UNUSED_PAD src0_sel:WORD_0 src1_sel:DWORD
	v_cmp_ne_u16_sdwa s2, v8, v20 src0_sel:BYTE_1 src1_sel:DWORD
	v_perm_b32 v2, v13, v7, 0xc0c0105
	v_and_b32_e32 v36, 0x80402010, v31
	v_lshlrev_b16 v9, 8, v9
	s_waitcnt vmcnt(2)
	v_xor_b32_e32 v29, v29, v35
	v_sub_nc_i16 v35, v40, v39 clamp
	v_and_b32_e32 v34, 0xffffff00, v29
	v_perm_b32 v7, v33, v35, 0xc0c0105
	v_lshrrev_b32_e32 v33, 18, v31
	v_sub_nc_i16 v13, v34, v32 clamp
	v_cndmask_b32_e64 v34, 0, -1, s2
	v_cmp_ne_u16_sdwa s2, v8, v20 src0_sel:BYTE_3 src1_sel:DWORD
	v_lshlrev_b16 v32, 8, v29
	v_bfe_i32 v33, v33, 0, 1
	v_lshl_or_b32 v2, v7, 16, v2
	v_lshlrev_b16 v34, 8, v34
	v_cndmask_b32_e64 v8, 0, -1, s2
	v_sub_nc_i16 v12, v32, v12 clamp
	v_bfe_i32 v32, v31, 0, 1
	v_cmp_ne_u16_sdwa s2, v36, v20 src0_sel:BYTE_1 src1_sel:DWORD
	v_lshrrev_b32_e32 v29, 16, v29
	v_lshlrev_b16 v8, 8, v8
	v_perm_b32 v7, v12, v13, 0xc0c0105
	v_or_b32_sdwa v12, v32, v34 dst_sel:DWORD dst_unused:UNUSED_PAD src0_sel:BYTE_0 src1_sel:DWORD
	v_cndmask_b32_e64 v37, 0, -1, s2
	v_cmp_ne_u16_sdwa s2, v36, v20 src0_sel:BYTE_3 src1_sel:DWORD
	v_or_b32_sdwa v13, v33, v8 dst_sel:WORD_1 dst_unused:UNUSED_PAD src0_sel:BYTE_0 src1_sel:DWORD
	v_and_b32_e32 v35, 0xffffff00, v29
	v_lshlrev_b16 v29, 8, v29
	v_lshlrev_b16 v32, 8, v32
	v_dot4c_i32_i8 v42, v2, v3
	v_or_b32_sdwa v12, v12, v13 dst_sel:DWORD dst_unused:UNUSED_PAD src0_sel:WORD_0 src1_sel:DWORD
	v_lshrrev_b32_e32 v13, 22, v31
	v_lshrrev_b16 v31, 4, v36
	v_cndmask_b32_e64 v36, 0, -1, s2
	v_sub_nc_i16 v30, v35, v30 clamp
	s_waitcnt vmcnt(1)
	v_xor_b32_e32 v12, v28, v12
	v_bfe_i32 v13, v13, 0, 1
	v_bfe_i32 v28, v31, 0, 1
	v_lshlrev_b16 v31, 8, v37
	v_lshlrev_b16 v36, 8, v36
	v_sub_nc_i16 v9, v29, v9 clamp
	v_and_b32_e32 v29, 0xffffff00, v12
	v_lshlrev_b16 v38, 8, v12
	v_or_b32_sdwa v35, v28, v31 dst_sel:DWORD dst_unused:UNUSED_PAD src0_sel:BYTE_0 src1_sel:DWORD
	v_or_b32_sdwa v37, v13, v36 dst_sel:WORD_1 dst_unused:UNUSED_PAD src0_sel:BYTE_0 src1_sel:DWORD
	v_lshrrev_b32_e32 v12, 16, v12
	v_perm_b32 v9, v9, v30, 0xc0c0105
	v_sub_nc_i16 v29, v29, v34 clamp
	v_sub_nc_i16 v32, v38, v32 clamp
	v_or_b32_sdwa v30, v35, v37 dst_sel:DWORD dst_unused:UNUSED_PAD src0_sel:WORD_0 src1_sel:DWORD
	v_and_b32_e32 v34, 0xffffff00, v12
	v_lshl_or_b32 v7, v9, 16, v7
	v_lshlrev_b16 v28, 8, v28
	v_perm_b32 v2, v32, v29, 0xc0c0105
	s_waitcnt vmcnt(0)
	v_xor_b32_e32 v9, v27, v30
	v_sub_nc_i16 v3, v34, v8 clamp
	v_lshlrev_b16 v8, 8, v12
	v_lshlrev_b16 v27, 8, v33
	v_lshlrev_b16 v13, 8, v13
	v_lshrrev_b32_e32 v12, 16, v9
	v_and_b32_e32 v29, 0xffffff00, v9
	v_lshlrev_b16 v9, 8, v9
	v_sub_nc_i16 v8, v8, v27 clamp
	v_dot4c_i32_i8 v42, v7, v4
	v_and_b32_e32 v30, 0xffffff00, v12
	v_lshlrev_b16 v12, 8, v12
	v_sub_nc_i16 v27, v29, v31 clamp
	v_sub_nc_i16 v9, v9, v28 clamp
	v_perm_b32 v3, v8, v3, 0xc0c0105
	v_sub_nc_i16 v28, v30, v36 clamp
	v_sub_nc_i16 v12, v12, v13 clamp
	v_add_co_u32 v10, s2, 0x480, v10
	v_perm_b32 v4, v9, v27, 0xc0c0105
	v_lshl_or_b32 v2, v3, 16, v2
	v_perm_b32 v7, v12, v28, 0xc0c0105
	v_add_co_ci_u32_e64 v11, null, 0, v11, s2
	v_dot4c_i32_i8 v42, v2, v5
	v_lshl_or_b32 v3, v7, 16, v4
	v_dot4c_i32_i8 v42, v3, v25
	v_lshrrev_b32_e32 v3, 28, v24
	v_lshrrev_b32_e32 v2, 31, v42
	v_add_nc_u32_e32 v2, v42, v2
	v_ashrrev_i32_e32 v2, 1, v2
	v_mad_u64_u32 v[2:3], null, v42, v3, v[2:3]
	v_lshrrev_b32_e32 v3, 31, v2
	v_add_nc_u32_e32 v2, v2, v3
	v_cvt_f32_f16_e32 v3, v26
	v_ashrrev_i32_e32 v2, 1, v2
	v_mul_f32_e32 v3, v3, v6
	v_cvt_f32_i32_e32 v2, v2
	v_fmac_f32_e32 v19, v3, v2
	s_andn2_b32 exec_lo, exec_lo, s14
	s_cbranch_execz .LBB193_16
.LBB193_14:                             ; =>This Inner Loop Header: Depth=1
	v_add_nc_u32_e32 v12, s15, v18
	s_getpc_b64 s[2:3]
	s_add_u32 s2, s2, _ZL11iq3xxs_grid@rel32@lo+4
	s_addc_u32 s3, s3, _ZL11iq3xxs_grid@rel32@hi+12
	v_mad_i64_i32 v[26:27], null, 0x62, v12, s[12:13]
	v_add_co_u32 v2, vcc_lo, v26, v23
	v_add_co_ci_u32_e64 v3, null, 0, v27, vcc_lo
	v_add_co_u32 v30, vcc_lo, v26, v22
	v_add_co_ci_u32_e64 v31, null, 0, v27, vcc_lo
	global_load_dwordx2 v[28:29], v[2:3], off offset:2
	s_clause 0x2
	global_load_dwordx4 v[6:9], v[10:11], off offset:-32
	global_load_dwordx4 v[2:5], v[10:11], off offset:-16
	global_load_dword v25, v[10:11], off
	s_clause 0x1
	global_load_dword v24, v[30:31], off offset:66
	global_load_ushort v26, v[26:27], off
	s_andn2_b32 vcc_lo, exec_lo, s9
	s_waitcnt vmcnt(4)
	v_cvt_f32_f16_e32 v6, v6
	v_lshlrev_b32_sdwa v13, v21, v28 dst_sel:DWORD dst_unused:UNUSED_PAD src0_sel:DWORD src1_sel:BYTE_0
	v_lshlrev_b32_sdwa v27, v21, v28 dst_sel:DWORD dst_unused:UNUSED_PAD src0_sel:DWORD src1_sel:BYTE_1
	v_lshlrev_b32_sdwa v30, v21, v28 dst_sel:DWORD dst_unused:UNUSED_PAD src0_sel:DWORD src1_sel:BYTE_2
	v_lshlrev_b32_sdwa v28, v21, v28 dst_sel:DWORD dst_unused:UNUSED_PAD src0_sel:DWORD src1_sel:BYTE_3
	v_lshlrev_b32_sdwa v35, v21, v29 dst_sel:DWORD dst_unused:UNUSED_PAD src0_sel:DWORD src1_sel:BYTE_0
	v_lshlrev_b32_sdwa v36, v21, v29 dst_sel:DWORD dst_unused:UNUSED_PAD src0_sel:DWORD src1_sel:BYTE_1
	v_lshlrev_b32_sdwa v37, v21, v29 dst_sel:DWORD dst_unused:UNUSED_PAD src0_sel:DWORD src1_sel:BYTE_2
	v_lshlrev_b32_sdwa v38, v21, v29 dst_sel:DWORD dst_unused:UNUSED_PAD src0_sel:DWORD src1_sel:BYTE_3
	s_clause 0x7
	global_load_dword v34, v13, s[2:3]
	global_load_dword v33, v27, s[2:3]
	;; [unrolled: 1-line block ×8, first 2 shown]
	s_cbranch_vccnz .LBB193_13
; %bb.15:                               ;   in Loop: Header=BB193_14 Depth=1
	v_mad_i64_i32 v[12:13], null, 0x62, v12, s[28:29]
	v_add_co_u32 v35, vcc_lo, v12, v22
	v_add_co_ci_u32_e64 v36, null, 0, v13, vcc_lo
	v_add_co_u32 v37, vcc_lo, v12, v23
	v_add_co_ci_u32_e64 v38, null, 0, v13, vcc_lo
	s_clause 0x2
	global_load_dwordx2 v[37:38], v[37:38], off offset:2
	global_load_dword v35, v[35:36], off offset:66
	global_load_ushort v12, v[12:13], off
	s_waitcnt vmcnt(2)
	v_lshlrev_b32_sdwa v36, v21, v37 dst_sel:DWORD dst_unused:UNUSED_PAD src0_sel:DWORD src1_sel:BYTE_0
	v_lshlrev_b32_sdwa v39, v21, v37 dst_sel:DWORD dst_unused:UNUSED_PAD src0_sel:DWORD src1_sel:BYTE_1
	s_waitcnt vmcnt(1)
	v_and_b32_e32 v40, 0xff, v35
	s_waitcnt vmcnt(0)
	v_cvt_f32_f16_e32 v12, v12
	s_clause 0x1
	global_load_dword v36, v36, s[2:3]
	global_load_dword v39, v39, s[2:3]
	v_bcnt_u32_b32 v41, v40, 0
	v_mul_f32_e32 v12, v6, v12
	v_and_b32_e32 v41, 1, v41
	v_lshlrev_b32_e32 v41, 7, v41
	v_xor_b32_e32 v40, v41, v40
	v_mul_lo_u32 v40, 0x1010101, v40
	v_and_b32_e32 v41, 0x8040201, v40
	v_lshrrev_b32_e32 v42, 18, v40
	v_cmp_ne_u16_sdwa s16, v41, v20 src0_sel:BYTE_3 src1_sel:DWORD
	v_cmp_ne_u16_sdwa s17, v41, v20 src0_sel:BYTE_1 src1_sel:DWORD
	v_bfe_i32 v41, v40, 0, 1
	v_bfe_i32 v42, v42, 0, 1
	v_cndmask_b32_e64 v45, 0, -1, s16
	v_cndmask_b32_e64 v43, 0, -1, s17
	v_lshlrev_b16 v45, 8, v45
	v_lshlrev_b16 v43, 8, v43
	v_or_b32_sdwa v46, v42, v45 dst_sel:WORD_1 dst_unused:UNUSED_PAD src0_sel:BYTE_0 src1_sel:DWORD
	v_or_b32_sdwa v44, v41, v43 dst_sel:DWORD dst_unused:UNUSED_PAD src0_sel:BYTE_0 src1_sel:DWORD
	v_lshlrev_b16 v41, 8, v41
	v_lshlrev_b16 v42, 8, v42
	v_or_b32_sdwa v44, v44, v46 dst_sel:DWORD dst_unused:UNUSED_PAD src0_sel:WORD_0 src1_sel:DWORD
	s_waitcnt vmcnt(1)
	v_xor_b32_e32 v36, v36, v44
	v_lshrrev_b32_e32 v44, 16, v36
	v_and_b32_e32 v46, 0xffffff00, v36
	v_lshlrev_b16 v36, 8, v36
	v_sub_nc_i16 v43, v46, v43 clamp
	v_sub_nc_i16 v36, v36, v41 clamp
	v_and_b32_e32 v41, 0xffffff00, v44
	v_perm_b32 v36, v36, v43, 0xc0c0105
	v_lshlrev_b16 v43, 8, v44
	v_sub_nc_i16 v41, v41, v45 clamp
	v_sub_nc_i16 v42, v43, v42 clamp
	v_perm_b32 v41, v42, v41, 0xc0c0105
	v_lshl_or_b32 v36, v41, 16, v36
	v_and_b32_e32 v41, 0x80402010, v40
	v_lshrrev_b32_e32 v40, 22, v40
	v_cmp_ne_u16_sdwa s16, v41, v20 src0_sel:BYTE_3 src1_sel:DWORD
	v_cmp_ne_u16_sdwa s17, v41, v20 src0_sel:BYTE_1 src1_sel:DWORD
	v_lshrrev_b16 v41, 4, v41
	v_bfe_i32 v40, v40, 0, 1
	v_cndmask_b32_e64 v44, 0, -1, s16
	v_cndmask_b32_e64 v42, 0, -1, s17
	v_bfe_i32 v41, v41, 0, 1
	v_lshlrev_b16 v44, 8, v44
	v_lshlrev_b16 v42, 8, v42
	v_or_b32_sdwa v45, v40, v44 dst_sel:WORD_1 dst_unused:UNUSED_PAD src0_sel:BYTE_0 src1_sel:DWORD
	v_or_b32_sdwa v43, v41, v42 dst_sel:DWORD dst_unused:UNUSED_PAD src0_sel:BYTE_0 src1_sel:DWORD
	v_lshlrev_b16 v41, 8, v41
	v_lshlrev_b16 v40, 8, v40
	v_or_b32_sdwa v43, v43, v45 dst_sel:DWORD dst_unused:UNUSED_PAD src0_sel:WORD_0 src1_sel:DWORD
	s_waitcnt vmcnt(0)
	v_xor_b32_e32 v39, v39, v43
	v_lshrrev_b32_e32 v43, 16, v39
	v_and_b32_e32 v45, 0xffffff00, v39
	v_lshlrev_b16 v39, 8, v39
	v_sub_nc_i16 v42, v45, v42 clamp
	v_sub_nc_i16 v39, v39, v41 clamp
	v_and_b32_e32 v41, 0xffffff00, v43
	v_perm_b32 v39, v39, v42, 0xc0c0105
	v_lshlrev_b16 v42, 8, v43
	v_sub_nc_i16 v41, v41, v44 clamp
	v_sub_nc_i16 v40, v42, v40 clamp
	v_perm_b32 v40, v40, v41, 0xc0c0105
	v_lshl_or_b32 v39, v40, 16, v39
	v_mov_b32_e32 v40, 0
	v_dot4c_i32_i8 v40, v36, v7
	v_lshlrev_b32_sdwa v36, v21, v37 dst_sel:DWORD dst_unused:UNUSED_PAD src0_sel:DWORD src1_sel:BYTE_2
	v_lshlrev_b32_sdwa v37, v21, v37 dst_sel:DWORD dst_unused:UNUSED_PAD src0_sel:DWORD src1_sel:BYTE_3
	v_dot4c_i32_i8 v40, v39, v8
	s_clause 0x1
	global_load_dword v36, v36, s[2:3]
	global_load_dword v37, v37, s[2:3]
	v_bfe_u32 v39, v35, 7, 8
	v_bcnt_u32_b32 v41, v39, 0
	v_and_b32_e32 v41, 1, v41
	v_lshlrev_b32_e32 v41, 7, v41
	v_xor_b32_e32 v39, v41, v39
	v_mul_lo_u32 v39, 0x1010101, v39
	v_and_b32_e32 v41, 0x8040201, v39
	v_lshrrev_b32_e32 v42, 18, v39
	v_cmp_ne_u16_sdwa s16, v41, v20 src0_sel:BYTE_3 src1_sel:DWORD
	v_cmp_ne_u16_sdwa s17, v41, v20 src0_sel:BYTE_1 src1_sel:DWORD
	v_bfe_i32 v41, v39, 0, 1
	v_bfe_i32 v42, v42, 0, 1
	v_cndmask_b32_e64 v45, 0, -1, s16
	v_cndmask_b32_e64 v43, 0, -1, s17
	v_lshlrev_b16 v45, 8, v45
	v_lshlrev_b16 v43, 8, v43
	v_or_b32_sdwa v46, v42, v45 dst_sel:WORD_1 dst_unused:UNUSED_PAD src0_sel:BYTE_0 src1_sel:DWORD
	v_or_b32_sdwa v44, v41, v43 dst_sel:DWORD dst_unused:UNUSED_PAD src0_sel:BYTE_0 src1_sel:DWORD
	v_lshlrev_b16 v41, 8, v41
	v_lshlrev_b16 v42, 8, v42
	v_or_b32_sdwa v44, v44, v46 dst_sel:DWORD dst_unused:UNUSED_PAD src0_sel:WORD_0 src1_sel:DWORD
	s_waitcnt vmcnt(1)
	v_xor_b32_e32 v36, v36, v44
	v_lshrrev_b32_e32 v44, 16, v36
	v_and_b32_e32 v46, 0xffffff00, v36
	v_lshlrev_b16 v36, 8, v36
	v_sub_nc_i16 v43, v46, v43 clamp
	v_sub_nc_i16 v36, v36, v41 clamp
	v_and_b32_e32 v41, 0xffffff00, v44
	v_perm_b32 v36, v36, v43, 0xc0c0105
	v_lshlrev_b16 v43, 8, v44
	v_sub_nc_i16 v41, v41, v45 clamp
	v_sub_nc_i16 v42, v43, v42 clamp
	v_perm_b32 v41, v42, v41, 0xc0c0105
	v_lshl_or_b32 v36, v41, 16, v36
	v_and_b32_e32 v41, 0x80402010, v39
	v_lshrrev_b32_e32 v39, 22, v39
	v_dot4c_i32_i8 v40, v36, v9
	v_cmp_ne_u16_sdwa s16, v41, v20 src0_sel:BYTE_3 src1_sel:DWORD
	v_cmp_ne_u16_sdwa s17, v41, v20 src0_sel:BYTE_1 src1_sel:DWORD
	v_lshlrev_b32_sdwa v36, v21, v38 dst_sel:DWORD dst_unused:UNUSED_PAD src0_sel:DWORD src1_sel:BYTE_0
	v_lshrrev_b16 v41, 4, v41
	v_bfe_i32 v39, v39, 0, 1
	v_cndmask_b32_e64 v44, 0, -1, s16
	v_cndmask_b32_e64 v42, 0, -1, s17
	global_load_dword v36, v36, s[2:3]
	v_bfe_i32 v41, v41, 0, 1
	v_lshlrev_b16 v44, 8, v44
	v_lshlrev_b16 v42, 8, v42
	v_or_b32_sdwa v45, v39, v44 dst_sel:WORD_1 dst_unused:UNUSED_PAD src0_sel:BYTE_0 src1_sel:DWORD
	v_or_b32_sdwa v43, v41, v42 dst_sel:DWORD dst_unused:UNUSED_PAD src0_sel:BYTE_0 src1_sel:DWORD
	v_lshlrev_b16 v41, 8, v41
	v_lshlrev_b16 v39, 8, v39
	v_or_b32_sdwa v43, v43, v45 dst_sel:DWORD dst_unused:UNUSED_PAD src0_sel:WORD_0 src1_sel:DWORD
	s_waitcnt vmcnt(1)
	v_xor_b32_e32 v37, v37, v43
	v_lshrrev_b32_e32 v43, 16, v37
	v_and_b32_e32 v45, 0xffffff00, v37
	v_lshlrev_b16 v37, 8, v37
	v_sub_nc_i16 v42, v45, v42 clamp
	v_sub_nc_i16 v37, v37, v41 clamp
	v_and_b32_e32 v41, 0xffffff00, v43
	v_perm_b32 v37, v37, v42, 0xc0c0105
	v_lshlrev_b16 v42, 8, v43
	v_sub_nc_i16 v41, v41, v44 clamp
	v_sub_nc_i16 v39, v42, v39 clamp
	v_perm_b32 v39, v39, v41, 0xc0c0105
	v_lshl_or_b32 v37, v39, 16, v37
	v_bfe_u32 v39, v35, 14, 8
	v_dot4c_i32_i8 v40, v37, v2
	v_lshlrev_b32_sdwa v37, v21, v38 dst_sel:DWORD dst_unused:UNUSED_PAD src0_sel:DWORD src1_sel:BYTE_1
	v_bcnt_u32_b32 v41, v39, 0
	global_load_dword v37, v37, s[2:3]
	v_and_b32_e32 v41, 1, v41
	v_lshlrev_b32_e32 v41, 7, v41
	v_xor_b32_e32 v39, v41, v39
	v_mul_lo_u32 v39, 0x1010101, v39
	v_and_b32_e32 v41, 0x8040201, v39
	v_lshrrev_b32_e32 v42, 18, v39
	v_cmp_ne_u16_sdwa s16, v41, v20 src0_sel:BYTE_3 src1_sel:DWORD
	v_cmp_ne_u16_sdwa s17, v41, v20 src0_sel:BYTE_1 src1_sel:DWORD
	v_bfe_i32 v41, v39, 0, 1
	v_bfe_i32 v42, v42, 0, 1
	v_cndmask_b32_e64 v45, 0, -1, s16
	v_cndmask_b32_e64 v43, 0, -1, s17
	v_lshlrev_b16 v45, 8, v45
	v_lshlrev_b16 v43, 8, v43
	v_or_b32_sdwa v46, v42, v45 dst_sel:WORD_1 dst_unused:UNUSED_PAD src0_sel:BYTE_0 src1_sel:DWORD
	v_or_b32_sdwa v44, v41, v43 dst_sel:DWORD dst_unused:UNUSED_PAD src0_sel:BYTE_0 src1_sel:DWORD
	v_lshlrev_b16 v41, 8, v41
	v_lshlrev_b16 v42, 8, v42
	v_or_b32_sdwa v44, v44, v46 dst_sel:DWORD dst_unused:UNUSED_PAD src0_sel:WORD_0 src1_sel:DWORD
	s_waitcnt vmcnt(1)
	v_xor_b32_e32 v36, v36, v44
	v_lshrrev_b32_e32 v44, 16, v36
	v_and_b32_e32 v46, 0xffffff00, v36
	v_lshlrev_b16 v36, 8, v36
	v_sub_nc_i16 v43, v46, v43 clamp
	v_sub_nc_i16 v36, v36, v41 clamp
	v_and_b32_e32 v41, 0xffffff00, v44
	v_perm_b32 v36, v36, v43, 0xc0c0105
	v_lshlrev_b16 v43, 8, v44
	v_sub_nc_i16 v41, v41, v45 clamp
	v_sub_nc_i16 v42, v43, v42 clamp
	v_perm_b32 v41, v42, v41, 0xc0c0105
	v_lshl_or_b32 v36, v41, 16, v36
	v_and_b32_e32 v41, 0x80402010, v39
	v_lshrrev_b32_e32 v39, 22, v39
	v_dot4c_i32_i8 v40, v36, v3
	v_cmp_ne_u16_sdwa s16, v41, v20 src0_sel:BYTE_3 src1_sel:DWORD
	v_cmp_ne_u16_sdwa s17, v41, v20 src0_sel:BYTE_1 src1_sel:DWORD
	v_lshlrev_b32_sdwa v36, v21, v38 dst_sel:DWORD dst_unused:UNUSED_PAD src0_sel:DWORD src1_sel:BYTE_2
	v_lshrrev_b16 v41, 4, v41
	v_bfe_i32 v39, v39, 0, 1
	v_cndmask_b32_e64 v44, 0, -1, s16
	v_cndmask_b32_e64 v42, 0, -1, s17
	global_load_dword v36, v36, s[2:3]
	v_bfe_i32 v41, v41, 0, 1
	v_lshlrev_b16 v44, 8, v44
	v_lshlrev_b16 v42, 8, v42
	v_or_b32_sdwa v45, v39, v44 dst_sel:WORD_1 dst_unused:UNUSED_PAD src0_sel:BYTE_0 src1_sel:DWORD
	v_or_b32_sdwa v43, v41, v42 dst_sel:DWORD dst_unused:UNUSED_PAD src0_sel:BYTE_0 src1_sel:DWORD
	v_lshlrev_b16 v41, 8, v41
	v_lshlrev_b16 v39, 8, v39
	v_or_b32_sdwa v43, v43, v45 dst_sel:DWORD dst_unused:UNUSED_PAD src0_sel:WORD_0 src1_sel:DWORD
	s_waitcnt vmcnt(1)
	v_xor_b32_e32 v37, v37, v43
	v_lshrrev_b32_e32 v43, 16, v37
	v_and_b32_e32 v45, 0xffffff00, v37
	v_lshlrev_b16 v37, 8, v37
	v_sub_nc_i16 v42, v45, v42 clamp
	v_sub_nc_i16 v37, v37, v41 clamp
	v_and_b32_e32 v41, 0xffffff00, v43
	v_perm_b32 v37, v37, v42, 0xc0c0105
	v_lshlrev_b16 v42, 8, v43
	v_sub_nc_i16 v41, v41, v44 clamp
	v_sub_nc_i16 v39, v42, v39 clamp
	v_perm_b32 v39, v39, v41, 0xc0c0105
	v_lshl_or_b32 v37, v39, 16, v37
	v_dot4c_i32_i8 v40, v37, v4
	v_lshlrev_b32_sdwa v37, v21, v38 dst_sel:DWORD dst_unused:UNUSED_PAD src0_sel:DWORD src1_sel:BYTE_3
	v_bfe_u32 v38, v35, 21, 8
	global_load_dword v37, v37, s[2:3]
	v_bcnt_u32_b32 v39, v38, 0
	v_and_b32_e32 v39, 1, v39
	v_lshlrev_b32_e32 v39, 7, v39
	v_xor_b32_e32 v38, v39, v38
	v_mul_lo_u32 v38, 0x1010101, v38
	v_and_b32_e32 v39, 0x8040201, v38
	v_lshrrev_b32_e32 v41, 18, v38
	v_cmp_ne_u16_sdwa s2, v39, v20 src0_sel:BYTE_3 src1_sel:DWORD
	v_cmp_ne_u16_sdwa s3, v39, v20 src0_sel:BYTE_1 src1_sel:DWORD
	v_bfe_i32 v39, v38, 0, 1
	v_bfe_i32 v41, v41, 0, 1
	v_cndmask_b32_e64 v44, 0, -1, s2
	v_cndmask_b32_e64 v42, 0, -1, s3
	v_lshlrev_b16 v44, 8, v44
	v_lshlrev_b16 v42, 8, v42
	v_or_b32_sdwa v45, v41, v44 dst_sel:WORD_1 dst_unused:UNUSED_PAD src0_sel:BYTE_0 src1_sel:DWORD
	v_or_b32_sdwa v43, v39, v42 dst_sel:DWORD dst_unused:UNUSED_PAD src0_sel:BYTE_0 src1_sel:DWORD
	v_lshlrev_b16 v39, 8, v39
	v_lshlrev_b16 v41, 8, v41
	v_or_b32_sdwa v43, v43, v45 dst_sel:DWORD dst_unused:UNUSED_PAD src0_sel:WORD_0 src1_sel:DWORD
	s_waitcnt vmcnt(1)
	v_xor_b32_e32 v36, v36, v43
	v_lshrrev_b32_e32 v43, 16, v36
	v_and_b32_e32 v45, 0xffffff00, v36
	v_lshlrev_b16 v36, 8, v36
	v_sub_nc_i16 v42, v45, v42 clamp
	v_sub_nc_i16 v36, v36, v39 clamp
	v_and_b32_e32 v39, 0xffffff00, v43
	v_perm_b32 v36, v36, v42, 0xc0c0105
	v_lshlrev_b16 v42, 8, v43
	v_sub_nc_i16 v39, v39, v44 clamp
	v_sub_nc_i16 v41, v42, v41 clamp
	v_perm_b32 v39, v41, v39, 0xc0c0105
	v_lshl_or_b32 v36, v39, 16, v36
	v_and_b32_e32 v39, 0x80402010, v38
	v_lshrrev_b32_e32 v38, 22, v38
	v_dot4c_i32_i8 v40, v36, v5
	v_cmp_ne_u16_sdwa s2, v39, v20 src0_sel:BYTE_3 src1_sel:DWORD
	v_cmp_ne_u16_sdwa s3, v39, v20 src0_sel:BYTE_1 src1_sel:DWORD
	v_lshrrev_b16 v39, 4, v39
	v_bfe_i32 v38, v38, 0, 1
	v_lshrrev_b32_e32 v36, 28, v35
	v_cndmask_b32_e64 v43, 0, -1, s2
	v_cndmask_b32_e64 v41, 0, -1, s3
	v_bfe_i32 v39, v39, 0, 1
	v_lshlrev_b16 v43, 8, v43
	v_lshlrev_b16 v41, 8, v41
	v_or_b32_sdwa v44, v38, v43 dst_sel:WORD_1 dst_unused:UNUSED_PAD src0_sel:BYTE_0 src1_sel:DWORD
	v_or_b32_sdwa v42, v39, v41 dst_sel:DWORD dst_unused:UNUSED_PAD src0_sel:BYTE_0 src1_sel:DWORD
	v_lshlrev_b16 v39, 8, v39
	v_lshlrev_b16 v38, 8, v38
	v_or_b32_sdwa v42, v42, v44 dst_sel:DWORD dst_unused:UNUSED_PAD src0_sel:WORD_0 src1_sel:DWORD
	s_waitcnt vmcnt(0)
	v_xor_b32_e32 v37, v37, v42
	v_lshrrev_b32_e32 v42, 16, v37
	v_and_b32_e32 v44, 0xffffff00, v37
	v_lshlrev_b16 v37, 8, v37
	v_sub_nc_i16 v41, v44, v41 clamp
	v_sub_nc_i16 v37, v37, v39 clamp
	v_and_b32_e32 v39, 0xffffff00, v42
	v_perm_b32 v37, v37, v41, 0xc0c0105
	v_lshlrev_b16 v41, 8, v42
	v_sub_nc_i16 v39, v39, v43 clamp
	v_sub_nc_i16 v38, v41, v38 clamp
	v_perm_b32 v38, v38, v39, 0xc0c0105
	v_lshl_or_b32 v37, v38, 16, v37
	v_dot4c_i32_i8 v40, v37, v25
	v_lshrrev_b32_e32 v35, 31, v40
	v_add_nc_u32_e32 v35, v40, v35
	v_ashrrev_i32_e32 v35, 1, v35
	v_mad_u64_u32 v[35:36], null, v40, v36, v[35:36]
	v_lshrrev_b32_e32 v36, 31, v35
	v_add_nc_u32_e32 v35, v35, v36
	v_ashrrev_i32_e32 v35, 1, v35
	v_cvt_f32_i32_e32 v13, v35
	v_fmac_f32_e32 v17, v12, v13
	s_branch .LBB193_13
.LBB193_16:
	s_or_b32 exec_lo, exec_lo, s14
.LBB193_17:
	s_or_b32 exec_lo, exec_lo, s11
	s_load_dword s2, s[4:5], 0x30
	s_waitcnt vmcnt(0) lgkmcnt(0)
	; wave barrier
	buffer_gl0_inv
	s_mov_b32 s3, exec_lo
	v_cmpx_eq_u32_e32 0, v1
	s_cbranch_execz .LBB193_44
; %bb.18:
	v_mbcnt_lo_u32_b32 v2, -1, 0
	v_xor_b32_e32 v1, 16, v2
	v_xor_b32_e32 v4, 8, v2
	;; [unrolled: 1-line block ×3, first 2 shown]
	v_cmp_gt_i32_e32 vcc_lo, 32, v1
	v_cndmask_b32_e32 v1, v2, v1, vcc_lo
	v_cmp_gt_i32_e32 vcc_lo, 32, v4
	v_lshlrev_b32_e32 v1, 2, v1
	v_cndmask_b32_e32 v4, v2, v4, vcc_lo
	v_cmp_gt_i32_e32 vcc_lo, 32, v5
	ds_bpermute_b32 v3, v1, v19
	v_lshlrev_b32_e32 v4, 2, v4
	v_cndmask_b32_e32 v5, v2, v5, vcc_lo
	v_lshlrev_b32_e32 v5, 2, v5
	s_waitcnt lgkmcnt(0)
	v_add_f32_e32 v3, v19, v3
	ds_bpermute_b32 v6, v4, v3
	s_waitcnt lgkmcnt(0)
	v_add_f32_e32 v3, v3, v6
	v_xor_b32_e32 v6, 2, v2
	ds_bpermute_b32 v7, v5, v3
	v_cmp_gt_i32_e32 vcc_lo, 32, v6
	v_cndmask_b32_e32 v6, v2, v6, vcc_lo
	v_lshlrev_b32_e32 v6, 2, v6
	s_waitcnt lgkmcnt(0)
	v_add_f32_e32 v3, v3, v7
	v_xor_b32_e32 v7, 1, v2
	ds_bpermute_b32 v8, v6, v3
	v_cmp_gt_i32_e32 vcc_lo, 32, v7
	v_cndmask_b32_e32 v2, v2, v7, vcc_lo
	v_cmp_ne_u32_e32 vcc_lo, 1, v16
	v_lshlrev_b32_e32 v7, 2, v2
	s_waitcnt lgkmcnt(0)
	v_add_f32_e32 v2, v3, v8
	ds_bpermute_b32 v3, v7, v2
	s_cbranch_vccnz .LBB193_20
; %bb.19:
	ds_bpermute_b32 v1, v1, v17
	s_waitcnt lgkmcnt(0)
	v_add_f32_e32 v1, v17, v1
	ds_bpermute_b32 v4, v4, v1
	s_waitcnt lgkmcnt(0)
	v_add_f32_e32 v1, v1, v4
	;; [unrolled: 3-line block ×5, first 2 shown]
.LBB193_20:
	v_cmp_eq_u32_e32 vcc_lo, 0, v0
	s_and_b32 exec_lo, exec_lo, vcc_lo
	s_cbranch_execz .LBB193_44
; %bb.21:
	s_waitcnt lgkmcnt(0)
	v_add_f32_e32 v1, v2, v3
	v_cmp_ne_u32_e32 vcc_lo, 1, v16
	v_add_f32_e32 v2, v15, v1
	v_cndmask_b32_e64 v1, v1, v2, s0
	s_cbranch_vccnz .LBB193_43
; %bb.22:
	v_add_f32_e32 v2, v14, v17
	s_cmp_lt_i32 s2, 2
	s_mov_b32 s0, 0
	v_cndmask_b32_e64 v2, v17, v2, s1
	s_cbranch_scc1 .LBB193_26
; %bb.23:
	s_cmp_gt_i32 s2, 2
	s_cbranch_scc0 .LBB193_27
; %bb.24:
	s_cmp_eq_u32 s2, 3
	s_cbranch_scc0 .LBB193_28
; %bb.25:
	v_max_f32_e32 v3, v2, v2
	s_mov_b32 s1, 0
	v_min_f32_e32 v3, 0x40e00000, v3
	v_mul_f32_e32 v4, 0xbfd9db23, v3
	v_mul_f32_e32 v5, 0x3fb8aa3b, v4
	v_cmp_ngt_f32_e32 vcc_lo, 0xc2ce8ed0, v4
	v_fma_f32 v6, 0x3fb8aa3b, v4, -v5
	v_rndne_f32_e32 v7, v5
	v_fmamk_f32 v6, v4, 0x32a5705f, v6
	v_sub_f32_e32 v5, v5, v7
	v_add_f32_e32 v5, v5, v6
	v_cvt_i32_f32_e32 v6, v7
	v_exp_f32_e32 v5, v5
	v_ldexp_f32 v5, v5, v6
	v_cndmask_b32_e32 v5, 0, v5, vcc_lo
	v_cmp_nlt_f32_e32 vcc_lo, 0x42b17218, v4
	v_cndmask_b32_e32 v4, 0x7f800000, v5, vcc_lo
	v_add_f32_e32 v4, 1.0, v4
	v_div_scale_f32 v5, null, v4, v4, v3
	v_div_scale_f32 v8, vcc_lo, v3, v4, v3
	v_rcp_f32_e32 v6, v5
	v_fma_f32 v7, -v5, v6, 1.0
	v_fmac_f32_e32 v6, v7, v6
	v_mul_f32_e32 v7, v8, v6
	v_fma_f32 v9, -v5, v7, v8
	v_fmac_f32_e32 v7, v9, v6
	v_max_f32_e32 v9, v1, v1
	v_fma_f32 v5, -v5, v7, v8
	v_min_f32_e32 v8, 0x40e00000, v9
	v_div_fmas_f32 v5, v5, v6, v7
	v_max_f32_e32 v6, 0xc0e00000, v8
	v_div_fixup_f32 v3, v5, v4, v3
	v_add_f32_e32 v4, 1.0, v6
	v_mul_f32_e32 v3, v4, v3
	s_branch .LBB193_29
.LBB193_26:
	s_mov_b32 s1, 0
                                        ; implicit-def: $vgpr3
	s_cbranch_execnz .LBB193_33
	s_branch .LBB193_34
.LBB193_27:
	s_mov_b32 s3, -1
	s_mov_b32 s1, 0
                                        ; implicit-def: $vgpr3
	s_branch .LBB193_30
.LBB193_28:
	s_mov_b32 s1, -1
                                        ; implicit-def: $vgpr3
.LBB193_29:
	s_mov_b32 s3, 0
.LBB193_30:
	s_and_b32 vcc_lo, exec_lo, s3
	s_cbranch_vccz .LBB193_32
; %bb.31:
	v_mul_f32_e32 v3, 0xbfb8aa3b, v2
	v_cmp_nlt_f32_e32 vcc_lo, 0x42ce8ed0, v2
	v_rndne_f32_e32 v4, v3
	v_fma_f32 v5, 0xbfb8aa3b, v2, -v3
	v_sub_f32_e32 v3, v3, v4
	v_fmamk_f32 v5, v2, 0xb2a5705f, v5
	v_cvt_i32_f32_e32 v4, v4
	v_add_f32_e32 v3, v3, v5
	v_exp_f32_e32 v3, v3
	v_ldexp_f32 v3, v3, v4
	v_cndmask_b32_e32 v3, 0, v3, vcc_lo
	v_cmp_ngt_f32_e32 vcc_lo, 0xc2b17218, v2
	v_cndmask_b32_e32 v3, 0x7f800000, v3, vcc_lo
	v_add_f32_e32 v3, 1.0, v3
	v_div_scale_f32 v4, null, v3, v3, v2
	v_rcp_f32_e32 v5, v4
	v_fma_f32 v6, -v4, v5, 1.0
	v_fmac_f32_e32 v5, v6, v5
	v_div_scale_f32 v6, vcc_lo, v2, v3, v2
	v_mul_f32_e32 v7, v6, v5
	v_fma_f32 v8, -v4, v7, v6
	v_fmac_f32_e32 v7, v8, v5
	v_fma_f32 v4, -v4, v7, v6
	v_div_fmas_f32 v4, v4, v5, v7
	v_div_fixup_f32 v3, v4, v3, v2
	v_mul_f32_e32 v3, v1, v3
.LBB193_32:
	s_branch .LBB193_34
.LBB193_33:
	s_cmp_lg_u32 s2, 1
	s_mov_b32 s0, -1
	s_cselect_b32 s1, -1, 0
.LBB193_34:
	s_andn2_b32 vcc_lo, exec_lo, s1
	s_cbranch_vccz .LBB193_36
; %bb.35:
	s_andn2_b32 vcc_lo, exec_lo, s0
	s_cbranch_vccz .LBB193_37
	s_branch .LBB193_42
.LBB193_36:
	v_mul_f32_e32 v3, v2, v1
	s_cbranch_execnz .LBB193_42
.LBB193_37:
	v_mul_f32_e32 v3, 0x3d372713, v2
	v_mul_f32_e32 v4, 0x3f4c422a, v2
	v_fma_f32 v3, v2, v3, 1.0
	v_mul_f32_e32 v3, v4, v3
                                        ; implicit-def: $vgpr4
	v_cmp_ngt_f32_e64 s0, 0x3f200000, |v3|
	s_and_saveexec_b32 s1, s0
	s_xor_b32 s0, exec_lo, s1
	s_cbranch_execz .LBB193_39
; %bb.38:
	v_add_f32_e64 v4, |v3|, |v3|
	v_mul_f32_e32 v5, 0x3fb8aa3b, v4
	v_cmp_ngt_f32_e32 vcc_lo, 0xc2ce8ed0, v4
	v_rndne_f32_e32 v6, v5
	v_fma_f32 v7, 0x3fb8aa3b, v4, -v5
	v_sub_f32_e32 v5, v5, v6
	v_fmamk_f32 v7, v4, 0x32a5705f, v7
	v_cvt_i32_f32_e32 v6, v6
	v_add_f32_e32 v5, v5, v7
	v_exp_f32_e32 v5, v5
	v_ldexp_f32 v5, v5, v6
	v_cndmask_b32_e32 v5, 0, v5, vcc_lo
	v_cmp_nlt_f32_e32 vcc_lo, 0x42b17218, v4
	v_cndmask_b32_e32 v4, 0x7f800000, v5, vcc_lo
	v_add_f32_e32 v4, 1.0, v4
	v_rcp_f32_e32 v4, v4
	v_fma_f32 v4, v4, -2.0, 1.0
.LBB193_39:
	s_andn2_saveexec_b32 s0, s0
	s_cbranch_execz .LBB193_41
; %bb.40:
	v_mul_f32_e32 v4, v3, v3
	s_mov_b32 s1, 0xbbbac73d
	v_fmaak_f32 v5, s1, v4, 0x3ca908c9
	v_fmaak_f32 v5, v4, v5, 0xbd5c1c4e
	v_fmaak_f32 v5, v4, v5, 0x3e088382
	v_fmaak_f32 v5, v4, v5, 0xbeaaaa99
	v_mul_f32_e64 v5, |v3|, v5
	v_fma_f32 v4, v4, v5, |v3|
.LBB193_41:
	s_or_b32 exec_lo, exec_lo, s0
	v_bfi_b32 v3, 0x7fffffff, v4, v3
	v_mul_f32_e32 v2, 0.5, v2
	v_add_f32_e32 v3, 1.0, v3
	v_mul_f32_e32 v2, v2, v3
	v_mul_f32_e32 v3, v1, v2
.LBB193_42:
	v_mov_b32_e32 v1, v3
.LBB193_43:
	s_load_dwordx2 s[0:1], s[4:5], 0x38
	s_mul_i32 s2, s22, s10
	s_mul_i32 s3, s26, s8
	s_add_i32 s2, s2, s6
	v_lshlrev_b32_e32 v0, 2, v0
	s_add_i32 s2, s2, s3
	s_mov_b32 s3, 0
	s_lshl_b64 s[2:3], s[2:3], 2
	s_waitcnt lgkmcnt(0)
	s_add_u32 s0, s0, s2
	s_addc_u32 s1, s1, s3
	global_store_dword v0, v1, s[0:1]
.LBB193_44:
	s_endpgm
	.section	.rodata,"a",@progbits
	.p2align	6, 0x0
	.amdhsa_kernel _ZL13mul_mat_vec_qIL9ggml_type18ELi1ELb1ELb1EEvPKvS2_PKi31ggml_cuda_mm_fusion_args_devicePfj15HIP_vector_typeIjLj3EEjjjS8_jjjS8_jjjj
		.amdhsa_group_segment_fixed_size 0
		.amdhsa_private_segment_fixed_size 0
		.amdhsa_kernarg_size 144
		.amdhsa_user_sgpr_count 6
		.amdhsa_user_sgpr_private_segment_buffer 1
		.amdhsa_user_sgpr_dispatch_ptr 0
		.amdhsa_user_sgpr_queue_ptr 0
		.amdhsa_user_sgpr_kernarg_segment_ptr 1
		.amdhsa_user_sgpr_dispatch_id 0
		.amdhsa_user_sgpr_flat_scratch_init 0
		.amdhsa_user_sgpr_private_segment_size 0
		.amdhsa_wavefront_size32 1
		.amdhsa_uses_dynamic_stack 0
		.amdhsa_system_sgpr_private_segment_wavefront_offset 0
		.amdhsa_system_sgpr_workgroup_id_x 1
		.amdhsa_system_sgpr_workgroup_id_y 1
		.amdhsa_system_sgpr_workgroup_id_z 1
		.amdhsa_system_sgpr_workgroup_info 0
		.amdhsa_system_vgpr_workitem_id 1
		.amdhsa_next_free_vgpr 52
		.amdhsa_next_free_sgpr 40
		.amdhsa_reserve_vcc 1
		.amdhsa_reserve_flat_scratch 0
		.amdhsa_float_round_mode_32 0
		.amdhsa_float_round_mode_16_64 0
		.amdhsa_float_denorm_mode_32 3
		.amdhsa_float_denorm_mode_16_64 3
		.amdhsa_dx10_clamp 1
		.amdhsa_ieee_mode 1
		.amdhsa_fp16_overflow 0
		.amdhsa_workgroup_processor_mode 1
		.amdhsa_memory_ordered 1
		.amdhsa_forward_progress 1
		.amdhsa_shared_vgpr_count 0
		.amdhsa_exception_fp_ieee_invalid_op 0
		.amdhsa_exception_fp_denorm_src 0
		.amdhsa_exception_fp_ieee_div_zero 0
		.amdhsa_exception_fp_ieee_overflow 0
		.amdhsa_exception_fp_ieee_underflow 0
		.amdhsa_exception_fp_ieee_inexact 0
		.amdhsa_exception_int_div_zero 0
	.end_amdhsa_kernel
	.section	.text._ZL13mul_mat_vec_qIL9ggml_type18ELi1ELb1ELb1EEvPKvS2_PKi31ggml_cuda_mm_fusion_args_devicePfj15HIP_vector_typeIjLj3EEjjjS8_jjjS8_jjjj,"axG",@progbits,_ZL13mul_mat_vec_qIL9ggml_type18ELi1ELb1ELb1EEvPKvS2_PKi31ggml_cuda_mm_fusion_args_devicePfj15HIP_vector_typeIjLj3EEjjjS8_jjjS8_jjjj,comdat
.Lfunc_end193:
	.size	_ZL13mul_mat_vec_qIL9ggml_type18ELi1ELb1ELb1EEvPKvS2_PKi31ggml_cuda_mm_fusion_args_devicePfj15HIP_vector_typeIjLj3EEjjjS8_jjjS8_jjjj, .Lfunc_end193-_ZL13mul_mat_vec_qIL9ggml_type18ELi1ELb1ELb1EEvPKvS2_PKi31ggml_cuda_mm_fusion_args_devicePfj15HIP_vector_typeIjLj3EEjjjS8_jjjS8_jjjj
                                        ; -- End function
	.set _ZL13mul_mat_vec_qIL9ggml_type18ELi1ELb1ELb1EEvPKvS2_PKi31ggml_cuda_mm_fusion_args_devicePfj15HIP_vector_typeIjLj3EEjjjS8_jjjS8_jjjj.num_vgpr, 52
	.set _ZL13mul_mat_vec_qIL9ggml_type18ELi1ELb1ELb1EEvPKvS2_PKi31ggml_cuda_mm_fusion_args_devicePfj15HIP_vector_typeIjLj3EEjjjS8_jjjS8_jjjj.num_agpr, 0
	.set _ZL13mul_mat_vec_qIL9ggml_type18ELi1ELb1ELb1EEvPKvS2_PKi31ggml_cuda_mm_fusion_args_devicePfj15HIP_vector_typeIjLj3EEjjjS8_jjjS8_jjjj.numbered_sgpr, 40
	.set _ZL13mul_mat_vec_qIL9ggml_type18ELi1ELb1ELb1EEvPKvS2_PKi31ggml_cuda_mm_fusion_args_devicePfj15HIP_vector_typeIjLj3EEjjjS8_jjjS8_jjjj.num_named_barrier, 0
	.set _ZL13mul_mat_vec_qIL9ggml_type18ELi1ELb1ELb1EEvPKvS2_PKi31ggml_cuda_mm_fusion_args_devicePfj15HIP_vector_typeIjLj3EEjjjS8_jjjS8_jjjj.private_seg_size, 0
	.set _ZL13mul_mat_vec_qIL9ggml_type18ELi1ELb1ELb1EEvPKvS2_PKi31ggml_cuda_mm_fusion_args_devicePfj15HIP_vector_typeIjLj3EEjjjS8_jjjS8_jjjj.uses_vcc, 1
	.set _ZL13mul_mat_vec_qIL9ggml_type18ELi1ELb1ELb1EEvPKvS2_PKi31ggml_cuda_mm_fusion_args_devicePfj15HIP_vector_typeIjLj3EEjjjS8_jjjS8_jjjj.uses_flat_scratch, 0
	.set _ZL13mul_mat_vec_qIL9ggml_type18ELi1ELb1ELb1EEvPKvS2_PKi31ggml_cuda_mm_fusion_args_devicePfj15HIP_vector_typeIjLj3EEjjjS8_jjjS8_jjjj.has_dyn_sized_stack, 0
	.set _ZL13mul_mat_vec_qIL9ggml_type18ELi1ELb1ELb1EEvPKvS2_PKi31ggml_cuda_mm_fusion_args_devicePfj15HIP_vector_typeIjLj3EEjjjS8_jjjS8_jjjj.has_recursion, 0
	.set _ZL13mul_mat_vec_qIL9ggml_type18ELi1ELb1ELb1EEvPKvS2_PKi31ggml_cuda_mm_fusion_args_devicePfj15HIP_vector_typeIjLj3EEjjjS8_jjjS8_jjjj.has_indirect_call, 0
	.section	.AMDGPU.csdata,"",@progbits
; Kernel info:
; codeLenInByte = 6480
; TotalNumSgprs: 42
; NumVgprs: 52
; ScratchSize: 0
; MemoryBound: 0
; FloatMode: 240
; IeeeMode: 1
; LDSByteSize: 0 bytes/workgroup (compile time only)
; SGPRBlocks: 0
; VGPRBlocks: 6
; NumSGPRsForWavesPerEU: 42
; NumVGPRsForWavesPerEU: 52
; Occupancy: 16
; WaveLimiterHint : 0
; COMPUTE_PGM_RSRC2:SCRATCH_EN: 0
; COMPUTE_PGM_RSRC2:USER_SGPR: 6
; COMPUTE_PGM_RSRC2:TRAP_HANDLER: 0
; COMPUTE_PGM_RSRC2:TGID_X_EN: 1
; COMPUTE_PGM_RSRC2:TGID_Y_EN: 1
; COMPUTE_PGM_RSRC2:TGID_Z_EN: 1
; COMPUTE_PGM_RSRC2:TIDIG_COMP_CNT: 1
	.section	.text._ZL13mul_mat_vec_qIL9ggml_type18ELi1ELb0ELb1EEvPKvS2_PKi31ggml_cuda_mm_fusion_args_devicePfj15HIP_vector_typeIjLj3EEjjjS8_jjjS8_jjjj,"axG",@progbits,_ZL13mul_mat_vec_qIL9ggml_type18ELi1ELb0ELb1EEvPKvS2_PKi31ggml_cuda_mm_fusion_args_devicePfj15HIP_vector_typeIjLj3EEjjjS8_jjjS8_jjjj,comdat
	.globl	_ZL13mul_mat_vec_qIL9ggml_type18ELi1ELb0ELb1EEvPKvS2_PKi31ggml_cuda_mm_fusion_args_devicePfj15HIP_vector_typeIjLj3EEjjjS8_jjjS8_jjjj ; -- Begin function _ZL13mul_mat_vec_qIL9ggml_type18ELi1ELb0ELb1EEvPKvS2_PKi31ggml_cuda_mm_fusion_args_devicePfj15HIP_vector_typeIjLj3EEjjjS8_jjjS8_jjjj
	.p2align	8
	.type	_ZL13mul_mat_vec_qIL9ggml_type18ELi1ELb0ELb1EEvPKvS2_PKi31ggml_cuda_mm_fusion_args_devicePfj15HIP_vector_typeIjLj3EEjjjS8_jjjS8_jjjj,@function
_ZL13mul_mat_vec_qIL9ggml_type18ELi1ELb0ELb1EEvPKvS2_PKi31ggml_cuda_mm_fusion_args_devicePfj15HIP_vector_typeIjLj3EEjjjS8_jjjS8_jjjj: ; @_ZL13mul_mat_vec_qIL9ggml_type18ELi1ELb0ELb1EEvPKvS2_PKi31ggml_cuda_mm_fusion_args_devicePfj15HIP_vector_typeIjLj3EEjjjS8_jjjS8_jjjj
; %bb.0:
	s_clause 0x1
	s_load_dwordx2 s[0:1], s[4:5], 0x10
	s_load_dwordx4 s[16:19], s[4:5], 0x40
	s_mov_b32 s10, s7
	s_waitcnt lgkmcnt(0)
	s_cmp_lg_u64 s[0:1], 0
	s_cselect_b32 s7, -1, 0
	s_cmp_eq_u64 s[0:1], 0
	s_cbranch_scc1 .LBB194_5
; %bb.1:
	s_mov_b32 s11, 0
	s_lshl_b64 s[2:3], s[10:11], 2
	s_add_u32 s0, s0, s2
	s_addc_u32 s1, s1, s3
	s_load_dword s20, s[0:1], 0x0
	s_clause 0x1
	s_load_dwordx4 s[0:3], s[4:5], 0x68
	s_load_dword s21, s[4:5], 0x50
	s_cbranch_execnz .LBB194_3
.LBB194_2:
	s_load_dwordx2 s[12:13], s[4:5], 0x5c
	s_waitcnt lgkmcnt(0)
	s_mul_hi_u32 s9, s12, s10
	s_add_i32 s9, s10, s9
	s_lshr_b32 s20, s9, s13
.LBB194_3:
	s_load_dword s11, s[4:5], 0x78
	s_andn2_b32 vcc_lo, exec_lo, s7
	s_cbranch_vccnz .LBB194_6
; %bb.4:
	s_mul_hi_u32 s7, s17, s10
	s_add_i32 s7, s10, s7
	s_lshr_b32 s7, s7, s18
	s_mul_i32 s7, s7, s19
	s_sub_i32 s17, s10, s7
	s_branch .LBB194_7
.LBB194_5:
                                        ; implicit-def: $sgpr20
	s_clause 0x1
	s_load_dwordx4 s[0:3], s[4:5], 0x68
	s_load_dword s21, s[4:5], 0x50
	s_branch .LBB194_2
.LBB194_6:
	s_mov_b32 s17, s10
.LBB194_7:
	s_load_dwordx4 s[12:15], s[4:5], 0x80
	v_lshl_or_b32 v2, v1, 5, v0
	v_mov_b32_e32 v5, 0
	s_lshr_b32 s9, s16, 8
	s_mov_b32 s7, exec_lo
	v_lshrrev_b32_e32 v4, 3, v2
	v_cmpx_gt_u32_e64 s9, v4
	s_cbranch_execz .LBB194_11
; %bb.8:
	v_lshrrev_b32_e32 v2, 3, v2
	s_waitcnt lgkmcnt(0)
	s_mul_i32 s1, s17, s1
	v_and_b32_e32 v6, 7, v0
	s_mul_hi_u32 s17, s1, 36
	s_mul_i32 s16, s1, 36
	s_mul_hi_u32 s1, s3, s8
	v_mad_u64_u32 v[2:3], null, 0x120, v2, s[16:17]
	s_load_dwordx4 s[16:19], s[4:5], 0x0
	s_mul_i32 s3, s13, s8
	v_lshlrev_b32_e32 v5, 1, v0
	s_add_i32 s1, s8, s1
	s_mul_i32 s21, s21, s6
	s_lshr_b32 s1, s1, s11
	v_mad_u64_u32 v[2:3], null, s3, 36, v[2:3]
	v_and_b32_e32 v5, 14, v5
	s_mul_i32 s1, s1, s12
	v_mov_b32_e32 v7, 2
	s_mul_i32 s0, s20, s0
	s_add_i32 s1, s1, s21
	v_lshlrev_b32_e32 v9, 1, v5
	v_mad_u64_u32 v[2:3], null, v6, 36, v[2:3]
	v_mov_b32_e32 v6, 0
	v_lshlrev_b32_e32 v8, 1, v5
	v_lshlrev_b32_e32 v9, 1, v9
	v_mov_b32_e32 v5, 0
	s_add_i32 s11, s0, s1
	s_mov_b32 s3, 0
	s_waitcnt lgkmcnt(0)
	v_add_co_u32 v2, vcc_lo, s18, v2
	v_add_co_ci_u32_e64 v3, null, s19, v3, vcc_lo
	v_add_co_u32 v2, vcc_lo, v2, 32
	v_add_co_ci_u32_e64 v3, null, 0, v3, vcc_lo
.LBB194_9:                              ; =>This Inner Loop Header: Depth=1
	v_add_nc_u32_e32 v10, s11, v4
	s_getpc_b64 s[0:1]
	s_add_u32 s0, s0, _ZL11iq3xxs_grid@rel32@lo+4
	s_addc_u32 s1, s1, _ZL11iq3xxs_grid@rel32@hi+12
	v_add_nc_u32_e32 v4, 4, v4
	v_mad_i64_i32 v[11:12], null, 0x62, v10, s[16:17]
	v_add_co_u32 v13, vcc_lo, v11, v9
	v_add_co_ci_u32_e64 v14, null, 0, v12, vcc_lo
	v_add_co_u32 v15, vcc_lo, v11, v8
	v_add_co_ci_u32_e64 v16, null, 0, v12, vcc_lo
	s_clause 0x2
	global_load_dwordx2 v[13:14], v[13:14], off offset:2
	global_load_dword v10, v[15:16], off offset:66
	global_load_ushort v19, v[11:12], off
	s_waitcnt vmcnt(2)
	v_lshlrev_b32_sdwa v11, v7, v13 dst_sel:DWORD dst_unused:UNUSED_PAD src0_sel:DWORD src1_sel:BYTE_0
	v_lshlrev_b32_sdwa v12, v7, v13 dst_sel:DWORD dst_unused:UNUSED_PAD src0_sel:DWORD src1_sel:BYTE_1
	v_lshlrev_b32_sdwa v16, v7, v13 dst_sel:DWORD dst_unused:UNUSED_PAD src0_sel:DWORD src1_sel:BYTE_2
	v_lshlrev_b32_sdwa v13, v7, v13 dst_sel:DWORD dst_unused:UNUSED_PAD src0_sel:DWORD src1_sel:BYTE_3
	v_lshlrev_b32_sdwa v18, v7, v14 dst_sel:DWORD dst_unused:UNUSED_PAD src0_sel:DWORD src1_sel:BYTE_0
	v_lshlrev_b32_sdwa v20, v7, v14 dst_sel:DWORD dst_unused:UNUSED_PAD src0_sel:DWORD src1_sel:BYTE_1
	v_lshlrev_b32_sdwa v22, v7, v14 dst_sel:DWORD dst_unused:UNUSED_PAD src0_sel:DWORD src1_sel:BYTE_2
	v_lshlrev_b32_sdwa v14, v7, v14 dst_sel:DWORD dst_unused:UNUSED_PAD src0_sel:DWORD src1_sel:BYTE_3
	s_clause 0x7
	global_load_dword v11, v11, s[0:1]
	global_load_dword v12, v12, s[0:1]
	;; [unrolled: 1-line block ×8, first 2 shown]
	s_waitcnt vmcnt(9)
	v_and_b32_e32 v15, 0xff, v10
	v_bfe_u32 v21, v10, 14, 8
	v_bfe_u32 v17, v10, 7, 8
	v_bfe_u32 v23, v10, 21, 8
	v_bcnt_u32_b32 v13, v15, 0
	v_bcnt_u32_b32 v26, v21, 0
	;; [unrolled: 1-line block ×4, first 2 shown]
	v_and_b32_e32 v13, 1, v13
	v_and_b32_e32 v26, 1, v26
	;; [unrolled: 1-line block ×4, first 2 shown]
	v_lshlrev_b32_e32 v13, 7, v13
	v_lshlrev_b32_e32 v26, 7, v26
	v_lshlrev_b32_e32 v14, 7, v14
	v_lshlrev_b32_e32 v27, 7, v27
	v_xor_b32_e32 v13, v13, v15
	v_xor_b32_e32 v15, v26, v21
	;; [unrolled: 1-line block ×4, first 2 shown]
	v_mul_lo_u32 v13, 0x1010101, v13
	v_mul_lo_u32 v15, 0x1010101, v15
	;; [unrolled: 1-line block ×4, first 2 shown]
	v_and_b32_e32 v21, 0x8040201, v13
	v_and_b32_e32 v27, 0x80402010, v13
	v_lshrrev_b32_e32 v23, 18, v13
	v_bfe_i32 v26, v13, 0, 1
	v_lshrrev_b32_e32 v13, 22, v13
	v_cmp_ne_u16_sdwa s0, v21, v6 src0_sel:BYTE_1 src1_sel:DWORD
	v_and_b32_e32 v28, 0x8040201, v14
	v_and_b32_e32 v31, 0x80402010, v14
	v_lshrrev_b16 v41, 4, v27
	v_bfe_i32 v43, v13, 0, 1
	v_cndmask_b32_e64 v40, 0, -1, s0
	v_cmp_ne_u16_sdwa s0, v21, v6 src0_sel:BYTE_3 src1_sel:DWORD
	v_lshrrev_b32_e32 v29, 18, v14
	v_bfe_i32 v30, v14, 0, 1
	v_lshrrev_b32_e32 v14, 22, v14
	v_and_b32_e32 v32, 0x8040201, v15
	v_cndmask_b32_e64 v21, 0, -1, s0
	v_cmp_ne_u16_sdwa s0, v27, v6 src0_sel:BYTE_1 src1_sel:DWORD
	v_and_b32_e32 v35, 0x80402010, v15
	v_bfe_i32 v46, v14, 0, 1
	v_lshrrev_b16 v44, 4, v31
	v_lshrrev_b32_e32 v33, 18, v15
	v_cndmask_b32_e64 v42, 0, -1, s0
	v_cmp_ne_u16_sdwa s0, v27, v6 src0_sel:BYTE_3 src1_sel:DWORD
	v_bfe_i32 v34, v15, 0, 1
	v_lshrrev_b32_e32 v15, 22, v15
	v_and_b32_e32 v36, 0x8040201, v17
	v_and_b32_e32 v39, 0x80402010, v17
	v_cndmask_b32_e64 v13, 0, -1, s0
	v_cmp_ne_u16_sdwa s0, v28, v6 src0_sel:BYTE_1 src1_sel:DWORD
	v_bfe_i32 v49, v15, 0, 1
	v_lshrrev_b16 v47, 4, v35
	v_lshrrev_b32_e32 v37, 18, v17
	v_bfe_i32 v38, v17, 0, 1
	v_cndmask_b32_e64 v27, 0, -1, s0
	v_cmp_ne_u16_sdwa s0, v28, v6 src0_sel:BYTE_3 src1_sel:DWORD
	v_lshrrev_b32_e32 v17, 22, v17
	v_bfe_i32 v23, v23, 0, 1
	v_lshrrev_b16 v50, 4, v39
	v_lshlrev_b16 v21, 8, v21
	v_cndmask_b32_e64 v28, 0, -1, s0
	v_cmp_ne_u16_sdwa s0, v31, v6 src0_sel:BYTE_1 src1_sel:DWORD
	v_bfe_i32 v52, v17, 0, 1
	v_bfe_i32 v29, v29, 0, 1
	v_bfe_i32 v33, v33, 0, 1
	v_lshlrev_b16 v27, 8, v27
	v_cndmask_b32_e64 v45, 0, -1, s0
	v_cmp_ne_u16_sdwa s0, v31, v6 src0_sel:BYTE_3 src1_sel:DWORD
	v_lshlrev_b16 v28, 8, v28
	v_bfe_i32 v44, v44, 0, 1
	v_bfe_i32 v47, v47, 0, 1
	v_lshlrev_b16 v45, 8, v45
	v_cndmask_b32_e64 v14, 0, -1, s0
	v_cmp_ne_u16_sdwa s0, v32, v6 src0_sel:BYTE_1 src1_sel:DWORD
	v_bfe_i32 v37, v37, 0, 1
	v_bfe_i32 v50, v50, 0, 1
	v_or_b32_sdwa v56, v30, v27 dst_sel:DWORD dst_unused:UNUSED_PAD src0_sel:BYTE_0 src1_sel:DWORD
	v_lshlrev_b16 v53, 8, v14
	v_cndmask_b32_e64 v31, 0, -1, s0
	v_cmp_ne_u16_sdwa s0, v32, v6 src0_sel:BYTE_3 src1_sel:DWORD
	v_or_b32_sdwa v14, v23, v21 dst_sel:WORD_1 dst_unused:UNUSED_PAD src0_sel:BYTE_0 src1_sel:DWORD
	v_or_b32_sdwa v57, v29, v28 dst_sel:WORD_1 dst_unused:UNUSED_PAD src0_sel:BYTE_0 src1_sel:DWORD
	v_or_b32_sdwa v58, v44, v45 dst_sel:DWORD dst_unused:UNUSED_PAD src0_sel:BYTE_0 src1_sel:DWORD
	v_lshlrev_b16 v31, 8, v31
	v_cndmask_b32_e64 v32, 0, -1, s0
	v_cmp_ne_u16_sdwa s0, v35, v6 src0_sel:BYTE_1 src1_sel:DWORD
	v_or_b32_sdwa v59, v46, v53 dst_sel:WORD_1 dst_unused:UNUSED_PAD src0_sel:BYTE_0 src1_sel:DWORD
	v_or_b32_sdwa v56, v56, v57 dst_sel:DWORD dst_unused:UNUSED_PAD src0_sel:WORD_0 src1_sel:DWORD
	v_or_b32_sdwa v60, v34, v31 dst_sel:DWORD dst_unused:UNUSED_PAD src0_sel:BYTE_0 src1_sel:DWORD
	v_lshlrev_b16 v32, 8, v32
	v_cndmask_b32_e64 v48, 0, -1, s0
	v_cmp_ne_u16_sdwa s0, v35, v6 src0_sel:BYTE_3 src1_sel:DWORD
	v_or_b32_sdwa v58, v58, v59 dst_sel:DWORD dst_unused:UNUSED_PAD src0_sel:WORD_0 src1_sel:DWORD
	v_lshlrev_b16 v30, 8, v30
	v_or_b32_sdwa v61, v33, v32 dst_sel:WORD_1 dst_unused:UNUSED_PAD src0_sel:BYTE_0 src1_sel:DWORD
	v_lshlrev_b16 v48, 8, v48
	v_cndmask_b32_e64 v15, 0, -1, s0
	v_cmp_ne_u16_sdwa s0, v36, v6 src0_sel:BYTE_1 src1_sel:DWORD
	v_lshlrev_b16 v44, 8, v44
	v_or_b32_sdwa v60, v60, v61 dst_sel:DWORD dst_unused:UNUSED_PAD src0_sel:WORD_0 src1_sel:DWORD
	v_lshlrev_b16 v34, 8, v34
	v_lshlrev_b16 v54, 8, v15
	v_cndmask_b32_e64 v35, 0, -1, s0
	v_cmp_ne_u16_sdwa s0, v36, v6 src0_sel:BYTE_3 src1_sel:DWORD
	v_lshlrev_b16 v23, 8, v23
	v_lshlrev_b16 v29, 8, v29
	;; [unrolled: 1-line block ×4, first 2 shown]
	v_cndmask_b32_e64 v36, 0, -1, s0
	v_cmp_ne_u16_sdwa s0, v39, v6 src0_sel:BYTE_1 src1_sel:DWORD
	v_lshlrev_b16 v33, 8, v33
	v_or_b32_sdwa v57, v38, v35 dst_sel:DWORD dst_unused:UNUSED_PAD src0_sel:BYTE_0 src1_sel:DWORD
	v_lshlrev_b16 v36, 8, v36
	v_cndmask_b32_e64 v51, 0, -1, s0
	v_cmp_ne_u16_sdwa s0, v39, v6 src0_sel:BYTE_3 src1_sel:DWORD
	v_lshlrev_b16 v39, 8, v40
	v_bfe_i32 v40, v41, 0, 1
	v_lshlrev_b16 v41, 8, v42
	v_lshlrev_b16 v42, 8, v13
	v_cndmask_b32_e64 v17, 0, -1, s0
	v_or_b32_sdwa v13, v26, v39 dst_sel:DWORD dst_unused:UNUSED_PAD src0_sel:BYTE_0 src1_sel:DWORD
	v_lshlrev_b16 v51, 8, v51
	v_or_b32_sdwa v15, v40, v41 dst_sel:DWORD dst_unused:UNUSED_PAD src0_sel:BYTE_0 src1_sel:DWORD
	v_or_b32_sdwa v59, v37, v36 dst_sel:WORD_1 dst_unused:UNUSED_PAD src0_sel:BYTE_0 src1_sel:DWORD
	v_lshlrev_b16 v55, 8, v17
	v_or_b32_sdwa v17, v43, v42 dst_sel:WORD_1 dst_unused:UNUSED_PAD src0_sel:BYTE_0 src1_sel:DWORD
	v_or_b32_sdwa v13, v13, v14 dst_sel:DWORD dst_unused:UNUSED_PAD src0_sel:WORD_0 src1_sel:DWORD
	v_or_b32_sdwa v14, v47, v48 dst_sel:DWORD dst_unused:UNUSED_PAD src0_sel:BYTE_0 src1_sel:DWORD
	v_or_b32_sdwa v61, v50, v51 dst_sel:DWORD dst_unused:UNUSED_PAD src0_sel:BYTE_0 src1_sel:DWORD
	v_or_b32_sdwa v57, v57, v59 dst_sel:DWORD dst_unused:UNUSED_PAD src0_sel:WORD_0 src1_sel:DWORD
	v_or_b32_sdwa v15, v15, v17 dst_sel:DWORD dst_unused:UNUSED_PAD src0_sel:WORD_0 src1_sel:DWORD
	v_or_b32_sdwa v17, v49, v54 dst_sel:WORD_1 dst_unused:UNUSED_PAD src0_sel:BYTE_0 src1_sel:DWORD
	v_lshlrev_b16 v26, 8, v26
	v_lshlrev_b16 v40, 8, v40
	;; [unrolled: 1-line block ×4, first 2 shown]
	v_or_b32_sdwa v17, v14, v17 dst_sel:DWORD dst_unused:UNUSED_PAD src0_sel:WORD_0 src1_sel:DWORD
	v_or_b32_sdwa v14, v52, v55 dst_sel:WORD_1 dst_unused:UNUSED_PAD src0_sel:BYTE_0 src1_sel:DWORD
	v_lshlrev_b16 v43, 8, v43
	v_lshlrev_b16 v50, 8, v50
	;; [unrolled: 1-line block ×4, first 2 shown]
	v_or_b32_sdwa v59, v61, v14 dst_sel:DWORD dst_unused:UNUSED_PAD src0_sel:WORD_0 src1_sel:DWORD
	v_lshlrev_b16 v52, 8, v52
	v_cmp_le_u32_e64 s0, s9, v4
	s_or_b32 s3, s0, s3
	s_waitcnt vmcnt(7)
	v_xor_b32_e32 v61, v11, v13
	s_waitcnt vmcnt(6)
	v_xor_b32_e32 v62, v12, v15
	global_load_dwordx4 v[11:14], v[2:3], off offset:-32
	s_waitcnt vmcnt(6)
	v_xor_b32_e32 v56, v16, v56
	s_waitcnt vmcnt(5)
	v_xor_b32_e32 v24, v24, v58
	;; [unrolled: 2-line block ×4, first 2 shown]
	global_load_dwordx4 v[15:18], v[2:3], off offset:-16
	s_waitcnt vmcnt(3)
	v_xor_b32_e32 v22, v22, v57
	global_load_dword v57, v[2:3], off
	s_waitcnt vmcnt(3)
	v_xor_b32_e32 v25, v25, v59
	v_and_b32_e32 v59, 0xffffff00, v61
	v_lshrrev_b32_e32 v60, 16, v61
	v_add_co_u32 v2, vcc_lo, 0x480, v2
	v_add_co_ci_u32_e64 v3, null, 0, v3, vcc_lo
	v_sub_nc_i16 v39, v59, v39 clamp
	v_lshlrev_b16 v59, 8, v61
	v_lshrrev_b32_e32 v61, 16, v62
	v_sub_nc_i16 v26, v59, v26 clamp
	v_and_b32_e32 v59, 0xffffff00, v62
	v_perm_b32 v26, v26, v39, 0xc0c0105
	v_sub_nc_i16 v41, v59, v41 clamp
	v_lshlrev_b16 v59, 8, v62
	v_and_b32_e32 v39, 0xffffff00, v60
	v_lshlrev_b16 v60, 8, v60
	v_sub_nc_i16 v40, v59, v40 clamp
	v_and_b32_e32 v59, 0xffffff00, v56
	v_sub_nc_i16 v21, v39, v21 clamp
	v_and_b32_e32 v39, 0xffffff00, v61
	v_lshlrev_b16 v61, 8, v61
	v_sub_nc_i16 v23, v60, v23 clamp
	v_sub_nc_i16 v27, v59, v27 clamp
	v_lshlrev_b16 v59, 8, v56
	v_lshrrev_b32_e32 v56, 16, v56
	v_sub_nc_i16 v39, v39, v42 clamp
	v_sub_nc_i16 v43, v61, v43 clamp
	v_perm_b32 v21, v23, v21, 0xc0c0105
	v_sub_nc_i16 v30, v59, v30 clamp
	v_and_b32_e32 v59, 0xffffff00, v24
	v_and_b32_e32 v60, 0xffffff00, v56
	v_lshlrev_b16 v56, 8, v56
	v_perm_b32 v40, v40, v41, 0xc0c0105
	v_perm_b32 v39, v43, v39, 0xc0c0105
	v_sub_nc_i16 v45, v59, v45 clamp
	v_lshlrev_b16 v59, 8, v24
	v_lshrrev_b32_e32 v24, 16, v24
	v_sub_nc_i16 v28, v60, v28 clamp
	v_sub_nc_i16 v29, v56, v29 clamp
	v_lshl_or_b32 v21, v21, 16, v26
	v_sub_nc_i16 v44, v59, v44 clamp
	v_and_b32_e32 v59, 0xffffff00, v58
	v_and_b32_e32 v41, 0xffffff00, v24
	v_lshlrev_b16 v24, 8, v24
	v_perm_b32 v27, v30, v27, 0xc0c0105
	v_perm_b32 v28, v29, v28, 0xc0c0105
	v_sub_nc_i16 v31, v59, v31 clamp
	v_lshlrev_b16 v59, 8, v58
	v_lshrrev_b32_e32 v58, 16, v58
	v_sub_nc_i16 v41, v41, v53 clamp
	v_sub_nc_i16 v24, v24, v46 clamp
	v_lshl_or_b32 v29, v39, 16, v40
	v_sub_nc_i16 v34, v59, v34 clamp
	v_and_b32_e32 v59, 0xffffff00, v20
	v_and_b32_e32 v42, 0xffffff00, v58
	v_lshlrev_b16 v58, 8, v58
	v_perm_b32 v44, v44, v45, 0xc0c0105
	v_perm_b32 v31, v34, v31, 0xc0c0105
	v_sub_nc_i16 v48, v59, v48 clamp
	v_lshlrev_b16 v59, 8, v20
	v_lshrrev_b32_e32 v20, 16, v20
	v_sub_nc_i16 v32, v42, v32 clamp
	v_sub_nc_i16 v33, v58, v33 clamp
	;; [unrolled: 1-line block ×3, first 2 shown]
	v_and_b32_e32 v59, 0xffffff00, v22
	v_and_b32_e32 v61, 0xffffff00, v20
	v_lshlrev_b16 v20, 8, v20
	v_perm_b32 v34, v47, v48, 0xc0c0105
	v_sub_nc_i16 v35, v59, v35 clamp
	v_lshlrev_b16 v59, 8, v22
	v_lshrrev_b32_e32 v22, 16, v22
	v_sub_nc_i16 v23, v61, v54 clamp
	v_sub_nc_i16 v20, v20, v49 clamp
	;; [unrolled: 1-line block ×3, first 2 shown]
	v_and_b32_e32 v59, 0xffffff00, v25
	v_and_b32_e32 v30, 0xffffff00, v22
	v_lshlrev_b16 v22, 8, v22
	v_perm_b32 v20, v20, v23, 0xc0c0105
	v_perm_b32 v26, v38, v35, 0xc0c0105
	v_sub_nc_i16 v51, v59, v51 clamp
	v_lshlrev_b16 v59, 8, v25
	v_lshrrev_b32_e32 v25, 16, v25
	v_sub_nc_i16 v50, v59, v50 clamp
	v_mov_b32_e32 v59, 0
	v_and_b32_e32 v60, 0xffffff00, v25
	v_lshlrev_b16 v25, 8, v25
	s_waitcnt vmcnt(2)
	v_dot4c_i32_i8 v59, v21, v12
	v_perm_b32 v21, v24, v41, 0xc0c0105
	v_lshl_or_b32 v24, v28, 16, v27
	v_sub_nc_i16 v12, v30, v36 clamp
	v_dot4c_i32_i8 v59, v29, v13
	v_sub_nc_i16 v13, v22, v37 clamp
	v_perm_b32 v22, v33, v32, 0xc0c0105
	v_lshl_or_b32 v21, v21, 16, v44
	v_dot4c_i32_i8 v59, v24, v14
	v_sub_nc_i16 v14, v60, v55 clamp
	v_lshl_or_b32 v22, v22, 16, v31
	v_perm_b32 v12, v13, v12, 0xc0c0105
	v_lshl_or_b32 v13, v20, 16, v34
	s_waitcnt vmcnt(1)
	v_dot4c_i32_i8 v59, v21, v15
	v_sub_nc_i16 v15, v25, v52 clamp
	v_lshl_or_b32 v12, v12, 16, v26
	v_dot4c_i32_i8 v59, v22, v16
	v_perm_b32 v16, v50, v51, 0xc0c0105
	v_perm_b32 v14, v15, v14, 0xc0c0105
	v_dot4c_i32_i8 v59, v13, v17
	v_lshl_or_b32 v13, v14, 16, v16
	v_dot4c_i32_i8 v59, v12, v18
	s_waitcnt vmcnt(0)
	v_dot4c_i32_i8 v59, v13, v57
	v_lshrrev_b32_e32 v13, 28, v10
	v_lshrrev_b32_e32 v12, 31, v59
	v_add_nc_u32_e32 v12, v59, v12
	v_ashrrev_i32_e32 v10, 1, v12
	v_mad_u64_u32 v[12:13], null, v59, v13, v[10:11]
	v_cvt_f32_f16_e32 v11, v11
	v_lshrrev_b32_e32 v10, 31, v12
	v_add_nc_u32_e32 v10, v12, v10
	v_cvt_f32_f16_e32 v12, v19
	v_ashrrev_i32_e32 v10, 1, v10
	v_mul_f32_e32 v11, v12, v11
	v_cvt_f32_i32_e32 v10, v10
	v_fmac_f32_e32 v5, v11, v10
	s_andn2_b32 exec_lo, exec_lo, s3
	s_cbranch_execnz .LBB194_9
; %bb.10:
	s_or_b32 exec_lo, exec_lo, s3
.LBB194_11:
	s_or_b32 exec_lo, exec_lo, s7
	s_waitcnt lgkmcnt(0)
	; wave barrier
	buffer_gl0_inv
	s_mov_b32 s0, exec_lo
	v_cmpx_eq_u32_e32 0, v1
	s_cbranch_execz .LBB194_14
; %bb.12:
	v_mbcnt_lo_u32_b32 v1, -1, 0
	v_xor_b32_e32 v2, 16, v1
	v_xor_b32_e32 v3, 8, v1
	;; [unrolled: 1-line block ×3, first 2 shown]
	v_cmp_gt_i32_e32 vcc_lo, 32, v2
	v_cndmask_b32_e32 v2, v1, v2, vcc_lo
	v_cmp_gt_i32_e32 vcc_lo, 32, v3
	v_lshlrev_b32_e32 v2, 2, v2
	v_cndmask_b32_e32 v3, v1, v3, vcc_lo
	v_cmp_gt_i32_e32 vcc_lo, 32, v4
	ds_bpermute_b32 v2, v2, v5
	v_lshlrev_b32_e32 v3, 2, v3
	v_cndmask_b32_e32 v4, v1, v4, vcc_lo
	v_lshlrev_b32_e32 v4, 2, v4
	s_waitcnt lgkmcnt(0)
	v_add_f32_e32 v2, v5, v2
	ds_bpermute_b32 v3, v3, v2
	s_waitcnt lgkmcnt(0)
	v_add_f32_e32 v2, v2, v3
	ds_bpermute_b32 v3, v4, v2
	v_xor_b32_e32 v4, 2, v1
	v_cmp_gt_i32_e32 vcc_lo, 32, v4
	v_cndmask_b32_e32 v4, v1, v4, vcc_lo
	v_lshlrev_b32_e32 v4, 2, v4
	s_waitcnt lgkmcnt(0)
	v_add_f32_e32 v2, v2, v3
	ds_bpermute_b32 v3, v4, v2
	v_xor_b32_e32 v4, 1, v1
	v_cmp_gt_i32_e32 vcc_lo, 32, v4
	v_cndmask_b32_e32 v1, v1, v4, vcc_lo
	v_cmp_eq_u32_e32 vcc_lo, 0, v0
	v_lshlrev_b32_e32 v4, 2, v1
	s_waitcnt lgkmcnt(0)
	v_add_f32_e32 v1, v2, v3
	ds_bpermute_b32 v2, v4, v1
	s_and_b32 exec_lo, exec_lo, vcc_lo
	s_cbranch_execz .LBB194_14
; %bb.13:
	s_load_dwordx2 s[0:1], s[4:5], 0x38
	s_mul_i32 s2, s2, s10
	s_mul_i32 s3, s14, s8
	s_add_i32 s2, s2, s6
	s_waitcnt lgkmcnt(0)
	v_add_f32_e32 v0, v1, v2
	s_add_i32 s2, s2, s3
	s_mov_b32 s3, 0
	v_mov_b32_e32 v1, 0
	s_lshl_b64 s[2:3], s[2:3], 2
	s_add_u32 s0, s0, s2
	s_addc_u32 s1, s1, s3
	global_store_dword v1, v0, s[0:1]
.LBB194_14:
	s_endpgm
	.section	.rodata,"a",@progbits
	.p2align	6, 0x0
	.amdhsa_kernel _ZL13mul_mat_vec_qIL9ggml_type18ELi1ELb0ELb1EEvPKvS2_PKi31ggml_cuda_mm_fusion_args_devicePfj15HIP_vector_typeIjLj3EEjjjS8_jjjS8_jjjj
		.amdhsa_group_segment_fixed_size 0
		.amdhsa_private_segment_fixed_size 0
		.amdhsa_kernarg_size 144
		.amdhsa_user_sgpr_count 6
		.amdhsa_user_sgpr_private_segment_buffer 1
		.amdhsa_user_sgpr_dispatch_ptr 0
		.amdhsa_user_sgpr_queue_ptr 0
		.amdhsa_user_sgpr_kernarg_segment_ptr 1
		.amdhsa_user_sgpr_dispatch_id 0
		.amdhsa_user_sgpr_flat_scratch_init 0
		.amdhsa_user_sgpr_private_segment_size 0
		.amdhsa_wavefront_size32 1
		.amdhsa_uses_dynamic_stack 0
		.amdhsa_system_sgpr_private_segment_wavefront_offset 0
		.amdhsa_system_sgpr_workgroup_id_x 1
		.amdhsa_system_sgpr_workgroup_id_y 1
		.amdhsa_system_sgpr_workgroup_id_z 1
		.amdhsa_system_sgpr_workgroup_info 0
		.amdhsa_system_vgpr_workitem_id 1
		.amdhsa_next_free_vgpr 63
		.amdhsa_next_free_sgpr 22
		.amdhsa_reserve_vcc 1
		.amdhsa_reserve_flat_scratch 0
		.amdhsa_float_round_mode_32 0
		.amdhsa_float_round_mode_16_64 0
		.amdhsa_float_denorm_mode_32 3
		.amdhsa_float_denorm_mode_16_64 3
		.amdhsa_dx10_clamp 1
		.amdhsa_ieee_mode 1
		.amdhsa_fp16_overflow 0
		.amdhsa_workgroup_processor_mode 1
		.amdhsa_memory_ordered 1
		.amdhsa_forward_progress 1
		.amdhsa_shared_vgpr_count 0
		.amdhsa_exception_fp_ieee_invalid_op 0
		.amdhsa_exception_fp_denorm_src 0
		.amdhsa_exception_fp_ieee_div_zero 0
		.amdhsa_exception_fp_ieee_overflow 0
		.amdhsa_exception_fp_ieee_underflow 0
		.amdhsa_exception_fp_ieee_inexact 0
		.amdhsa_exception_int_div_zero 0
	.end_amdhsa_kernel
	.section	.text._ZL13mul_mat_vec_qIL9ggml_type18ELi1ELb0ELb1EEvPKvS2_PKi31ggml_cuda_mm_fusion_args_devicePfj15HIP_vector_typeIjLj3EEjjjS8_jjjS8_jjjj,"axG",@progbits,_ZL13mul_mat_vec_qIL9ggml_type18ELi1ELb0ELb1EEvPKvS2_PKi31ggml_cuda_mm_fusion_args_devicePfj15HIP_vector_typeIjLj3EEjjjS8_jjjS8_jjjj,comdat
.Lfunc_end194:
	.size	_ZL13mul_mat_vec_qIL9ggml_type18ELi1ELb0ELb1EEvPKvS2_PKi31ggml_cuda_mm_fusion_args_devicePfj15HIP_vector_typeIjLj3EEjjjS8_jjjS8_jjjj, .Lfunc_end194-_ZL13mul_mat_vec_qIL9ggml_type18ELi1ELb0ELb1EEvPKvS2_PKi31ggml_cuda_mm_fusion_args_devicePfj15HIP_vector_typeIjLj3EEjjjS8_jjjS8_jjjj
                                        ; -- End function
	.set _ZL13mul_mat_vec_qIL9ggml_type18ELi1ELb0ELb1EEvPKvS2_PKi31ggml_cuda_mm_fusion_args_devicePfj15HIP_vector_typeIjLj3EEjjjS8_jjjS8_jjjj.num_vgpr, 63
	.set _ZL13mul_mat_vec_qIL9ggml_type18ELi1ELb0ELb1EEvPKvS2_PKi31ggml_cuda_mm_fusion_args_devicePfj15HIP_vector_typeIjLj3EEjjjS8_jjjS8_jjjj.num_agpr, 0
	.set _ZL13mul_mat_vec_qIL9ggml_type18ELi1ELb0ELb1EEvPKvS2_PKi31ggml_cuda_mm_fusion_args_devicePfj15HIP_vector_typeIjLj3EEjjjS8_jjjS8_jjjj.numbered_sgpr, 22
	.set _ZL13mul_mat_vec_qIL9ggml_type18ELi1ELb0ELb1EEvPKvS2_PKi31ggml_cuda_mm_fusion_args_devicePfj15HIP_vector_typeIjLj3EEjjjS8_jjjS8_jjjj.num_named_barrier, 0
	.set _ZL13mul_mat_vec_qIL9ggml_type18ELi1ELb0ELb1EEvPKvS2_PKi31ggml_cuda_mm_fusion_args_devicePfj15HIP_vector_typeIjLj3EEjjjS8_jjjS8_jjjj.private_seg_size, 0
	.set _ZL13mul_mat_vec_qIL9ggml_type18ELi1ELb0ELb1EEvPKvS2_PKi31ggml_cuda_mm_fusion_args_devicePfj15HIP_vector_typeIjLj3EEjjjS8_jjjS8_jjjj.uses_vcc, 1
	.set _ZL13mul_mat_vec_qIL9ggml_type18ELi1ELb0ELb1EEvPKvS2_PKi31ggml_cuda_mm_fusion_args_devicePfj15HIP_vector_typeIjLj3EEjjjS8_jjjS8_jjjj.uses_flat_scratch, 0
	.set _ZL13mul_mat_vec_qIL9ggml_type18ELi1ELb0ELb1EEvPKvS2_PKi31ggml_cuda_mm_fusion_args_devicePfj15HIP_vector_typeIjLj3EEjjjS8_jjjS8_jjjj.has_dyn_sized_stack, 0
	.set _ZL13mul_mat_vec_qIL9ggml_type18ELi1ELb0ELb1EEvPKvS2_PKi31ggml_cuda_mm_fusion_args_devicePfj15HIP_vector_typeIjLj3EEjjjS8_jjjS8_jjjj.has_recursion, 0
	.set _ZL13mul_mat_vec_qIL9ggml_type18ELi1ELb0ELb1EEvPKvS2_PKi31ggml_cuda_mm_fusion_args_devicePfj15HIP_vector_typeIjLj3EEjjjS8_jjjS8_jjjj.has_indirect_call, 0
	.section	.AMDGPU.csdata,"",@progbits
; Kernel info:
; codeLenInByte = 3056
; TotalNumSgprs: 24
; NumVgprs: 63
; ScratchSize: 0
; MemoryBound: 0
; FloatMode: 240
; IeeeMode: 1
; LDSByteSize: 0 bytes/workgroup (compile time only)
; SGPRBlocks: 0
; VGPRBlocks: 7
; NumSGPRsForWavesPerEU: 24
; NumVGPRsForWavesPerEU: 63
; Occupancy: 16
; WaveLimiterHint : 0
; COMPUTE_PGM_RSRC2:SCRATCH_EN: 0
; COMPUTE_PGM_RSRC2:USER_SGPR: 6
; COMPUTE_PGM_RSRC2:TRAP_HANDLER: 0
; COMPUTE_PGM_RSRC2:TGID_X_EN: 1
; COMPUTE_PGM_RSRC2:TGID_Y_EN: 1
; COMPUTE_PGM_RSRC2:TGID_Z_EN: 1
; COMPUTE_PGM_RSRC2:TIDIG_COMP_CNT: 1
	.section	.text._ZL13mul_mat_vec_qIL9ggml_type18ELi1ELb1ELb0EEvPKvS2_PKi31ggml_cuda_mm_fusion_args_devicePfj15HIP_vector_typeIjLj3EEjjjS8_jjjS8_jjjj,"axG",@progbits,_ZL13mul_mat_vec_qIL9ggml_type18ELi1ELb1ELb0EEvPKvS2_PKi31ggml_cuda_mm_fusion_args_devicePfj15HIP_vector_typeIjLj3EEjjjS8_jjjS8_jjjj,comdat
	.globl	_ZL13mul_mat_vec_qIL9ggml_type18ELi1ELb1ELb0EEvPKvS2_PKi31ggml_cuda_mm_fusion_args_devicePfj15HIP_vector_typeIjLj3EEjjjS8_jjjS8_jjjj ; -- Begin function _ZL13mul_mat_vec_qIL9ggml_type18ELi1ELb1ELb0EEvPKvS2_PKi31ggml_cuda_mm_fusion_args_devicePfj15HIP_vector_typeIjLj3EEjjjS8_jjjS8_jjjj
	.p2align	8
	.type	_ZL13mul_mat_vec_qIL9ggml_type18ELi1ELb1ELb0EEvPKvS2_PKi31ggml_cuda_mm_fusion_args_devicePfj15HIP_vector_typeIjLj3EEjjjS8_jjjS8_jjjj,@function
_ZL13mul_mat_vec_qIL9ggml_type18ELi1ELb1ELb0EEvPKvS2_PKi31ggml_cuda_mm_fusion_args_devicePfj15HIP_vector_typeIjLj3EEjjjS8_jjjS8_jjjj: ; @_ZL13mul_mat_vec_qIL9ggml_type18ELi1ELb1ELb0EEvPKvS2_PKi31ggml_cuda_mm_fusion_args_devicePfj15HIP_vector_typeIjLj3EEjjjS8_jjjS8_jjjj
; %bb.0:
	s_clause 0x3
	s_load_dwordx8 s[12:19], s[4:5], 0x0
	s_load_dwordx4 s[28:31], s[4:5], 0x20
	s_load_dwordx4 s[36:39], s[4:5], 0x40
	;; [unrolled: 1-line block ×3, first 2 shown]
	s_mov_b32 s10, s7
	s_waitcnt lgkmcnt(0)
	s_cmp_lg_u64 s[16:17], 0
	s_cselect_b32 s0, -1, 0
	s_cmp_eq_u64 s[16:17], 0
	s_cbranch_scc1 .LBB195_5
; %bb.1:
	s_mov_b32 s11, 0
	s_lshl_b64 s[2:3], s[10:11], 2
	s_add_u32 s2, s16, s2
	s_addc_u32 s3, s17, s3
	s_load_dword s34, s[2:3], 0x0
	s_clause 0x1
	s_load_dword s35, s[4:5], 0x50
	s_load_dword s33, s[4:5], 0x78
	s_cbranch_execnz .LBB195_3
.LBB195_2:
	s_load_dwordx2 s[2:3], s[4:5], 0x5c
	s_waitcnt lgkmcnt(0)
	s_mul_hi_u32 s1, s2, s10
	s_add_i32 s1, s10, s1
	s_lshr_b32 s34, s1, s3
.LBB195_3:
	s_andn2_b32 vcc_lo, exec_lo, s0
	s_cbranch_vccnz .LBB195_6
; %bb.4:
	s_mul_hi_u32 s0, s37, s10
	s_waitcnt lgkmcnt(0)
	s_mov_b32 s1, s34
	s_add_i32 s0, s10, s0
	s_lshr_b32 s0, s0, s38
	s_mul_i32 s0, s0, s39
	s_sub_i32 s37, s10, s0
	s_branch .LBB195_7
.LBB195_5:
                                        ; implicit-def: $sgpr34
	s_clause 0x1
	s_load_dword s35, s[4:5], 0x50
	s_load_dword s33, s[4:5], 0x78
	s_branch .LBB195_2
.LBB195_6:
	s_mov_b32 s1, s10
	s_mov_b32 s37, s10
.LBB195_7:
	s_load_dwordx4 s[24:27], s[4:5], 0x80
	v_or_b32_e32 v2, v0, v1
	s_cmp_lg_u64 s[18:19], 0
	v_mov_b32_e32 v14, 0
	v_mov_b32_e32 v15, 0
	s_cselect_b32 s0, -1, 0
	v_cmp_eq_u32_e32 vcc_lo, 0, v2
	s_mov_b32 s17, 0
	s_mul_i32 s2, s1, s22
	s_and_b32 s3, s0, vcc_lo
	s_and_saveexec_b32 s1, s3
	s_cbranch_execz .LBB195_9
; %bb.8:
	s_waitcnt lgkmcnt(0)
	s_mul_i32 s16, s26, s8
	s_mov_b32 s3, s17
	s_lshl_b64 s[38:39], s[16:17], 2
	v_lshlrev_b32_e32 v2, 2, v0
	s_add_u32 s7, s18, s38
	s_addc_u32 s9, s19, s39
	s_lshl_b64 s[16:17], s[2:3], 2
	s_add_u32 s3, s7, s16
	s_addc_u32 s9, s9, s17
	s_ashr_i32 s7, s6, 31
	s_lshl_b64 s[16:17], s[6:7], 2
	s_add_u32 s16, s3, s16
	s_addc_u32 s17, s9, s17
	global_load_dword v15, v2, s[16:17]
.LBB195_9:
	s_or_b32 exec_lo, exec_lo, s1
	s_cmp_lg_u64 s[28:29], 0
	s_cselect_b32 s9, -1, 0
	s_cmp_lg_u64 s[30:31], 0
	s_cselect_b32 s1, -1, 0
	s_and_b32 s3, s1, s9
	s_and_b32 s3, s3, vcc_lo
	s_and_saveexec_b32 s11, s3
	s_cbranch_execz .LBB195_11
; %bb.10:
	s_waitcnt lgkmcnt(0)
	s_mul_i32 s16, s26, s8
	s_mov_b32 s17, 0
	v_lshlrev_b32_e32 v2, 2, v0
	s_lshl_b64 s[18:19], s[16:17], 2
	s_mov_b32 s3, s17
	s_add_u32 s7, s30, s18
	s_addc_u32 s16, s31, s19
	s_lshl_b64 s[2:3], s[2:3], 2
	s_add_u32 s17, s7, s2
	s_addc_u32 s16, s16, s3
	s_ashr_i32 s7, s6, 31
	s_lshl_b64 s[2:3], s[6:7], 2
	s_add_u32 s2, s17, s2
	s_addc_u32 s3, s16, s3
	global_load_dword v14, v2, s[2:3]
.LBB195_11:
	s_or_b32 exec_lo, exec_lo, s11
	v_lshl_or_b32 v2, v1, 5, v0
	v_mov_b32_e32 v19, 0
	v_cndmask_b32_e64 v16, 0, 1, s9
	v_mov_b32_e32 v17, 0
	s_lshr_b32 s7, s36, 8
	v_lshrrev_b32_e32 v18, 3, v2
	s_mov_b32 s11, exec_lo
	v_cmpx_gt_u32_e64 s7, v18
	s_cbranch_execz .LBB195_17
; %bb.12:
	v_lshrrev_b32_e32 v2, 3, v2
	s_mul_i32 s2, s37, s21
	s_waitcnt lgkmcnt(0)
	s_mul_i32 s16, s25, s8
	s_mul_hi_u32 s3, s2, 36
	s_mul_i32 s2, s2, 36
	v_and_b32_e32 v5, 7, v0
	v_mad_u64_u32 v[2:3], null, 0x120, v2, s[2:3]
	v_lshlrev_b32_e32 v4, 1, v0
	s_mul_hi_u32 s2, s23, s8
	s_mul_i32 s35, s35, s6
	s_add_i32 s2, s8, s2
	v_mov_b32_e32 v20, 0
	v_and_b32_e32 v4, 14, v4
	v_mad_u64_u32 v[2:3], null, s16, 36, v[2:3]
	s_lshr_b32 s2, s2, s33
	v_mov_b32_e32 v21, 2
	s_mul_i32 s2, s2, s24
	v_mov_b32_e32 v19, 0
	v_lshlrev_b32_e32 v22, 1, v4
	v_mov_b32_e32 v17, 0
	v_mad_u64_u32 v[2:3], null, v5, 36, v[2:3]
	v_lshlrev_b32_e32 v5, 1, v4
	s_mul_i32 s3, s34, s20
	s_add_i32 s2, s2, s35
	v_lshlrev_b32_e32 v23, 1, v5
	v_add_co_u32 v2, vcc_lo, s14, v2
	v_add_co_ci_u32_e64 v3, null, s15, v3, vcc_lo
	s_add_i32 s15, s3, s2
	v_add_co_u32 v10, vcc_lo, v2, 32
	v_add_co_ci_u32_e64 v11, null, 0, v3, vcc_lo
	s_mov_b32 s14, 0
	s_branch .LBB195_14
.LBB195_13:                             ;   in Loop: Header=BB195_14 Depth=1
	s_waitcnt vmcnt(9)
	v_and_b32_e32 v12, 0xff, v24
	v_bfe_u32 v13, v24, 7, 8
	v_add_nc_u32_e32 v18, 4, v18
	v_bcnt_u32_b32 v35, v12, 0
	v_bcnt_u32_b32 v36, v13, 0
	v_cmp_le_u32_e32 vcc_lo, s7, v18
	v_and_b32_e32 v35, 1, v35
	v_and_b32_e32 v36, 1, v36
	s_or_b32 s14, vcc_lo, s14
	v_lshlrev_b32_e32 v35, 7, v35
	v_lshlrev_b32_e32 v36, 7, v36
	v_xor_b32_e32 v12, v35, v12
	v_xor_b32_e32 v13, v36, v13
	v_mul_lo_u32 v12, 0x1010101, v12
	v_mul_lo_u32 v13, 0x1010101, v13
	v_and_b32_e32 v35, 0x8040201, v12
	v_and_b32_e32 v38, 0x80402010, v12
	v_lshrrev_b32_e32 v36, 18, v12
	v_bfe_i32 v37, v12, 0, 1
	v_lshrrev_b32_e32 v12, 22, v12
	v_cmp_ne_u16_sdwa s2, v35, v20 src0_sel:BYTE_1 src1_sel:DWORD
	v_lshrrev_b16 v44, 4, v38
	v_bfe_i32 v36, v36, 0, 1
	v_lshlrev_b16 v43, 8, v37
	v_and_b32_e32 v39, 0x8040201, v13
	v_cndmask_b32_e64 v42, 0, -1, s2
	v_cmp_ne_u16_sdwa s2, v35, v20 src0_sel:BYTE_3 src1_sel:DWORD
	v_bfe_i32 v12, v12, 0, 1
	v_bfe_i32 v44, v44, 0, 1
	v_lshrrev_b32_e32 v40, 18, v13
	v_lshlrev_b16 v42, 8, v42
	v_cndmask_b32_e64 v35, 0, -1, s2
	v_cmp_ne_u16_sdwa s2, v38, v20 src0_sel:BYTE_1 src1_sel:DWORD
	v_bfe_i32 v41, v13, 0, 1
	v_bfe_i32 v40, v40, 0, 1
	v_or_b32_sdwa v37, v37, v42 dst_sel:DWORD dst_unused:UNUSED_PAD src0_sel:BYTE_0 src1_sel:DWORD
	v_lshlrev_b16 v35, 8, v35
	v_cndmask_b32_e64 v45, 0, -1, s2
	v_cmp_ne_u16_sdwa s2, v38, v20 src0_sel:BYTE_3 src1_sel:DWORD
	v_or_b32_sdwa v47, v36, v35 dst_sel:WORD_1 dst_unused:UNUSED_PAD src0_sel:BYTE_0 src1_sel:DWORD
	v_lshlrev_b16 v45, 8, v45
	v_cndmask_b32_e64 v38, 0, -1, s2
	v_cmp_ne_u16_sdwa s2, v39, v20 src0_sel:BYTE_1 src1_sel:DWORD
	v_lshlrev_b16 v36, 8, v36
	v_or_b32_sdwa v37, v37, v47 dst_sel:DWORD dst_unused:UNUSED_PAD src0_sel:WORD_0 src1_sel:DWORD
	v_or_b32_sdwa v48, v44, v45 dst_sel:DWORD dst_unused:UNUSED_PAD src0_sel:BYTE_0 src1_sel:DWORD
	v_lshlrev_b16 v38, 8, v38
	v_cndmask_b32_e64 v46, 0, -1, s2
	v_cmp_ne_u16_sdwa s2, v39, v20 src0_sel:BYTE_3 src1_sel:DWORD
	s_waitcnt vmcnt(7)
	v_xor_b32_e32 v34, v34, v37
	v_lshlrev_b16 v37, 8, v44
	v_or_b32_sdwa v49, v12, v38 dst_sel:WORD_1 dst_unused:UNUSED_PAD src0_sel:BYTE_0 src1_sel:DWORD
	v_lshlrev_b16 v46, 8, v46
	v_cndmask_b32_e64 v39, 0, -1, s2
	v_lshlrev_b16 v12, 8, v12
	v_or_b32_sdwa v47, v48, v49 dst_sel:DWORD dst_unused:UNUSED_PAD src0_sel:WORD_0 src1_sel:DWORD
	v_lshrrev_b32_e32 v48, 16, v34
	v_and_b32_e32 v49, 0xffffff00, v34
	v_lshlrev_b16 v34, 8, v34
	v_lshlrev_b16 v39, 8, v39
	s_waitcnt vmcnt(6)
	v_xor_b32_e32 v33, v33, v47
	v_or_b32_sdwa v44, v41, v46 dst_sel:DWORD dst_unused:UNUSED_PAD src0_sel:BYTE_0 src1_sel:DWORD
	v_sub_nc_i16 v42, v49, v42 clamp
	v_sub_nc_i16 v34, v34, v43 clamp
	v_and_b32_e32 v43, 0xffffff00, v48
	v_lshlrev_b16 v48, 8, v48
	v_lshrrev_b32_e32 v50, 16, v33
	v_or_b32_sdwa v47, v40, v39 dst_sel:WORD_1 dst_unused:UNUSED_PAD src0_sel:BYTE_0 src1_sel:DWORD
	v_and_b32_e32 v51, 0xffffff00, v33
	v_sub_nc_i16 v35, v43, v35 clamp
	v_sub_nc_i16 v36, v48, v36 clamp
	v_lshlrev_b16 v33, 8, v33
	v_and_b32_e32 v49, 0xffffff00, v50
	v_perm_b32 v34, v34, v42, 0xc0c0105
	v_lshlrev_b16 v50, 8, v50
	v_perm_b32 v35, v36, v35, 0xc0c0105
	v_sub_nc_i16 v33, v33, v37 clamp
	v_sub_nc_i16 v37, v49, v38 clamp
	v_or_b32_sdwa v38, v44, v47 dst_sel:DWORD dst_unused:UNUSED_PAD src0_sel:WORD_0 src1_sel:DWORD
	v_and_b32_e32 v36, 0x80402010, v13
	v_lshl_or_b32 v34, v35, 16, v34
	v_bfe_u32 v35, v24, 14, 8
	v_sub_nc_i16 v45, v51, v45 clamp
	s_waitcnt vmcnt(5)
	v_xor_b32_e32 v32, v32, v38
	v_sub_nc_i16 v12, v50, v12 clamp
	v_cmp_ne_u16_sdwa s2, v36, v20 src0_sel:BYTE_1 src1_sel:DWORD
	v_bcnt_u32_b32 v38, v35, 0
	v_perm_b32 v33, v33, v45, 0xc0c0105
	v_lshrrev_b32_e32 v13, 22, v13
	v_perm_b32 v12, v12, v37, 0xc0c0105
	v_cndmask_b32_e64 v37, 0, -1, s2
	v_and_b32_e32 v38, 1, v38
	v_cmp_ne_u16_sdwa s2, v36, v20 src0_sel:BYTE_3 src1_sel:DWORD
	v_bfe_i32 v13, v13, 0, 1
	v_lshl_or_b32 v12, v12, 16, v33
	v_lshrrev_b16 v33, 4, v36
	v_lshlrev_b32_e32 v38, 7, v38
	v_cndmask_b32_e64 v36, 0, -1, s2
	v_lshlrev_b16 v37, 8, v37
	v_and_b32_e32 v43, 0xffffff00, v32
	v_bfe_i32 v33, v33, 0, 1
	v_xor_b32_e32 v35, v38, v35
	v_lshlrev_b16 v36, 8, v36
	v_lshlrev_b16 v47, 8, v32
	;; [unrolled: 1-line block ×3, first 2 shown]
	v_lshrrev_b32_e32 v32, 16, v32
	v_mul_lo_u32 v35, 0x1010101, v35
	v_mov_b32_e32 v42, 0
	v_or_b32_sdwa v44, v33, v37 dst_sel:DWORD dst_unused:UNUSED_PAD src0_sel:BYTE_0 src1_sel:DWORD
	v_or_b32_sdwa v45, v13, v36 dst_sel:WORD_1 dst_unused:UNUSED_PAD src0_sel:BYTE_0 src1_sel:DWORD
	v_sub_nc_i16 v38, v43, v46 clamp
	v_sub_nc_i16 v41, v47, v41 clamp
	v_and_b32_e32 v43, 0xffffff00, v32
	v_dot4c_i32_i8 v42, v34, v7
	v_or_b32_sdwa v44, v44, v45 dst_sel:DWORD dst_unused:UNUSED_PAD src0_sel:WORD_0 src1_sel:DWORD
	v_lshlrev_b16 v32, 8, v32
	v_perm_b32 v7, v41, v38, 0xc0c0105
	v_sub_nc_i16 v38, v43, v39 clamp
	v_and_b32_e32 v39, 0x8040201, v35
	s_waitcnt vmcnt(4)
	v_xor_b32_e32 v31, v31, v44
	v_lshlrev_b16 v40, 8, v40
	v_bfe_i32 v43, v35, 0, 1
	v_lshlrev_b16 v33, 8, v33
	v_cmp_ne_u16_sdwa s2, v39, v20 src0_sel:BYTE_1 src1_sel:DWORD
	v_and_b32_e32 v34, 0xffffff00, v31
	v_sub_nc_i16 v32, v32, v40 clamp
	v_lshrrev_b32_e32 v40, 16, v31
	v_lshlrev_b16 v31, 8, v31
	v_cndmask_b32_e64 v41, 0, -1, s2
	v_cmp_ne_u16_sdwa s2, v39, v20 src0_sel:BYTE_3 src1_sel:DWORD
	v_sub_nc_i16 v34, v34, v37 clamp
	v_lshrrev_b32_e32 v37, 18, v35
	v_and_b32_e32 v44, 0xffffff00, v40
	v_lshlrev_b16 v41, 8, v41
	v_cndmask_b32_e64 v39, 0, -1, s2
	v_lshlrev_b16 v40, 8, v40
	v_bfe_i32 v37, v37, 0, 1
	v_lshlrev_b16 v13, 8, v13
	v_or_b32_sdwa v45, v43, v41 dst_sel:DWORD dst_unused:UNUSED_PAD src0_sel:BYTE_0 src1_sel:DWORD
	v_lshlrev_b16 v39, 8, v39
	v_sub_nc_i16 v31, v31, v33 clamp
	v_sub_nc_i16 v33, v44, v36 clamp
	;; [unrolled: 1-line block ×3, first 2 shown]
	v_dot4c_i32_i8 v42, v12, v8
	v_or_b32_sdwa v46, v37, v39 dst_sel:WORD_1 dst_unused:UNUSED_PAD src0_sel:BYTE_0 src1_sel:DWORD
	v_perm_b32 v8, v31, v34, 0xc0c0105
	v_bfe_u32 v31, v24, 21, 8
	v_perm_b32 v12, v13, v33, 0xc0c0105
	v_perm_b32 v32, v32, v38, 0xc0c0105
	v_or_b32_sdwa v36, v45, v46 dst_sel:DWORD dst_unused:UNUSED_PAD src0_sel:WORD_0 src1_sel:DWORD
	v_lshlrev_b16 v38, 8, v43
	v_bcnt_u32_b32 v33, v31, 0
	v_lshl_or_b32 v8, v12, 16, v8
	v_lshl_or_b32 v7, v32, 16, v7
	s_waitcnt vmcnt(3)
	v_xor_b32_e32 v13, v30, v36
	v_and_b32_e32 v30, 0x80402010, v35
	v_and_b32_e32 v33, 1, v33
	v_dot4c_i32_i8 v42, v7, v9
	v_lshrrev_b32_e32 v9, 22, v35
	v_cmp_ne_u16_sdwa s2, v30, v20 src0_sel:BYTE_1 src1_sel:DWORD
	v_lshrrev_b16 v12, 4, v30
	v_lshlrev_b32_e32 v33, 7, v33
	v_lshrrev_b32_e32 v34, 16, v13
	v_bfe_i32 v9, v9, 0, 1
	v_cndmask_b32_e64 v32, 0, -1, s2
	v_cmp_ne_u16_sdwa s2, v30, v20 src0_sel:BYTE_3 src1_sel:DWORD
	v_bfe_i32 v12, v12, 0, 1
	v_xor_b32_e32 v31, v33, v31
	v_and_b32_e32 v7, 0xffffff00, v13
	v_lshlrev_b16 v32, 8, v32
	v_cndmask_b32_e64 v30, 0, -1, s2
	v_lshlrev_b16 v13, 8, v13
	v_mul_lo_u32 v31, 0x1010101, v31
	v_and_b32_e32 v40, 0xffffff00, v34
	v_or_b32_sdwa v35, v12, v32 dst_sel:DWORD dst_unused:UNUSED_PAD src0_sel:BYTE_0 src1_sel:DWORD
	v_lshlrev_b16 v30, 8, v30
	v_lshlrev_b16 v33, 8, v34
	;; [unrolled: 1-line block ×3, first 2 shown]
	v_dot4c_i32_i8 v42, v8, v2
	v_sub_nc_i16 v7, v7, v41 clamp
	v_or_b32_sdwa v36, v9, v30 dst_sel:WORD_1 dst_unused:UNUSED_PAD src0_sel:BYTE_0 src1_sel:DWORD
	v_and_b32_e32 v8, 0x8040201, v31
	v_sub_nc_i16 v13, v13, v38 clamp
	v_sub_nc_i16 v33, v33, v34 clamp
	v_lshlrev_b16 v12, 8, v12
	v_or_b32_sdwa v35, v35, v36 dst_sel:DWORD dst_unused:UNUSED_PAD src0_sel:WORD_0 src1_sel:DWORD
	v_cmp_ne_u16_sdwa s2, v8, v20 src0_sel:BYTE_1 src1_sel:DWORD
	v_perm_b32 v2, v13, v7, 0xc0c0105
	v_and_b32_e32 v36, 0x80402010, v31
	v_lshlrev_b16 v9, 8, v9
	s_waitcnt vmcnt(2)
	v_xor_b32_e32 v29, v29, v35
	v_sub_nc_i16 v35, v40, v39 clamp
	v_and_b32_e32 v34, 0xffffff00, v29
	v_perm_b32 v7, v33, v35, 0xc0c0105
	v_lshrrev_b32_e32 v33, 18, v31
	v_sub_nc_i16 v13, v34, v32 clamp
	v_cndmask_b32_e64 v34, 0, -1, s2
	v_cmp_ne_u16_sdwa s2, v8, v20 src0_sel:BYTE_3 src1_sel:DWORD
	v_lshlrev_b16 v32, 8, v29
	v_bfe_i32 v33, v33, 0, 1
	v_lshl_or_b32 v2, v7, 16, v2
	v_lshlrev_b16 v34, 8, v34
	v_cndmask_b32_e64 v8, 0, -1, s2
	v_sub_nc_i16 v12, v32, v12 clamp
	v_bfe_i32 v32, v31, 0, 1
	v_cmp_ne_u16_sdwa s2, v36, v20 src0_sel:BYTE_1 src1_sel:DWORD
	v_lshrrev_b32_e32 v29, 16, v29
	v_lshlrev_b16 v8, 8, v8
	v_perm_b32 v7, v12, v13, 0xc0c0105
	v_or_b32_sdwa v12, v32, v34 dst_sel:DWORD dst_unused:UNUSED_PAD src0_sel:BYTE_0 src1_sel:DWORD
	v_cndmask_b32_e64 v37, 0, -1, s2
	v_cmp_ne_u16_sdwa s2, v36, v20 src0_sel:BYTE_3 src1_sel:DWORD
	v_or_b32_sdwa v13, v33, v8 dst_sel:WORD_1 dst_unused:UNUSED_PAD src0_sel:BYTE_0 src1_sel:DWORD
	v_and_b32_e32 v35, 0xffffff00, v29
	v_lshlrev_b16 v29, 8, v29
	v_lshlrev_b16 v32, 8, v32
	v_dot4c_i32_i8 v42, v2, v3
	v_or_b32_sdwa v12, v12, v13 dst_sel:DWORD dst_unused:UNUSED_PAD src0_sel:WORD_0 src1_sel:DWORD
	v_lshrrev_b32_e32 v13, 22, v31
	v_lshrrev_b16 v31, 4, v36
	v_cndmask_b32_e64 v36, 0, -1, s2
	v_sub_nc_i16 v30, v35, v30 clamp
	s_waitcnt vmcnt(1)
	v_xor_b32_e32 v12, v28, v12
	v_bfe_i32 v13, v13, 0, 1
	v_bfe_i32 v28, v31, 0, 1
	v_lshlrev_b16 v31, 8, v37
	v_lshlrev_b16 v36, 8, v36
	v_sub_nc_i16 v9, v29, v9 clamp
	v_and_b32_e32 v29, 0xffffff00, v12
	v_lshlrev_b16 v38, 8, v12
	v_or_b32_sdwa v35, v28, v31 dst_sel:DWORD dst_unused:UNUSED_PAD src0_sel:BYTE_0 src1_sel:DWORD
	v_or_b32_sdwa v37, v13, v36 dst_sel:WORD_1 dst_unused:UNUSED_PAD src0_sel:BYTE_0 src1_sel:DWORD
	v_lshrrev_b32_e32 v12, 16, v12
	v_perm_b32 v9, v9, v30, 0xc0c0105
	v_sub_nc_i16 v29, v29, v34 clamp
	v_sub_nc_i16 v32, v38, v32 clamp
	v_or_b32_sdwa v30, v35, v37 dst_sel:DWORD dst_unused:UNUSED_PAD src0_sel:WORD_0 src1_sel:DWORD
	v_and_b32_e32 v34, 0xffffff00, v12
	v_lshl_or_b32 v7, v9, 16, v7
	v_lshlrev_b16 v28, 8, v28
	v_perm_b32 v2, v32, v29, 0xc0c0105
	s_waitcnt vmcnt(0)
	v_xor_b32_e32 v9, v27, v30
	v_sub_nc_i16 v3, v34, v8 clamp
	v_lshlrev_b16 v8, 8, v12
	v_lshlrev_b16 v27, 8, v33
	;; [unrolled: 1-line block ×3, first 2 shown]
	v_lshrrev_b32_e32 v12, 16, v9
	v_and_b32_e32 v29, 0xffffff00, v9
	v_lshlrev_b16 v9, 8, v9
	v_sub_nc_i16 v8, v8, v27 clamp
	v_dot4c_i32_i8 v42, v7, v4
	v_and_b32_e32 v30, 0xffffff00, v12
	v_lshlrev_b16 v12, 8, v12
	v_sub_nc_i16 v27, v29, v31 clamp
	v_sub_nc_i16 v9, v9, v28 clamp
	v_perm_b32 v3, v8, v3, 0xc0c0105
	v_sub_nc_i16 v28, v30, v36 clamp
	v_sub_nc_i16 v12, v12, v13 clamp
	v_add_co_u32 v10, s2, 0x480, v10
	v_perm_b32 v4, v9, v27, 0xc0c0105
	v_lshl_or_b32 v2, v3, 16, v2
	v_perm_b32 v7, v12, v28, 0xc0c0105
	v_add_co_ci_u32_e64 v11, null, 0, v11, s2
	v_dot4c_i32_i8 v42, v2, v5
	v_lshl_or_b32 v3, v7, 16, v4
	v_dot4c_i32_i8 v42, v3, v25
	v_lshrrev_b32_e32 v3, 28, v24
	v_lshrrev_b32_e32 v2, 31, v42
	v_add_nc_u32_e32 v2, v42, v2
	v_ashrrev_i32_e32 v2, 1, v2
	v_mad_u64_u32 v[2:3], null, v42, v3, v[2:3]
	v_lshrrev_b32_e32 v3, 31, v2
	v_add_nc_u32_e32 v2, v2, v3
	v_cvt_f32_f16_e32 v3, v26
	v_ashrrev_i32_e32 v2, 1, v2
	v_mul_f32_e32 v3, v3, v6
	v_cvt_f32_i32_e32 v2, v2
	v_fmac_f32_e32 v19, v3, v2
	s_andn2_b32 exec_lo, exec_lo, s14
	s_cbranch_execz .LBB195_16
.LBB195_14:                             ; =>This Inner Loop Header: Depth=1
	v_add_nc_u32_e32 v12, s15, v18
	s_getpc_b64 s[2:3]
	s_add_u32 s2, s2, _ZL11iq3xxs_grid@rel32@lo+4
	s_addc_u32 s3, s3, _ZL11iq3xxs_grid@rel32@hi+12
	v_mad_i64_i32 v[26:27], null, 0x62, v12, s[12:13]
	v_add_co_u32 v2, vcc_lo, v26, v23
	v_add_co_ci_u32_e64 v3, null, 0, v27, vcc_lo
	v_add_co_u32 v30, vcc_lo, v26, v22
	v_add_co_ci_u32_e64 v31, null, 0, v27, vcc_lo
	global_load_dwordx2 v[28:29], v[2:3], off offset:2
	s_clause 0x2
	global_load_dwordx4 v[6:9], v[10:11], off offset:-32
	global_load_dwordx4 v[2:5], v[10:11], off offset:-16
	global_load_dword v25, v[10:11], off
	s_clause 0x1
	global_load_dword v24, v[30:31], off offset:66
	global_load_ushort v26, v[26:27], off
	s_andn2_b32 vcc_lo, exec_lo, s9
	s_waitcnt vmcnt(4)
	v_cvt_f32_f16_e32 v6, v6
	v_lshlrev_b32_sdwa v13, v21, v28 dst_sel:DWORD dst_unused:UNUSED_PAD src0_sel:DWORD src1_sel:BYTE_0
	v_lshlrev_b32_sdwa v27, v21, v28 dst_sel:DWORD dst_unused:UNUSED_PAD src0_sel:DWORD src1_sel:BYTE_1
	v_lshlrev_b32_sdwa v30, v21, v28 dst_sel:DWORD dst_unused:UNUSED_PAD src0_sel:DWORD src1_sel:BYTE_2
	v_lshlrev_b32_sdwa v28, v21, v28 dst_sel:DWORD dst_unused:UNUSED_PAD src0_sel:DWORD src1_sel:BYTE_3
	v_lshlrev_b32_sdwa v35, v21, v29 dst_sel:DWORD dst_unused:UNUSED_PAD src0_sel:DWORD src1_sel:BYTE_0
	v_lshlrev_b32_sdwa v36, v21, v29 dst_sel:DWORD dst_unused:UNUSED_PAD src0_sel:DWORD src1_sel:BYTE_1
	v_lshlrev_b32_sdwa v37, v21, v29 dst_sel:DWORD dst_unused:UNUSED_PAD src0_sel:DWORD src1_sel:BYTE_2
	v_lshlrev_b32_sdwa v38, v21, v29 dst_sel:DWORD dst_unused:UNUSED_PAD src0_sel:DWORD src1_sel:BYTE_3
	s_clause 0x7
	global_load_dword v34, v13, s[2:3]
	global_load_dword v33, v27, s[2:3]
	;; [unrolled: 1-line block ×8, first 2 shown]
	s_cbranch_vccnz .LBB195_13
; %bb.15:                               ;   in Loop: Header=BB195_14 Depth=1
	v_mad_i64_i32 v[12:13], null, 0x62, v12, s[28:29]
	v_add_co_u32 v35, vcc_lo, v12, v22
	v_add_co_ci_u32_e64 v36, null, 0, v13, vcc_lo
	v_add_co_u32 v37, vcc_lo, v12, v23
	v_add_co_ci_u32_e64 v38, null, 0, v13, vcc_lo
	s_clause 0x2
	global_load_dwordx2 v[37:38], v[37:38], off offset:2
	global_load_dword v35, v[35:36], off offset:66
	global_load_ushort v12, v[12:13], off
	s_waitcnt vmcnt(2)
	v_lshlrev_b32_sdwa v36, v21, v37 dst_sel:DWORD dst_unused:UNUSED_PAD src0_sel:DWORD src1_sel:BYTE_0
	v_lshlrev_b32_sdwa v39, v21, v37 dst_sel:DWORD dst_unused:UNUSED_PAD src0_sel:DWORD src1_sel:BYTE_1
	s_waitcnt vmcnt(1)
	v_and_b32_e32 v40, 0xff, v35
	s_waitcnt vmcnt(0)
	v_cvt_f32_f16_e32 v12, v12
	s_clause 0x1
	global_load_dword v36, v36, s[2:3]
	global_load_dword v39, v39, s[2:3]
	v_bcnt_u32_b32 v41, v40, 0
	v_mul_f32_e32 v12, v6, v12
	v_and_b32_e32 v41, 1, v41
	v_lshlrev_b32_e32 v41, 7, v41
	v_xor_b32_e32 v40, v41, v40
	v_mul_lo_u32 v40, 0x1010101, v40
	v_and_b32_e32 v41, 0x8040201, v40
	v_lshrrev_b32_e32 v42, 18, v40
	v_cmp_ne_u16_sdwa s16, v41, v20 src0_sel:BYTE_3 src1_sel:DWORD
	v_cmp_ne_u16_sdwa s17, v41, v20 src0_sel:BYTE_1 src1_sel:DWORD
	v_bfe_i32 v41, v40, 0, 1
	v_bfe_i32 v42, v42, 0, 1
	v_cndmask_b32_e64 v45, 0, -1, s16
	v_cndmask_b32_e64 v43, 0, -1, s17
	v_lshlrev_b16 v45, 8, v45
	v_lshlrev_b16 v43, 8, v43
	v_or_b32_sdwa v46, v42, v45 dst_sel:WORD_1 dst_unused:UNUSED_PAD src0_sel:BYTE_0 src1_sel:DWORD
	v_or_b32_sdwa v44, v41, v43 dst_sel:DWORD dst_unused:UNUSED_PAD src0_sel:BYTE_0 src1_sel:DWORD
	v_lshlrev_b16 v41, 8, v41
	v_lshlrev_b16 v42, 8, v42
	v_or_b32_sdwa v44, v44, v46 dst_sel:DWORD dst_unused:UNUSED_PAD src0_sel:WORD_0 src1_sel:DWORD
	s_waitcnt vmcnt(1)
	v_xor_b32_e32 v36, v36, v44
	v_lshrrev_b32_e32 v44, 16, v36
	v_and_b32_e32 v46, 0xffffff00, v36
	v_lshlrev_b16 v36, 8, v36
	v_sub_nc_i16 v43, v46, v43 clamp
	v_sub_nc_i16 v36, v36, v41 clamp
	v_and_b32_e32 v41, 0xffffff00, v44
	v_perm_b32 v36, v36, v43, 0xc0c0105
	v_lshlrev_b16 v43, 8, v44
	v_sub_nc_i16 v41, v41, v45 clamp
	v_sub_nc_i16 v42, v43, v42 clamp
	v_perm_b32 v41, v42, v41, 0xc0c0105
	v_lshl_or_b32 v36, v41, 16, v36
	v_and_b32_e32 v41, 0x80402010, v40
	v_lshrrev_b32_e32 v40, 22, v40
	v_cmp_ne_u16_sdwa s16, v41, v20 src0_sel:BYTE_3 src1_sel:DWORD
	v_cmp_ne_u16_sdwa s17, v41, v20 src0_sel:BYTE_1 src1_sel:DWORD
	v_lshrrev_b16 v41, 4, v41
	v_bfe_i32 v40, v40, 0, 1
	v_cndmask_b32_e64 v44, 0, -1, s16
	v_cndmask_b32_e64 v42, 0, -1, s17
	v_bfe_i32 v41, v41, 0, 1
	v_lshlrev_b16 v44, 8, v44
	v_lshlrev_b16 v42, 8, v42
	v_or_b32_sdwa v45, v40, v44 dst_sel:WORD_1 dst_unused:UNUSED_PAD src0_sel:BYTE_0 src1_sel:DWORD
	v_or_b32_sdwa v43, v41, v42 dst_sel:DWORD dst_unused:UNUSED_PAD src0_sel:BYTE_0 src1_sel:DWORD
	v_lshlrev_b16 v41, 8, v41
	v_lshlrev_b16 v40, 8, v40
	v_or_b32_sdwa v43, v43, v45 dst_sel:DWORD dst_unused:UNUSED_PAD src0_sel:WORD_0 src1_sel:DWORD
	s_waitcnt vmcnt(0)
	v_xor_b32_e32 v39, v39, v43
	v_lshrrev_b32_e32 v43, 16, v39
	v_and_b32_e32 v45, 0xffffff00, v39
	v_lshlrev_b16 v39, 8, v39
	v_sub_nc_i16 v42, v45, v42 clamp
	v_sub_nc_i16 v39, v39, v41 clamp
	v_and_b32_e32 v41, 0xffffff00, v43
	v_perm_b32 v39, v39, v42, 0xc0c0105
	v_lshlrev_b16 v42, 8, v43
	v_sub_nc_i16 v41, v41, v44 clamp
	v_sub_nc_i16 v40, v42, v40 clamp
	v_perm_b32 v40, v40, v41, 0xc0c0105
	v_lshl_or_b32 v39, v40, 16, v39
	v_mov_b32_e32 v40, 0
	v_dot4c_i32_i8 v40, v36, v7
	v_lshlrev_b32_sdwa v36, v21, v37 dst_sel:DWORD dst_unused:UNUSED_PAD src0_sel:DWORD src1_sel:BYTE_2
	v_lshlrev_b32_sdwa v37, v21, v37 dst_sel:DWORD dst_unused:UNUSED_PAD src0_sel:DWORD src1_sel:BYTE_3
	v_dot4c_i32_i8 v40, v39, v8
	s_clause 0x1
	global_load_dword v36, v36, s[2:3]
	global_load_dword v37, v37, s[2:3]
	v_bfe_u32 v39, v35, 7, 8
	v_bcnt_u32_b32 v41, v39, 0
	v_and_b32_e32 v41, 1, v41
	v_lshlrev_b32_e32 v41, 7, v41
	v_xor_b32_e32 v39, v41, v39
	v_mul_lo_u32 v39, 0x1010101, v39
	v_and_b32_e32 v41, 0x8040201, v39
	v_lshrrev_b32_e32 v42, 18, v39
	v_cmp_ne_u16_sdwa s16, v41, v20 src0_sel:BYTE_3 src1_sel:DWORD
	v_cmp_ne_u16_sdwa s17, v41, v20 src0_sel:BYTE_1 src1_sel:DWORD
	v_bfe_i32 v41, v39, 0, 1
	v_bfe_i32 v42, v42, 0, 1
	v_cndmask_b32_e64 v45, 0, -1, s16
	v_cndmask_b32_e64 v43, 0, -1, s17
	v_lshlrev_b16 v45, 8, v45
	v_lshlrev_b16 v43, 8, v43
	v_or_b32_sdwa v46, v42, v45 dst_sel:WORD_1 dst_unused:UNUSED_PAD src0_sel:BYTE_0 src1_sel:DWORD
	v_or_b32_sdwa v44, v41, v43 dst_sel:DWORD dst_unused:UNUSED_PAD src0_sel:BYTE_0 src1_sel:DWORD
	v_lshlrev_b16 v41, 8, v41
	v_lshlrev_b16 v42, 8, v42
	v_or_b32_sdwa v44, v44, v46 dst_sel:DWORD dst_unused:UNUSED_PAD src0_sel:WORD_0 src1_sel:DWORD
	s_waitcnt vmcnt(1)
	v_xor_b32_e32 v36, v36, v44
	v_lshrrev_b32_e32 v44, 16, v36
	v_and_b32_e32 v46, 0xffffff00, v36
	v_lshlrev_b16 v36, 8, v36
	v_sub_nc_i16 v43, v46, v43 clamp
	v_sub_nc_i16 v36, v36, v41 clamp
	v_and_b32_e32 v41, 0xffffff00, v44
	v_perm_b32 v36, v36, v43, 0xc0c0105
	v_lshlrev_b16 v43, 8, v44
	v_sub_nc_i16 v41, v41, v45 clamp
	v_sub_nc_i16 v42, v43, v42 clamp
	v_perm_b32 v41, v42, v41, 0xc0c0105
	v_lshl_or_b32 v36, v41, 16, v36
	v_and_b32_e32 v41, 0x80402010, v39
	v_lshrrev_b32_e32 v39, 22, v39
	v_dot4c_i32_i8 v40, v36, v9
	v_cmp_ne_u16_sdwa s16, v41, v20 src0_sel:BYTE_3 src1_sel:DWORD
	v_cmp_ne_u16_sdwa s17, v41, v20 src0_sel:BYTE_1 src1_sel:DWORD
	v_lshlrev_b32_sdwa v36, v21, v38 dst_sel:DWORD dst_unused:UNUSED_PAD src0_sel:DWORD src1_sel:BYTE_0
	v_lshrrev_b16 v41, 4, v41
	v_bfe_i32 v39, v39, 0, 1
	v_cndmask_b32_e64 v44, 0, -1, s16
	v_cndmask_b32_e64 v42, 0, -1, s17
	global_load_dword v36, v36, s[2:3]
	v_bfe_i32 v41, v41, 0, 1
	v_lshlrev_b16 v44, 8, v44
	v_lshlrev_b16 v42, 8, v42
	v_or_b32_sdwa v45, v39, v44 dst_sel:WORD_1 dst_unused:UNUSED_PAD src0_sel:BYTE_0 src1_sel:DWORD
	v_or_b32_sdwa v43, v41, v42 dst_sel:DWORD dst_unused:UNUSED_PAD src0_sel:BYTE_0 src1_sel:DWORD
	v_lshlrev_b16 v41, 8, v41
	v_lshlrev_b16 v39, 8, v39
	v_or_b32_sdwa v43, v43, v45 dst_sel:DWORD dst_unused:UNUSED_PAD src0_sel:WORD_0 src1_sel:DWORD
	s_waitcnt vmcnt(1)
	v_xor_b32_e32 v37, v37, v43
	v_lshrrev_b32_e32 v43, 16, v37
	v_and_b32_e32 v45, 0xffffff00, v37
	v_lshlrev_b16 v37, 8, v37
	v_sub_nc_i16 v42, v45, v42 clamp
	v_sub_nc_i16 v37, v37, v41 clamp
	v_and_b32_e32 v41, 0xffffff00, v43
	v_perm_b32 v37, v37, v42, 0xc0c0105
	v_lshlrev_b16 v42, 8, v43
	v_sub_nc_i16 v41, v41, v44 clamp
	v_sub_nc_i16 v39, v42, v39 clamp
	v_perm_b32 v39, v39, v41, 0xc0c0105
	v_lshl_or_b32 v37, v39, 16, v37
	v_bfe_u32 v39, v35, 14, 8
	v_dot4c_i32_i8 v40, v37, v2
	v_lshlrev_b32_sdwa v37, v21, v38 dst_sel:DWORD dst_unused:UNUSED_PAD src0_sel:DWORD src1_sel:BYTE_1
	v_bcnt_u32_b32 v41, v39, 0
	global_load_dword v37, v37, s[2:3]
	v_and_b32_e32 v41, 1, v41
	v_lshlrev_b32_e32 v41, 7, v41
	v_xor_b32_e32 v39, v41, v39
	v_mul_lo_u32 v39, 0x1010101, v39
	v_and_b32_e32 v41, 0x8040201, v39
	v_lshrrev_b32_e32 v42, 18, v39
	v_cmp_ne_u16_sdwa s16, v41, v20 src0_sel:BYTE_3 src1_sel:DWORD
	v_cmp_ne_u16_sdwa s17, v41, v20 src0_sel:BYTE_1 src1_sel:DWORD
	v_bfe_i32 v41, v39, 0, 1
	v_bfe_i32 v42, v42, 0, 1
	v_cndmask_b32_e64 v45, 0, -1, s16
	v_cndmask_b32_e64 v43, 0, -1, s17
	v_lshlrev_b16 v45, 8, v45
	v_lshlrev_b16 v43, 8, v43
	v_or_b32_sdwa v46, v42, v45 dst_sel:WORD_1 dst_unused:UNUSED_PAD src0_sel:BYTE_0 src1_sel:DWORD
	v_or_b32_sdwa v44, v41, v43 dst_sel:DWORD dst_unused:UNUSED_PAD src0_sel:BYTE_0 src1_sel:DWORD
	v_lshlrev_b16 v41, 8, v41
	v_lshlrev_b16 v42, 8, v42
	v_or_b32_sdwa v44, v44, v46 dst_sel:DWORD dst_unused:UNUSED_PAD src0_sel:WORD_0 src1_sel:DWORD
	s_waitcnt vmcnt(1)
	v_xor_b32_e32 v36, v36, v44
	v_lshrrev_b32_e32 v44, 16, v36
	v_and_b32_e32 v46, 0xffffff00, v36
	v_lshlrev_b16 v36, 8, v36
	v_sub_nc_i16 v43, v46, v43 clamp
	v_sub_nc_i16 v36, v36, v41 clamp
	v_and_b32_e32 v41, 0xffffff00, v44
	v_perm_b32 v36, v36, v43, 0xc0c0105
	v_lshlrev_b16 v43, 8, v44
	v_sub_nc_i16 v41, v41, v45 clamp
	v_sub_nc_i16 v42, v43, v42 clamp
	v_perm_b32 v41, v42, v41, 0xc0c0105
	v_lshl_or_b32 v36, v41, 16, v36
	v_and_b32_e32 v41, 0x80402010, v39
	v_lshrrev_b32_e32 v39, 22, v39
	v_dot4c_i32_i8 v40, v36, v3
	v_cmp_ne_u16_sdwa s16, v41, v20 src0_sel:BYTE_3 src1_sel:DWORD
	v_cmp_ne_u16_sdwa s17, v41, v20 src0_sel:BYTE_1 src1_sel:DWORD
	v_lshlrev_b32_sdwa v36, v21, v38 dst_sel:DWORD dst_unused:UNUSED_PAD src0_sel:DWORD src1_sel:BYTE_2
	v_lshrrev_b16 v41, 4, v41
	v_bfe_i32 v39, v39, 0, 1
	v_cndmask_b32_e64 v44, 0, -1, s16
	v_cndmask_b32_e64 v42, 0, -1, s17
	global_load_dword v36, v36, s[2:3]
	v_bfe_i32 v41, v41, 0, 1
	v_lshlrev_b16 v44, 8, v44
	v_lshlrev_b16 v42, 8, v42
	v_or_b32_sdwa v45, v39, v44 dst_sel:WORD_1 dst_unused:UNUSED_PAD src0_sel:BYTE_0 src1_sel:DWORD
	v_or_b32_sdwa v43, v41, v42 dst_sel:DWORD dst_unused:UNUSED_PAD src0_sel:BYTE_0 src1_sel:DWORD
	v_lshlrev_b16 v41, 8, v41
	v_lshlrev_b16 v39, 8, v39
	v_or_b32_sdwa v43, v43, v45 dst_sel:DWORD dst_unused:UNUSED_PAD src0_sel:WORD_0 src1_sel:DWORD
	s_waitcnt vmcnt(1)
	v_xor_b32_e32 v37, v37, v43
	v_lshrrev_b32_e32 v43, 16, v37
	v_and_b32_e32 v45, 0xffffff00, v37
	v_lshlrev_b16 v37, 8, v37
	v_sub_nc_i16 v42, v45, v42 clamp
	v_sub_nc_i16 v37, v37, v41 clamp
	v_and_b32_e32 v41, 0xffffff00, v43
	v_perm_b32 v37, v37, v42, 0xc0c0105
	v_lshlrev_b16 v42, 8, v43
	v_sub_nc_i16 v41, v41, v44 clamp
	v_sub_nc_i16 v39, v42, v39 clamp
	v_perm_b32 v39, v39, v41, 0xc0c0105
	v_lshl_or_b32 v37, v39, 16, v37
	v_dot4c_i32_i8 v40, v37, v4
	v_lshlrev_b32_sdwa v37, v21, v38 dst_sel:DWORD dst_unused:UNUSED_PAD src0_sel:DWORD src1_sel:BYTE_3
	v_bfe_u32 v38, v35, 21, 8
	global_load_dword v37, v37, s[2:3]
	v_bcnt_u32_b32 v39, v38, 0
	v_and_b32_e32 v39, 1, v39
	v_lshlrev_b32_e32 v39, 7, v39
	v_xor_b32_e32 v38, v39, v38
	v_mul_lo_u32 v38, 0x1010101, v38
	v_and_b32_e32 v39, 0x8040201, v38
	v_lshrrev_b32_e32 v41, 18, v38
	v_cmp_ne_u16_sdwa s2, v39, v20 src0_sel:BYTE_3 src1_sel:DWORD
	v_cmp_ne_u16_sdwa s3, v39, v20 src0_sel:BYTE_1 src1_sel:DWORD
	v_bfe_i32 v39, v38, 0, 1
	v_bfe_i32 v41, v41, 0, 1
	v_cndmask_b32_e64 v44, 0, -1, s2
	v_cndmask_b32_e64 v42, 0, -1, s3
	v_lshlrev_b16 v44, 8, v44
	v_lshlrev_b16 v42, 8, v42
	v_or_b32_sdwa v45, v41, v44 dst_sel:WORD_1 dst_unused:UNUSED_PAD src0_sel:BYTE_0 src1_sel:DWORD
	v_or_b32_sdwa v43, v39, v42 dst_sel:DWORD dst_unused:UNUSED_PAD src0_sel:BYTE_0 src1_sel:DWORD
	v_lshlrev_b16 v39, 8, v39
	v_lshlrev_b16 v41, 8, v41
	v_or_b32_sdwa v43, v43, v45 dst_sel:DWORD dst_unused:UNUSED_PAD src0_sel:WORD_0 src1_sel:DWORD
	s_waitcnt vmcnt(1)
	v_xor_b32_e32 v36, v36, v43
	v_lshrrev_b32_e32 v43, 16, v36
	v_and_b32_e32 v45, 0xffffff00, v36
	v_lshlrev_b16 v36, 8, v36
	v_sub_nc_i16 v42, v45, v42 clamp
	v_sub_nc_i16 v36, v36, v39 clamp
	v_and_b32_e32 v39, 0xffffff00, v43
	v_perm_b32 v36, v36, v42, 0xc0c0105
	v_lshlrev_b16 v42, 8, v43
	v_sub_nc_i16 v39, v39, v44 clamp
	v_sub_nc_i16 v41, v42, v41 clamp
	v_perm_b32 v39, v41, v39, 0xc0c0105
	v_lshl_or_b32 v36, v39, 16, v36
	v_and_b32_e32 v39, 0x80402010, v38
	v_lshrrev_b32_e32 v38, 22, v38
	v_dot4c_i32_i8 v40, v36, v5
	v_cmp_ne_u16_sdwa s2, v39, v20 src0_sel:BYTE_3 src1_sel:DWORD
	v_cmp_ne_u16_sdwa s3, v39, v20 src0_sel:BYTE_1 src1_sel:DWORD
	v_lshrrev_b16 v39, 4, v39
	v_bfe_i32 v38, v38, 0, 1
	v_lshrrev_b32_e32 v36, 28, v35
	v_cndmask_b32_e64 v43, 0, -1, s2
	v_cndmask_b32_e64 v41, 0, -1, s3
	v_bfe_i32 v39, v39, 0, 1
	v_lshlrev_b16 v43, 8, v43
	v_lshlrev_b16 v41, 8, v41
	v_or_b32_sdwa v44, v38, v43 dst_sel:WORD_1 dst_unused:UNUSED_PAD src0_sel:BYTE_0 src1_sel:DWORD
	v_or_b32_sdwa v42, v39, v41 dst_sel:DWORD dst_unused:UNUSED_PAD src0_sel:BYTE_0 src1_sel:DWORD
	v_lshlrev_b16 v39, 8, v39
	v_lshlrev_b16 v38, 8, v38
	v_or_b32_sdwa v42, v42, v44 dst_sel:DWORD dst_unused:UNUSED_PAD src0_sel:WORD_0 src1_sel:DWORD
	s_waitcnt vmcnt(0)
	v_xor_b32_e32 v37, v37, v42
	v_lshrrev_b32_e32 v42, 16, v37
	v_and_b32_e32 v44, 0xffffff00, v37
	v_lshlrev_b16 v37, 8, v37
	v_sub_nc_i16 v41, v44, v41 clamp
	v_sub_nc_i16 v37, v37, v39 clamp
	v_and_b32_e32 v39, 0xffffff00, v42
	v_perm_b32 v37, v37, v41, 0xc0c0105
	v_lshlrev_b16 v41, 8, v42
	v_sub_nc_i16 v39, v39, v43 clamp
	v_sub_nc_i16 v38, v41, v38 clamp
	v_perm_b32 v38, v38, v39, 0xc0c0105
	v_lshl_or_b32 v37, v38, 16, v37
	v_dot4c_i32_i8 v40, v37, v25
	v_lshrrev_b32_e32 v35, 31, v40
	v_add_nc_u32_e32 v35, v40, v35
	v_ashrrev_i32_e32 v35, 1, v35
	v_mad_u64_u32 v[35:36], null, v40, v36, v[35:36]
	v_lshrrev_b32_e32 v36, 31, v35
	v_add_nc_u32_e32 v35, v35, v36
	v_ashrrev_i32_e32 v35, 1, v35
	v_cvt_f32_i32_e32 v13, v35
	v_fmac_f32_e32 v17, v12, v13
	s_branch .LBB195_13
.LBB195_16:
	s_or_b32 exec_lo, exec_lo, s14
.LBB195_17:
	s_or_b32 exec_lo, exec_lo, s11
	s_load_dword s2, s[4:5], 0x30
	s_waitcnt vmcnt(0) lgkmcnt(0)
	; wave barrier
	buffer_gl0_inv
	s_mov_b32 s3, exec_lo
	v_cmpx_eq_u32_e32 0, v1
	s_cbranch_execz .LBB195_44
; %bb.18:
	v_mbcnt_lo_u32_b32 v2, -1, 0
	v_xor_b32_e32 v1, 16, v2
	v_xor_b32_e32 v4, 8, v2
	;; [unrolled: 1-line block ×3, first 2 shown]
	v_cmp_gt_i32_e32 vcc_lo, 32, v1
	v_cndmask_b32_e32 v1, v2, v1, vcc_lo
	v_cmp_gt_i32_e32 vcc_lo, 32, v4
	v_lshlrev_b32_e32 v1, 2, v1
	v_cndmask_b32_e32 v4, v2, v4, vcc_lo
	v_cmp_gt_i32_e32 vcc_lo, 32, v5
	ds_bpermute_b32 v3, v1, v19
	v_lshlrev_b32_e32 v4, 2, v4
	v_cndmask_b32_e32 v5, v2, v5, vcc_lo
	v_lshlrev_b32_e32 v5, 2, v5
	s_waitcnt lgkmcnt(0)
	v_add_f32_e32 v3, v19, v3
	ds_bpermute_b32 v6, v4, v3
	s_waitcnt lgkmcnt(0)
	v_add_f32_e32 v3, v3, v6
	v_xor_b32_e32 v6, 2, v2
	ds_bpermute_b32 v7, v5, v3
	v_cmp_gt_i32_e32 vcc_lo, 32, v6
	v_cndmask_b32_e32 v6, v2, v6, vcc_lo
	v_lshlrev_b32_e32 v6, 2, v6
	s_waitcnt lgkmcnt(0)
	v_add_f32_e32 v3, v3, v7
	v_xor_b32_e32 v7, 1, v2
	ds_bpermute_b32 v8, v6, v3
	v_cmp_gt_i32_e32 vcc_lo, 32, v7
	v_cndmask_b32_e32 v2, v2, v7, vcc_lo
	v_cmp_ne_u32_e32 vcc_lo, 1, v16
	v_lshlrev_b32_e32 v7, 2, v2
	s_waitcnt lgkmcnt(0)
	v_add_f32_e32 v2, v3, v8
	ds_bpermute_b32 v3, v7, v2
	s_cbranch_vccnz .LBB195_20
; %bb.19:
	ds_bpermute_b32 v1, v1, v17
	s_waitcnt lgkmcnt(0)
	v_add_f32_e32 v1, v17, v1
	ds_bpermute_b32 v4, v4, v1
	s_waitcnt lgkmcnt(0)
	v_add_f32_e32 v1, v1, v4
	ds_bpermute_b32 v4, v5, v1
	s_waitcnt lgkmcnt(0)
	v_add_f32_e32 v1, v1, v4
	ds_bpermute_b32 v4, v6, v1
	s_waitcnt lgkmcnt(0)
	v_add_f32_e32 v1, v1, v4
	ds_bpermute_b32 v4, v7, v1
	s_waitcnt lgkmcnt(0)
	v_add_f32_e32 v17, v1, v4
.LBB195_20:
	v_cmp_eq_u32_e32 vcc_lo, 0, v0
	s_and_b32 exec_lo, exec_lo, vcc_lo
	s_cbranch_execz .LBB195_44
; %bb.21:
	s_waitcnt lgkmcnt(0)
	v_add_f32_e32 v1, v2, v3
	v_cmp_ne_u32_e32 vcc_lo, 1, v16
	v_add_f32_e32 v2, v15, v1
	v_cndmask_b32_e64 v1, v1, v2, s0
	s_cbranch_vccnz .LBB195_43
; %bb.22:
	v_add_f32_e32 v2, v14, v17
	s_cmp_lt_i32 s2, 2
	s_mov_b32 s0, 0
	v_cndmask_b32_e64 v2, v17, v2, s1
	s_cbranch_scc1 .LBB195_26
; %bb.23:
	s_cmp_gt_i32 s2, 2
	s_cbranch_scc0 .LBB195_27
; %bb.24:
	s_cmp_eq_u32 s2, 3
	s_cbranch_scc0 .LBB195_28
; %bb.25:
	v_max_f32_e32 v3, v2, v2
	s_mov_b32 s1, 0
	v_min_f32_e32 v3, 0x40e00000, v3
	v_mul_f32_e32 v4, 0xbfd9db23, v3
	v_mul_f32_e32 v5, 0x3fb8aa3b, v4
	v_cmp_ngt_f32_e32 vcc_lo, 0xc2ce8ed0, v4
	v_fma_f32 v6, 0x3fb8aa3b, v4, -v5
	v_rndne_f32_e32 v7, v5
	v_fmamk_f32 v6, v4, 0x32a5705f, v6
	v_sub_f32_e32 v5, v5, v7
	v_add_f32_e32 v5, v5, v6
	v_cvt_i32_f32_e32 v6, v7
	v_exp_f32_e32 v5, v5
	v_ldexp_f32 v5, v5, v6
	v_cndmask_b32_e32 v5, 0, v5, vcc_lo
	v_cmp_nlt_f32_e32 vcc_lo, 0x42b17218, v4
	v_cndmask_b32_e32 v4, 0x7f800000, v5, vcc_lo
	v_add_f32_e32 v4, 1.0, v4
	v_div_scale_f32 v5, null, v4, v4, v3
	v_div_scale_f32 v8, vcc_lo, v3, v4, v3
	v_rcp_f32_e32 v6, v5
	v_fma_f32 v7, -v5, v6, 1.0
	v_fmac_f32_e32 v6, v7, v6
	v_mul_f32_e32 v7, v8, v6
	v_fma_f32 v9, -v5, v7, v8
	v_fmac_f32_e32 v7, v9, v6
	v_max_f32_e32 v9, v1, v1
	v_fma_f32 v5, -v5, v7, v8
	v_min_f32_e32 v8, 0x40e00000, v9
	v_div_fmas_f32 v5, v5, v6, v7
	v_max_f32_e32 v6, 0xc0e00000, v8
	v_div_fixup_f32 v3, v5, v4, v3
	v_add_f32_e32 v4, 1.0, v6
	v_mul_f32_e32 v3, v4, v3
	s_branch .LBB195_29
.LBB195_26:
	s_mov_b32 s1, 0
                                        ; implicit-def: $vgpr3
	s_cbranch_execnz .LBB195_33
	s_branch .LBB195_34
.LBB195_27:
	s_mov_b32 s3, -1
	s_mov_b32 s1, 0
                                        ; implicit-def: $vgpr3
	s_branch .LBB195_30
.LBB195_28:
	s_mov_b32 s1, -1
                                        ; implicit-def: $vgpr3
.LBB195_29:
	s_mov_b32 s3, 0
.LBB195_30:
	s_and_b32 vcc_lo, exec_lo, s3
	s_cbranch_vccz .LBB195_32
; %bb.31:
	v_mul_f32_e32 v3, 0xbfb8aa3b, v2
	v_cmp_nlt_f32_e32 vcc_lo, 0x42ce8ed0, v2
	v_rndne_f32_e32 v4, v3
	v_fma_f32 v5, 0xbfb8aa3b, v2, -v3
	v_sub_f32_e32 v3, v3, v4
	v_fmamk_f32 v5, v2, 0xb2a5705f, v5
	v_cvt_i32_f32_e32 v4, v4
	v_add_f32_e32 v3, v3, v5
	v_exp_f32_e32 v3, v3
	v_ldexp_f32 v3, v3, v4
	v_cndmask_b32_e32 v3, 0, v3, vcc_lo
	v_cmp_ngt_f32_e32 vcc_lo, 0xc2b17218, v2
	v_cndmask_b32_e32 v3, 0x7f800000, v3, vcc_lo
	v_add_f32_e32 v3, 1.0, v3
	v_div_scale_f32 v4, null, v3, v3, v2
	v_rcp_f32_e32 v5, v4
	v_fma_f32 v6, -v4, v5, 1.0
	v_fmac_f32_e32 v5, v6, v5
	v_div_scale_f32 v6, vcc_lo, v2, v3, v2
	v_mul_f32_e32 v7, v6, v5
	v_fma_f32 v8, -v4, v7, v6
	v_fmac_f32_e32 v7, v8, v5
	v_fma_f32 v4, -v4, v7, v6
	v_div_fmas_f32 v4, v4, v5, v7
	v_div_fixup_f32 v3, v4, v3, v2
	v_mul_f32_e32 v3, v1, v3
.LBB195_32:
	s_branch .LBB195_34
.LBB195_33:
	s_cmp_lg_u32 s2, 1
	s_mov_b32 s0, -1
	s_cselect_b32 s1, -1, 0
.LBB195_34:
	s_andn2_b32 vcc_lo, exec_lo, s1
	s_cbranch_vccz .LBB195_36
; %bb.35:
	s_andn2_b32 vcc_lo, exec_lo, s0
	s_cbranch_vccz .LBB195_37
	s_branch .LBB195_42
.LBB195_36:
	v_mul_f32_e32 v3, v2, v1
	s_cbranch_execnz .LBB195_42
.LBB195_37:
	v_mul_f32_e32 v3, 0x3d372713, v2
	v_mul_f32_e32 v4, 0x3f4c422a, v2
	v_fma_f32 v3, v2, v3, 1.0
	v_mul_f32_e32 v3, v4, v3
                                        ; implicit-def: $vgpr4
	v_cmp_ngt_f32_e64 s0, 0x3f200000, |v3|
	s_and_saveexec_b32 s1, s0
	s_xor_b32 s0, exec_lo, s1
	s_cbranch_execz .LBB195_39
; %bb.38:
	v_add_f32_e64 v4, |v3|, |v3|
	v_mul_f32_e32 v5, 0x3fb8aa3b, v4
	v_cmp_ngt_f32_e32 vcc_lo, 0xc2ce8ed0, v4
	v_rndne_f32_e32 v6, v5
	v_fma_f32 v7, 0x3fb8aa3b, v4, -v5
	v_sub_f32_e32 v5, v5, v6
	v_fmamk_f32 v7, v4, 0x32a5705f, v7
	v_cvt_i32_f32_e32 v6, v6
	v_add_f32_e32 v5, v5, v7
	v_exp_f32_e32 v5, v5
	v_ldexp_f32 v5, v5, v6
	v_cndmask_b32_e32 v5, 0, v5, vcc_lo
	v_cmp_nlt_f32_e32 vcc_lo, 0x42b17218, v4
	v_cndmask_b32_e32 v4, 0x7f800000, v5, vcc_lo
	v_add_f32_e32 v4, 1.0, v4
	v_rcp_f32_e32 v4, v4
	v_fma_f32 v4, v4, -2.0, 1.0
.LBB195_39:
	s_andn2_saveexec_b32 s0, s0
	s_cbranch_execz .LBB195_41
; %bb.40:
	v_mul_f32_e32 v4, v3, v3
	s_mov_b32 s1, 0xbbbac73d
	v_fmaak_f32 v5, s1, v4, 0x3ca908c9
	v_fmaak_f32 v5, v4, v5, 0xbd5c1c4e
	;; [unrolled: 1-line block ×4, first 2 shown]
	v_mul_f32_e64 v5, |v3|, v5
	v_fma_f32 v4, v4, v5, |v3|
.LBB195_41:
	s_or_b32 exec_lo, exec_lo, s0
	v_bfi_b32 v3, 0x7fffffff, v4, v3
	v_mul_f32_e32 v2, 0.5, v2
	v_add_f32_e32 v3, 1.0, v3
	v_mul_f32_e32 v2, v2, v3
	v_mul_f32_e32 v3, v1, v2
.LBB195_42:
	v_mov_b32_e32 v1, v3
.LBB195_43:
	s_load_dwordx2 s[0:1], s[4:5], 0x38
	s_mul_i32 s2, s22, s10
	s_mul_i32 s3, s26, s8
	s_add_i32 s2, s2, s6
	v_lshlrev_b32_e32 v0, 2, v0
	s_add_i32 s2, s2, s3
	s_mov_b32 s3, 0
	s_lshl_b64 s[2:3], s[2:3], 2
	s_waitcnt lgkmcnt(0)
	s_add_u32 s0, s0, s2
	s_addc_u32 s1, s1, s3
	global_store_dword v0, v1, s[0:1]
.LBB195_44:
	s_endpgm
	.section	.rodata,"a",@progbits
	.p2align	6, 0x0
	.amdhsa_kernel _ZL13mul_mat_vec_qIL9ggml_type18ELi1ELb1ELb0EEvPKvS2_PKi31ggml_cuda_mm_fusion_args_devicePfj15HIP_vector_typeIjLj3EEjjjS8_jjjS8_jjjj
		.amdhsa_group_segment_fixed_size 0
		.amdhsa_private_segment_fixed_size 0
		.amdhsa_kernarg_size 144
		.amdhsa_user_sgpr_count 6
		.amdhsa_user_sgpr_private_segment_buffer 1
		.amdhsa_user_sgpr_dispatch_ptr 0
		.amdhsa_user_sgpr_queue_ptr 0
		.amdhsa_user_sgpr_kernarg_segment_ptr 1
		.amdhsa_user_sgpr_dispatch_id 0
		.amdhsa_user_sgpr_flat_scratch_init 0
		.amdhsa_user_sgpr_private_segment_size 0
		.amdhsa_wavefront_size32 1
		.amdhsa_uses_dynamic_stack 0
		.amdhsa_system_sgpr_private_segment_wavefront_offset 0
		.amdhsa_system_sgpr_workgroup_id_x 1
		.amdhsa_system_sgpr_workgroup_id_y 1
		.amdhsa_system_sgpr_workgroup_id_z 1
		.amdhsa_system_sgpr_workgroup_info 0
		.amdhsa_system_vgpr_workitem_id 1
		.amdhsa_next_free_vgpr 52
		.amdhsa_next_free_sgpr 40
		.amdhsa_reserve_vcc 1
		.amdhsa_reserve_flat_scratch 0
		.amdhsa_float_round_mode_32 0
		.amdhsa_float_round_mode_16_64 0
		.amdhsa_float_denorm_mode_32 3
		.amdhsa_float_denorm_mode_16_64 3
		.amdhsa_dx10_clamp 1
		.amdhsa_ieee_mode 1
		.amdhsa_fp16_overflow 0
		.amdhsa_workgroup_processor_mode 1
		.amdhsa_memory_ordered 1
		.amdhsa_forward_progress 1
		.amdhsa_shared_vgpr_count 0
		.amdhsa_exception_fp_ieee_invalid_op 0
		.amdhsa_exception_fp_denorm_src 0
		.amdhsa_exception_fp_ieee_div_zero 0
		.amdhsa_exception_fp_ieee_overflow 0
		.amdhsa_exception_fp_ieee_underflow 0
		.amdhsa_exception_fp_ieee_inexact 0
		.amdhsa_exception_int_div_zero 0
	.end_amdhsa_kernel
	.section	.text._ZL13mul_mat_vec_qIL9ggml_type18ELi1ELb1ELb0EEvPKvS2_PKi31ggml_cuda_mm_fusion_args_devicePfj15HIP_vector_typeIjLj3EEjjjS8_jjjS8_jjjj,"axG",@progbits,_ZL13mul_mat_vec_qIL9ggml_type18ELi1ELb1ELb0EEvPKvS2_PKi31ggml_cuda_mm_fusion_args_devicePfj15HIP_vector_typeIjLj3EEjjjS8_jjjS8_jjjj,comdat
.Lfunc_end195:
	.size	_ZL13mul_mat_vec_qIL9ggml_type18ELi1ELb1ELb0EEvPKvS2_PKi31ggml_cuda_mm_fusion_args_devicePfj15HIP_vector_typeIjLj3EEjjjS8_jjjS8_jjjj, .Lfunc_end195-_ZL13mul_mat_vec_qIL9ggml_type18ELi1ELb1ELb0EEvPKvS2_PKi31ggml_cuda_mm_fusion_args_devicePfj15HIP_vector_typeIjLj3EEjjjS8_jjjS8_jjjj
                                        ; -- End function
	.set _ZL13mul_mat_vec_qIL9ggml_type18ELi1ELb1ELb0EEvPKvS2_PKi31ggml_cuda_mm_fusion_args_devicePfj15HIP_vector_typeIjLj3EEjjjS8_jjjS8_jjjj.num_vgpr, 52
	.set _ZL13mul_mat_vec_qIL9ggml_type18ELi1ELb1ELb0EEvPKvS2_PKi31ggml_cuda_mm_fusion_args_devicePfj15HIP_vector_typeIjLj3EEjjjS8_jjjS8_jjjj.num_agpr, 0
	.set _ZL13mul_mat_vec_qIL9ggml_type18ELi1ELb1ELb0EEvPKvS2_PKi31ggml_cuda_mm_fusion_args_devicePfj15HIP_vector_typeIjLj3EEjjjS8_jjjS8_jjjj.numbered_sgpr, 40
	.set _ZL13mul_mat_vec_qIL9ggml_type18ELi1ELb1ELb0EEvPKvS2_PKi31ggml_cuda_mm_fusion_args_devicePfj15HIP_vector_typeIjLj3EEjjjS8_jjjS8_jjjj.num_named_barrier, 0
	.set _ZL13mul_mat_vec_qIL9ggml_type18ELi1ELb1ELb0EEvPKvS2_PKi31ggml_cuda_mm_fusion_args_devicePfj15HIP_vector_typeIjLj3EEjjjS8_jjjS8_jjjj.private_seg_size, 0
	.set _ZL13mul_mat_vec_qIL9ggml_type18ELi1ELb1ELb0EEvPKvS2_PKi31ggml_cuda_mm_fusion_args_devicePfj15HIP_vector_typeIjLj3EEjjjS8_jjjS8_jjjj.uses_vcc, 1
	.set _ZL13mul_mat_vec_qIL9ggml_type18ELi1ELb1ELb0EEvPKvS2_PKi31ggml_cuda_mm_fusion_args_devicePfj15HIP_vector_typeIjLj3EEjjjS8_jjjS8_jjjj.uses_flat_scratch, 0
	.set _ZL13mul_mat_vec_qIL9ggml_type18ELi1ELb1ELb0EEvPKvS2_PKi31ggml_cuda_mm_fusion_args_devicePfj15HIP_vector_typeIjLj3EEjjjS8_jjjS8_jjjj.has_dyn_sized_stack, 0
	.set _ZL13mul_mat_vec_qIL9ggml_type18ELi1ELb1ELb0EEvPKvS2_PKi31ggml_cuda_mm_fusion_args_devicePfj15HIP_vector_typeIjLj3EEjjjS8_jjjS8_jjjj.has_recursion, 0
	.set _ZL13mul_mat_vec_qIL9ggml_type18ELi1ELb1ELb0EEvPKvS2_PKi31ggml_cuda_mm_fusion_args_devicePfj15HIP_vector_typeIjLj3EEjjjS8_jjjS8_jjjj.has_indirect_call, 0
	.section	.AMDGPU.csdata,"",@progbits
; Kernel info:
; codeLenInByte = 6480
; TotalNumSgprs: 42
; NumVgprs: 52
; ScratchSize: 0
; MemoryBound: 0
; FloatMode: 240
; IeeeMode: 1
; LDSByteSize: 0 bytes/workgroup (compile time only)
; SGPRBlocks: 0
; VGPRBlocks: 6
; NumSGPRsForWavesPerEU: 42
; NumVGPRsForWavesPerEU: 52
; Occupancy: 16
; WaveLimiterHint : 0
; COMPUTE_PGM_RSRC2:SCRATCH_EN: 0
; COMPUTE_PGM_RSRC2:USER_SGPR: 6
; COMPUTE_PGM_RSRC2:TRAP_HANDLER: 0
; COMPUTE_PGM_RSRC2:TGID_X_EN: 1
; COMPUTE_PGM_RSRC2:TGID_Y_EN: 1
; COMPUTE_PGM_RSRC2:TGID_Z_EN: 1
; COMPUTE_PGM_RSRC2:TIDIG_COMP_CNT: 1
	.section	.text._ZL13mul_mat_vec_qIL9ggml_type18ELi1ELb0ELb0EEvPKvS2_PKi31ggml_cuda_mm_fusion_args_devicePfj15HIP_vector_typeIjLj3EEjjjS8_jjjS8_jjjj,"axG",@progbits,_ZL13mul_mat_vec_qIL9ggml_type18ELi1ELb0ELb0EEvPKvS2_PKi31ggml_cuda_mm_fusion_args_devicePfj15HIP_vector_typeIjLj3EEjjjS8_jjjS8_jjjj,comdat
	.globl	_ZL13mul_mat_vec_qIL9ggml_type18ELi1ELb0ELb0EEvPKvS2_PKi31ggml_cuda_mm_fusion_args_devicePfj15HIP_vector_typeIjLj3EEjjjS8_jjjS8_jjjj ; -- Begin function _ZL13mul_mat_vec_qIL9ggml_type18ELi1ELb0ELb0EEvPKvS2_PKi31ggml_cuda_mm_fusion_args_devicePfj15HIP_vector_typeIjLj3EEjjjS8_jjjS8_jjjj
	.p2align	8
	.type	_ZL13mul_mat_vec_qIL9ggml_type18ELi1ELb0ELb0EEvPKvS2_PKi31ggml_cuda_mm_fusion_args_devicePfj15HIP_vector_typeIjLj3EEjjjS8_jjjS8_jjjj,@function
_ZL13mul_mat_vec_qIL9ggml_type18ELi1ELb0ELb0EEvPKvS2_PKi31ggml_cuda_mm_fusion_args_devicePfj15HIP_vector_typeIjLj3EEjjjS8_jjjS8_jjjj: ; @_ZL13mul_mat_vec_qIL9ggml_type18ELi1ELb0ELb0EEvPKvS2_PKi31ggml_cuda_mm_fusion_args_devicePfj15HIP_vector_typeIjLj3EEjjjS8_jjjS8_jjjj
; %bb.0:
	s_clause 0x1
	s_load_dwordx2 s[0:1], s[4:5], 0x10
	s_load_dwordx4 s[16:19], s[4:5], 0x40
	s_mov_b32 s10, s7
	s_waitcnt lgkmcnt(0)
	s_cmp_lg_u64 s[0:1], 0
	s_cselect_b32 s7, -1, 0
	s_cmp_eq_u64 s[0:1], 0
	s_cbranch_scc1 .LBB196_5
; %bb.1:
	s_mov_b32 s11, 0
	s_lshl_b64 s[2:3], s[10:11], 2
	s_add_u32 s0, s0, s2
	s_addc_u32 s1, s1, s3
	s_load_dword s20, s[0:1], 0x0
	s_clause 0x1
	s_load_dwordx4 s[0:3], s[4:5], 0x68
	s_load_dword s21, s[4:5], 0x50
	s_cbranch_execnz .LBB196_3
.LBB196_2:
	s_load_dwordx2 s[12:13], s[4:5], 0x5c
	s_waitcnt lgkmcnt(0)
	s_mul_hi_u32 s9, s12, s10
	s_add_i32 s9, s10, s9
	s_lshr_b32 s20, s9, s13
.LBB196_3:
	s_load_dword s11, s[4:5], 0x78
	s_andn2_b32 vcc_lo, exec_lo, s7
	s_cbranch_vccnz .LBB196_6
; %bb.4:
	s_mul_hi_u32 s7, s17, s10
	s_add_i32 s7, s10, s7
	s_lshr_b32 s7, s7, s18
	s_mul_i32 s7, s7, s19
	s_sub_i32 s17, s10, s7
	s_branch .LBB196_7
.LBB196_5:
                                        ; implicit-def: $sgpr20
	s_clause 0x1
	s_load_dwordx4 s[0:3], s[4:5], 0x68
	s_load_dword s21, s[4:5], 0x50
	s_branch .LBB196_2
.LBB196_6:
	s_mov_b32 s17, s10
.LBB196_7:
	s_load_dwordx4 s[12:15], s[4:5], 0x80
	v_lshl_or_b32 v2, v1, 5, v0
	v_mov_b32_e32 v5, 0
	s_lshr_b32 s9, s16, 8
	s_mov_b32 s7, exec_lo
	v_lshrrev_b32_e32 v4, 3, v2
	v_cmpx_gt_u32_e64 s9, v4
	s_cbranch_execz .LBB196_11
; %bb.8:
	v_lshrrev_b32_e32 v2, 3, v2
	s_waitcnt lgkmcnt(0)
	s_mul_i32 s1, s17, s1
	v_and_b32_e32 v6, 7, v0
	s_mul_hi_u32 s17, s1, 36
	s_mul_i32 s16, s1, 36
	s_mul_hi_u32 s1, s3, s8
	v_mad_u64_u32 v[2:3], null, 0x120, v2, s[16:17]
	s_load_dwordx4 s[16:19], s[4:5], 0x0
	s_mul_i32 s3, s13, s8
	v_lshlrev_b32_e32 v5, 1, v0
	s_add_i32 s1, s8, s1
	s_mul_i32 s21, s21, s6
	s_lshr_b32 s1, s1, s11
	v_mad_u64_u32 v[2:3], null, s3, 36, v[2:3]
	v_and_b32_e32 v5, 14, v5
	s_mul_i32 s1, s1, s12
	v_mov_b32_e32 v7, 2
	s_mul_i32 s0, s20, s0
	s_add_i32 s1, s1, s21
	v_lshlrev_b32_e32 v9, 1, v5
	v_mad_u64_u32 v[2:3], null, v6, 36, v[2:3]
	v_mov_b32_e32 v6, 0
	v_lshlrev_b32_e32 v8, 1, v5
	v_lshlrev_b32_e32 v9, 1, v9
	v_mov_b32_e32 v5, 0
	s_add_i32 s11, s0, s1
	s_mov_b32 s3, 0
	s_waitcnt lgkmcnt(0)
	v_add_co_u32 v2, vcc_lo, s18, v2
	v_add_co_ci_u32_e64 v3, null, s19, v3, vcc_lo
	v_add_co_u32 v2, vcc_lo, v2, 32
	v_add_co_ci_u32_e64 v3, null, 0, v3, vcc_lo
.LBB196_9:                              ; =>This Inner Loop Header: Depth=1
	v_add_nc_u32_e32 v10, s11, v4
	s_getpc_b64 s[0:1]
	s_add_u32 s0, s0, _ZL11iq3xxs_grid@rel32@lo+4
	s_addc_u32 s1, s1, _ZL11iq3xxs_grid@rel32@hi+12
	v_add_nc_u32_e32 v4, 4, v4
	v_mad_i64_i32 v[11:12], null, 0x62, v10, s[16:17]
	v_add_co_u32 v13, vcc_lo, v11, v9
	v_add_co_ci_u32_e64 v14, null, 0, v12, vcc_lo
	v_add_co_u32 v15, vcc_lo, v11, v8
	v_add_co_ci_u32_e64 v16, null, 0, v12, vcc_lo
	s_clause 0x2
	global_load_dwordx2 v[13:14], v[13:14], off offset:2
	global_load_dword v10, v[15:16], off offset:66
	global_load_ushort v19, v[11:12], off
	s_waitcnt vmcnt(2)
	v_lshlrev_b32_sdwa v11, v7, v13 dst_sel:DWORD dst_unused:UNUSED_PAD src0_sel:DWORD src1_sel:BYTE_0
	v_lshlrev_b32_sdwa v12, v7, v13 dst_sel:DWORD dst_unused:UNUSED_PAD src0_sel:DWORD src1_sel:BYTE_1
	v_lshlrev_b32_sdwa v16, v7, v13 dst_sel:DWORD dst_unused:UNUSED_PAD src0_sel:DWORD src1_sel:BYTE_2
	v_lshlrev_b32_sdwa v13, v7, v13 dst_sel:DWORD dst_unused:UNUSED_PAD src0_sel:DWORD src1_sel:BYTE_3
	v_lshlrev_b32_sdwa v18, v7, v14 dst_sel:DWORD dst_unused:UNUSED_PAD src0_sel:DWORD src1_sel:BYTE_0
	v_lshlrev_b32_sdwa v20, v7, v14 dst_sel:DWORD dst_unused:UNUSED_PAD src0_sel:DWORD src1_sel:BYTE_1
	v_lshlrev_b32_sdwa v22, v7, v14 dst_sel:DWORD dst_unused:UNUSED_PAD src0_sel:DWORD src1_sel:BYTE_2
	v_lshlrev_b32_sdwa v14, v7, v14 dst_sel:DWORD dst_unused:UNUSED_PAD src0_sel:DWORD src1_sel:BYTE_3
	s_clause 0x7
	global_load_dword v11, v11, s[0:1]
	global_load_dword v12, v12, s[0:1]
	;; [unrolled: 1-line block ×8, first 2 shown]
	s_waitcnt vmcnt(9)
	v_and_b32_e32 v15, 0xff, v10
	v_bfe_u32 v21, v10, 14, 8
	v_bfe_u32 v17, v10, 7, 8
	;; [unrolled: 1-line block ×3, first 2 shown]
	v_bcnt_u32_b32 v13, v15, 0
	v_bcnt_u32_b32 v26, v21, 0
	;; [unrolled: 1-line block ×4, first 2 shown]
	v_and_b32_e32 v13, 1, v13
	v_and_b32_e32 v26, 1, v26
	;; [unrolled: 1-line block ×4, first 2 shown]
	v_lshlrev_b32_e32 v13, 7, v13
	v_lshlrev_b32_e32 v26, 7, v26
	;; [unrolled: 1-line block ×4, first 2 shown]
	v_xor_b32_e32 v13, v13, v15
	v_xor_b32_e32 v15, v26, v21
	;; [unrolled: 1-line block ×4, first 2 shown]
	v_mul_lo_u32 v13, 0x1010101, v13
	v_mul_lo_u32 v15, 0x1010101, v15
	;; [unrolled: 1-line block ×4, first 2 shown]
	v_and_b32_e32 v21, 0x8040201, v13
	v_and_b32_e32 v27, 0x80402010, v13
	v_lshrrev_b32_e32 v23, 18, v13
	v_bfe_i32 v26, v13, 0, 1
	v_lshrrev_b32_e32 v13, 22, v13
	v_cmp_ne_u16_sdwa s0, v21, v6 src0_sel:BYTE_1 src1_sel:DWORD
	v_and_b32_e32 v28, 0x8040201, v14
	v_and_b32_e32 v31, 0x80402010, v14
	v_lshrrev_b16 v41, 4, v27
	v_bfe_i32 v43, v13, 0, 1
	v_cndmask_b32_e64 v40, 0, -1, s0
	v_cmp_ne_u16_sdwa s0, v21, v6 src0_sel:BYTE_3 src1_sel:DWORD
	v_lshrrev_b32_e32 v29, 18, v14
	v_bfe_i32 v30, v14, 0, 1
	v_lshrrev_b32_e32 v14, 22, v14
	v_and_b32_e32 v32, 0x8040201, v15
	v_cndmask_b32_e64 v21, 0, -1, s0
	v_cmp_ne_u16_sdwa s0, v27, v6 src0_sel:BYTE_1 src1_sel:DWORD
	v_and_b32_e32 v35, 0x80402010, v15
	v_bfe_i32 v46, v14, 0, 1
	v_lshrrev_b16 v44, 4, v31
	v_lshrrev_b32_e32 v33, 18, v15
	v_cndmask_b32_e64 v42, 0, -1, s0
	v_cmp_ne_u16_sdwa s0, v27, v6 src0_sel:BYTE_3 src1_sel:DWORD
	v_bfe_i32 v34, v15, 0, 1
	v_lshrrev_b32_e32 v15, 22, v15
	v_and_b32_e32 v36, 0x8040201, v17
	v_and_b32_e32 v39, 0x80402010, v17
	v_cndmask_b32_e64 v13, 0, -1, s0
	v_cmp_ne_u16_sdwa s0, v28, v6 src0_sel:BYTE_1 src1_sel:DWORD
	v_bfe_i32 v49, v15, 0, 1
	v_lshrrev_b16 v47, 4, v35
	v_lshrrev_b32_e32 v37, 18, v17
	v_bfe_i32 v38, v17, 0, 1
	v_cndmask_b32_e64 v27, 0, -1, s0
	v_cmp_ne_u16_sdwa s0, v28, v6 src0_sel:BYTE_3 src1_sel:DWORD
	v_lshrrev_b32_e32 v17, 22, v17
	v_bfe_i32 v23, v23, 0, 1
	v_lshrrev_b16 v50, 4, v39
	v_lshlrev_b16 v21, 8, v21
	v_cndmask_b32_e64 v28, 0, -1, s0
	v_cmp_ne_u16_sdwa s0, v31, v6 src0_sel:BYTE_1 src1_sel:DWORD
	v_bfe_i32 v52, v17, 0, 1
	v_bfe_i32 v29, v29, 0, 1
	;; [unrolled: 1-line block ×3, first 2 shown]
	v_lshlrev_b16 v27, 8, v27
	v_cndmask_b32_e64 v45, 0, -1, s0
	v_cmp_ne_u16_sdwa s0, v31, v6 src0_sel:BYTE_3 src1_sel:DWORD
	v_lshlrev_b16 v28, 8, v28
	v_bfe_i32 v44, v44, 0, 1
	v_bfe_i32 v47, v47, 0, 1
	v_lshlrev_b16 v45, 8, v45
	v_cndmask_b32_e64 v14, 0, -1, s0
	v_cmp_ne_u16_sdwa s0, v32, v6 src0_sel:BYTE_1 src1_sel:DWORD
	v_bfe_i32 v37, v37, 0, 1
	v_bfe_i32 v50, v50, 0, 1
	v_or_b32_sdwa v56, v30, v27 dst_sel:DWORD dst_unused:UNUSED_PAD src0_sel:BYTE_0 src1_sel:DWORD
	v_lshlrev_b16 v53, 8, v14
	v_cndmask_b32_e64 v31, 0, -1, s0
	v_cmp_ne_u16_sdwa s0, v32, v6 src0_sel:BYTE_3 src1_sel:DWORD
	v_or_b32_sdwa v14, v23, v21 dst_sel:WORD_1 dst_unused:UNUSED_PAD src0_sel:BYTE_0 src1_sel:DWORD
	v_or_b32_sdwa v57, v29, v28 dst_sel:WORD_1 dst_unused:UNUSED_PAD src0_sel:BYTE_0 src1_sel:DWORD
	v_or_b32_sdwa v58, v44, v45 dst_sel:DWORD dst_unused:UNUSED_PAD src0_sel:BYTE_0 src1_sel:DWORD
	v_lshlrev_b16 v31, 8, v31
	v_cndmask_b32_e64 v32, 0, -1, s0
	v_cmp_ne_u16_sdwa s0, v35, v6 src0_sel:BYTE_1 src1_sel:DWORD
	v_or_b32_sdwa v59, v46, v53 dst_sel:WORD_1 dst_unused:UNUSED_PAD src0_sel:BYTE_0 src1_sel:DWORD
	v_or_b32_sdwa v56, v56, v57 dst_sel:DWORD dst_unused:UNUSED_PAD src0_sel:WORD_0 src1_sel:DWORD
	v_or_b32_sdwa v60, v34, v31 dst_sel:DWORD dst_unused:UNUSED_PAD src0_sel:BYTE_0 src1_sel:DWORD
	v_lshlrev_b16 v32, 8, v32
	v_cndmask_b32_e64 v48, 0, -1, s0
	v_cmp_ne_u16_sdwa s0, v35, v6 src0_sel:BYTE_3 src1_sel:DWORD
	v_or_b32_sdwa v58, v58, v59 dst_sel:DWORD dst_unused:UNUSED_PAD src0_sel:WORD_0 src1_sel:DWORD
	v_lshlrev_b16 v30, 8, v30
	v_or_b32_sdwa v61, v33, v32 dst_sel:WORD_1 dst_unused:UNUSED_PAD src0_sel:BYTE_0 src1_sel:DWORD
	v_lshlrev_b16 v48, 8, v48
	v_cndmask_b32_e64 v15, 0, -1, s0
	v_cmp_ne_u16_sdwa s0, v36, v6 src0_sel:BYTE_1 src1_sel:DWORD
	v_lshlrev_b16 v44, 8, v44
	v_or_b32_sdwa v60, v60, v61 dst_sel:DWORD dst_unused:UNUSED_PAD src0_sel:WORD_0 src1_sel:DWORD
	v_lshlrev_b16 v34, 8, v34
	v_lshlrev_b16 v54, 8, v15
	v_cndmask_b32_e64 v35, 0, -1, s0
	v_cmp_ne_u16_sdwa s0, v36, v6 src0_sel:BYTE_3 src1_sel:DWORD
	v_lshlrev_b16 v23, 8, v23
	v_lshlrev_b16 v29, 8, v29
	;; [unrolled: 1-line block ×4, first 2 shown]
	v_cndmask_b32_e64 v36, 0, -1, s0
	v_cmp_ne_u16_sdwa s0, v39, v6 src0_sel:BYTE_1 src1_sel:DWORD
	v_lshlrev_b16 v33, 8, v33
	v_or_b32_sdwa v57, v38, v35 dst_sel:DWORD dst_unused:UNUSED_PAD src0_sel:BYTE_0 src1_sel:DWORD
	v_lshlrev_b16 v36, 8, v36
	v_cndmask_b32_e64 v51, 0, -1, s0
	v_cmp_ne_u16_sdwa s0, v39, v6 src0_sel:BYTE_3 src1_sel:DWORD
	v_lshlrev_b16 v39, 8, v40
	v_bfe_i32 v40, v41, 0, 1
	v_lshlrev_b16 v41, 8, v42
	v_lshlrev_b16 v42, 8, v13
	v_cndmask_b32_e64 v17, 0, -1, s0
	v_or_b32_sdwa v13, v26, v39 dst_sel:DWORD dst_unused:UNUSED_PAD src0_sel:BYTE_0 src1_sel:DWORD
	v_lshlrev_b16 v51, 8, v51
	v_or_b32_sdwa v15, v40, v41 dst_sel:DWORD dst_unused:UNUSED_PAD src0_sel:BYTE_0 src1_sel:DWORD
	v_or_b32_sdwa v59, v37, v36 dst_sel:WORD_1 dst_unused:UNUSED_PAD src0_sel:BYTE_0 src1_sel:DWORD
	v_lshlrev_b16 v55, 8, v17
	v_or_b32_sdwa v17, v43, v42 dst_sel:WORD_1 dst_unused:UNUSED_PAD src0_sel:BYTE_0 src1_sel:DWORD
	v_or_b32_sdwa v13, v13, v14 dst_sel:DWORD dst_unused:UNUSED_PAD src0_sel:WORD_0 src1_sel:DWORD
	v_or_b32_sdwa v14, v47, v48 dst_sel:DWORD dst_unused:UNUSED_PAD src0_sel:BYTE_0 src1_sel:DWORD
	v_or_b32_sdwa v61, v50, v51 dst_sel:DWORD dst_unused:UNUSED_PAD src0_sel:BYTE_0 src1_sel:DWORD
	v_or_b32_sdwa v57, v57, v59 dst_sel:DWORD dst_unused:UNUSED_PAD src0_sel:WORD_0 src1_sel:DWORD
	v_or_b32_sdwa v15, v15, v17 dst_sel:DWORD dst_unused:UNUSED_PAD src0_sel:WORD_0 src1_sel:DWORD
	v_or_b32_sdwa v17, v49, v54 dst_sel:WORD_1 dst_unused:UNUSED_PAD src0_sel:BYTE_0 src1_sel:DWORD
	v_lshlrev_b16 v26, 8, v26
	v_lshlrev_b16 v40, 8, v40
	;; [unrolled: 1-line block ×4, first 2 shown]
	v_or_b32_sdwa v17, v14, v17 dst_sel:DWORD dst_unused:UNUSED_PAD src0_sel:WORD_0 src1_sel:DWORD
	v_or_b32_sdwa v14, v52, v55 dst_sel:WORD_1 dst_unused:UNUSED_PAD src0_sel:BYTE_0 src1_sel:DWORD
	v_lshlrev_b16 v43, 8, v43
	v_lshlrev_b16 v50, 8, v50
	;; [unrolled: 1-line block ×4, first 2 shown]
	v_or_b32_sdwa v59, v61, v14 dst_sel:DWORD dst_unused:UNUSED_PAD src0_sel:WORD_0 src1_sel:DWORD
	v_lshlrev_b16 v52, 8, v52
	v_cmp_le_u32_e64 s0, s9, v4
	s_or_b32 s3, s0, s3
	s_waitcnt vmcnt(7)
	v_xor_b32_e32 v61, v11, v13
	s_waitcnt vmcnt(6)
	v_xor_b32_e32 v62, v12, v15
	global_load_dwordx4 v[11:14], v[2:3], off offset:-32
	s_waitcnt vmcnt(6)
	v_xor_b32_e32 v56, v16, v56
	s_waitcnt vmcnt(5)
	v_xor_b32_e32 v24, v24, v58
	;; [unrolled: 2-line block ×4, first 2 shown]
	global_load_dwordx4 v[15:18], v[2:3], off offset:-16
	s_waitcnt vmcnt(3)
	v_xor_b32_e32 v22, v22, v57
	global_load_dword v57, v[2:3], off
	s_waitcnt vmcnt(3)
	v_xor_b32_e32 v25, v25, v59
	v_and_b32_e32 v59, 0xffffff00, v61
	v_lshrrev_b32_e32 v60, 16, v61
	v_add_co_u32 v2, vcc_lo, 0x480, v2
	v_add_co_ci_u32_e64 v3, null, 0, v3, vcc_lo
	v_sub_nc_i16 v39, v59, v39 clamp
	v_lshlrev_b16 v59, 8, v61
	v_lshrrev_b32_e32 v61, 16, v62
	v_sub_nc_i16 v26, v59, v26 clamp
	v_and_b32_e32 v59, 0xffffff00, v62
	v_perm_b32 v26, v26, v39, 0xc0c0105
	v_sub_nc_i16 v41, v59, v41 clamp
	v_lshlrev_b16 v59, 8, v62
	v_and_b32_e32 v39, 0xffffff00, v60
	v_lshlrev_b16 v60, 8, v60
	v_sub_nc_i16 v40, v59, v40 clamp
	v_and_b32_e32 v59, 0xffffff00, v56
	v_sub_nc_i16 v21, v39, v21 clamp
	v_and_b32_e32 v39, 0xffffff00, v61
	v_lshlrev_b16 v61, 8, v61
	v_sub_nc_i16 v23, v60, v23 clamp
	v_sub_nc_i16 v27, v59, v27 clamp
	v_lshlrev_b16 v59, 8, v56
	v_lshrrev_b32_e32 v56, 16, v56
	v_sub_nc_i16 v39, v39, v42 clamp
	v_sub_nc_i16 v43, v61, v43 clamp
	v_perm_b32 v21, v23, v21, 0xc0c0105
	v_sub_nc_i16 v30, v59, v30 clamp
	v_and_b32_e32 v59, 0xffffff00, v24
	v_and_b32_e32 v60, 0xffffff00, v56
	v_lshlrev_b16 v56, 8, v56
	v_perm_b32 v40, v40, v41, 0xc0c0105
	v_perm_b32 v39, v43, v39, 0xc0c0105
	v_sub_nc_i16 v45, v59, v45 clamp
	v_lshlrev_b16 v59, 8, v24
	v_lshrrev_b32_e32 v24, 16, v24
	v_sub_nc_i16 v28, v60, v28 clamp
	v_sub_nc_i16 v29, v56, v29 clamp
	v_lshl_or_b32 v21, v21, 16, v26
	v_sub_nc_i16 v44, v59, v44 clamp
	v_and_b32_e32 v59, 0xffffff00, v58
	v_and_b32_e32 v41, 0xffffff00, v24
	v_lshlrev_b16 v24, 8, v24
	v_perm_b32 v27, v30, v27, 0xc0c0105
	v_perm_b32 v28, v29, v28, 0xc0c0105
	v_sub_nc_i16 v31, v59, v31 clamp
	v_lshlrev_b16 v59, 8, v58
	v_lshrrev_b32_e32 v58, 16, v58
	v_sub_nc_i16 v41, v41, v53 clamp
	v_sub_nc_i16 v24, v24, v46 clamp
	v_lshl_or_b32 v29, v39, 16, v40
	v_sub_nc_i16 v34, v59, v34 clamp
	v_and_b32_e32 v59, 0xffffff00, v20
	v_and_b32_e32 v42, 0xffffff00, v58
	v_lshlrev_b16 v58, 8, v58
	v_perm_b32 v44, v44, v45, 0xc0c0105
	v_perm_b32 v31, v34, v31, 0xc0c0105
	v_sub_nc_i16 v48, v59, v48 clamp
	v_lshlrev_b16 v59, 8, v20
	v_lshrrev_b32_e32 v20, 16, v20
	v_sub_nc_i16 v32, v42, v32 clamp
	v_sub_nc_i16 v33, v58, v33 clamp
	;; [unrolled: 1-line block ×3, first 2 shown]
	v_and_b32_e32 v59, 0xffffff00, v22
	v_and_b32_e32 v61, 0xffffff00, v20
	v_lshlrev_b16 v20, 8, v20
	v_perm_b32 v34, v47, v48, 0xc0c0105
	v_sub_nc_i16 v35, v59, v35 clamp
	v_lshlrev_b16 v59, 8, v22
	v_lshrrev_b32_e32 v22, 16, v22
	v_sub_nc_i16 v23, v61, v54 clamp
	v_sub_nc_i16 v20, v20, v49 clamp
	;; [unrolled: 1-line block ×3, first 2 shown]
	v_and_b32_e32 v59, 0xffffff00, v25
	v_and_b32_e32 v30, 0xffffff00, v22
	v_lshlrev_b16 v22, 8, v22
	v_perm_b32 v20, v20, v23, 0xc0c0105
	v_perm_b32 v26, v38, v35, 0xc0c0105
	v_sub_nc_i16 v51, v59, v51 clamp
	v_lshlrev_b16 v59, 8, v25
	v_lshrrev_b32_e32 v25, 16, v25
	v_sub_nc_i16 v50, v59, v50 clamp
	v_mov_b32_e32 v59, 0
	v_and_b32_e32 v60, 0xffffff00, v25
	v_lshlrev_b16 v25, 8, v25
	s_waitcnt vmcnt(2)
	v_dot4c_i32_i8 v59, v21, v12
	v_perm_b32 v21, v24, v41, 0xc0c0105
	v_lshl_or_b32 v24, v28, 16, v27
	v_sub_nc_i16 v12, v30, v36 clamp
	v_dot4c_i32_i8 v59, v29, v13
	v_sub_nc_i16 v13, v22, v37 clamp
	v_perm_b32 v22, v33, v32, 0xc0c0105
	v_lshl_or_b32 v21, v21, 16, v44
	v_dot4c_i32_i8 v59, v24, v14
	v_sub_nc_i16 v14, v60, v55 clamp
	v_lshl_or_b32 v22, v22, 16, v31
	v_perm_b32 v12, v13, v12, 0xc0c0105
	v_lshl_or_b32 v13, v20, 16, v34
	s_waitcnt vmcnt(1)
	v_dot4c_i32_i8 v59, v21, v15
	v_sub_nc_i16 v15, v25, v52 clamp
	v_lshl_or_b32 v12, v12, 16, v26
	v_dot4c_i32_i8 v59, v22, v16
	v_perm_b32 v16, v50, v51, 0xc0c0105
	v_perm_b32 v14, v15, v14, 0xc0c0105
	v_dot4c_i32_i8 v59, v13, v17
	v_lshl_or_b32 v13, v14, 16, v16
	v_dot4c_i32_i8 v59, v12, v18
	s_waitcnt vmcnt(0)
	v_dot4c_i32_i8 v59, v13, v57
	v_lshrrev_b32_e32 v13, 28, v10
	v_lshrrev_b32_e32 v12, 31, v59
	v_add_nc_u32_e32 v12, v59, v12
	v_ashrrev_i32_e32 v10, 1, v12
	v_mad_u64_u32 v[12:13], null, v59, v13, v[10:11]
	v_cvt_f32_f16_e32 v11, v11
	v_lshrrev_b32_e32 v10, 31, v12
	v_add_nc_u32_e32 v10, v12, v10
	v_cvt_f32_f16_e32 v12, v19
	v_ashrrev_i32_e32 v10, 1, v10
	v_mul_f32_e32 v11, v12, v11
	v_cvt_f32_i32_e32 v10, v10
	v_fmac_f32_e32 v5, v11, v10
	s_andn2_b32 exec_lo, exec_lo, s3
	s_cbranch_execnz .LBB196_9
; %bb.10:
	s_or_b32 exec_lo, exec_lo, s3
.LBB196_11:
	s_or_b32 exec_lo, exec_lo, s7
	s_waitcnt lgkmcnt(0)
	; wave barrier
	buffer_gl0_inv
	s_mov_b32 s0, exec_lo
	v_cmpx_eq_u32_e32 0, v1
	s_cbranch_execz .LBB196_14
; %bb.12:
	v_mbcnt_lo_u32_b32 v1, -1, 0
	v_xor_b32_e32 v2, 16, v1
	v_xor_b32_e32 v3, 8, v1
	;; [unrolled: 1-line block ×3, first 2 shown]
	v_cmp_gt_i32_e32 vcc_lo, 32, v2
	v_cndmask_b32_e32 v2, v1, v2, vcc_lo
	v_cmp_gt_i32_e32 vcc_lo, 32, v3
	v_lshlrev_b32_e32 v2, 2, v2
	v_cndmask_b32_e32 v3, v1, v3, vcc_lo
	v_cmp_gt_i32_e32 vcc_lo, 32, v4
	ds_bpermute_b32 v2, v2, v5
	v_lshlrev_b32_e32 v3, 2, v3
	v_cndmask_b32_e32 v4, v1, v4, vcc_lo
	v_lshlrev_b32_e32 v4, 2, v4
	s_waitcnt lgkmcnt(0)
	v_add_f32_e32 v2, v5, v2
	ds_bpermute_b32 v3, v3, v2
	s_waitcnt lgkmcnt(0)
	v_add_f32_e32 v2, v2, v3
	ds_bpermute_b32 v3, v4, v2
	v_xor_b32_e32 v4, 2, v1
	v_cmp_gt_i32_e32 vcc_lo, 32, v4
	v_cndmask_b32_e32 v4, v1, v4, vcc_lo
	v_lshlrev_b32_e32 v4, 2, v4
	s_waitcnt lgkmcnt(0)
	v_add_f32_e32 v2, v2, v3
	ds_bpermute_b32 v3, v4, v2
	v_xor_b32_e32 v4, 1, v1
	v_cmp_gt_i32_e32 vcc_lo, 32, v4
	v_cndmask_b32_e32 v1, v1, v4, vcc_lo
	v_cmp_eq_u32_e32 vcc_lo, 0, v0
	v_lshlrev_b32_e32 v4, 2, v1
	s_waitcnt lgkmcnt(0)
	v_add_f32_e32 v1, v2, v3
	ds_bpermute_b32 v2, v4, v1
	s_and_b32 exec_lo, exec_lo, vcc_lo
	s_cbranch_execz .LBB196_14
; %bb.13:
	s_load_dwordx2 s[0:1], s[4:5], 0x38
	s_mul_i32 s2, s2, s10
	s_mul_i32 s3, s14, s8
	s_add_i32 s2, s2, s6
	s_waitcnt lgkmcnt(0)
	v_add_f32_e32 v0, v1, v2
	s_add_i32 s2, s2, s3
	s_mov_b32 s3, 0
	v_mov_b32_e32 v1, 0
	s_lshl_b64 s[2:3], s[2:3], 2
	s_add_u32 s0, s0, s2
	s_addc_u32 s1, s1, s3
	global_store_dword v1, v0, s[0:1]
.LBB196_14:
	s_endpgm
	.section	.rodata,"a",@progbits
	.p2align	6, 0x0
	.amdhsa_kernel _ZL13mul_mat_vec_qIL9ggml_type18ELi1ELb0ELb0EEvPKvS2_PKi31ggml_cuda_mm_fusion_args_devicePfj15HIP_vector_typeIjLj3EEjjjS8_jjjS8_jjjj
		.amdhsa_group_segment_fixed_size 0
		.amdhsa_private_segment_fixed_size 0
		.amdhsa_kernarg_size 144
		.amdhsa_user_sgpr_count 6
		.amdhsa_user_sgpr_private_segment_buffer 1
		.amdhsa_user_sgpr_dispatch_ptr 0
		.amdhsa_user_sgpr_queue_ptr 0
		.amdhsa_user_sgpr_kernarg_segment_ptr 1
		.amdhsa_user_sgpr_dispatch_id 0
		.amdhsa_user_sgpr_flat_scratch_init 0
		.amdhsa_user_sgpr_private_segment_size 0
		.amdhsa_wavefront_size32 1
		.amdhsa_uses_dynamic_stack 0
		.amdhsa_system_sgpr_private_segment_wavefront_offset 0
		.amdhsa_system_sgpr_workgroup_id_x 1
		.amdhsa_system_sgpr_workgroup_id_y 1
		.amdhsa_system_sgpr_workgroup_id_z 1
		.amdhsa_system_sgpr_workgroup_info 0
		.amdhsa_system_vgpr_workitem_id 1
		.amdhsa_next_free_vgpr 63
		.amdhsa_next_free_sgpr 22
		.amdhsa_reserve_vcc 1
		.amdhsa_reserve_flat_scratch 0
		.amdhsa_float_round_mode_32 0
		.amdhsa_float_round_mode_16_64 0
		.amdhsa_float_denorm_mode_32 3
		.amdhsa_float_denorm_mode_16_64 3
		.amdhsa_dx10_clamp 1
		.amdhsa_ieee_mode 1
		.amdhsa_fp16_overflow 0
		.amdhsa_workgroup_processor_mode 1
		.amdhsa_memory_ordered 1
		.amdhsa_forward_progress 1
		.amdhsa_shared_vgpr_count 0
		.amdhsa_exception_fp_ieee_invalid_op 0
		.amdhsa_exception_fp_denorm_src 0
		.amdhsa_exception_fp_ieee_div_zero 0
		.amdhsa_exception_fp_ieee_overflow 0
		.amdhsa_exception_fp_ieee_underflow 0
		.amdhsa_exception_fp_ieee_inexact 0
		.amdhsa_exception_int_div_zero 0
	.end_amdhsa_kernel
	.section	.text._ZL13mul_mat_vec_qIL9ggml_type18ELi1ELb0ELb0EEvPKvS2_PKi31ggml_cuda_mm_fusion_args_devicePfj15HIP_vector_typeIjLj3EEjjjS8_jjjS8_jjjj,"axG",@progbits,_ZL13mul_mat_vec_qIL9ggml_type18ELi1ELb0ELb0EEvPKvS2_PKi31ggml_cuda_mm_fusion_args_devicePfj15HIP_vector_typeIjLj3EEjjjS8_jjjS8_jjjj,comdat
.Lfunc_end196:
	.size	_ZL13mul_mat_vec_qIL9ggml_type18ELi1ELb0ELb0EEvPKvS2_PKi31ggml_cuda_mm_fusion_args_devicePfj15HIP_vector_typeIjLj3EEjjjS8_jjjS8_jjjj, .Lfunc_end196-_ZL13mul_mat_vec_qIL9ggml_type18ELi1ELb0ELb0EEvPKvS2_PKi31ggml_cuda_mm_fusion_args_devicePfj15HIP_vector_typeIjLj3EEjjjS8_jjjS8_jjjj
                                        ; -- End function
	.set _ZL13mul_mat_vec_qIL9ggml_type18ELi1ELb0ELb0EEvPKvS2_PKi31ggml_cuda_mm_fusion_args_devicePfj15HIP_vector_typeIjLj3EEjjjS8_jjjS8_jjjj.num_vgpr, 63
	.set _ZL13mul_mat_vec_qIL9ggml_type18ELi1ELb0ELb0EEvPKvS2_PKi31ggml_cuda_mm_fusion_args_devicePfj15HIP_vector_typeIjLj3EEjjjS8_jjjS8_jjjj.num_agpr, 0
	.set _ZL13mul_mat_vec_qIL9ggml_type18ELi1ELb0ELb0EEvPKvS2_PKi31ggml_cuda_mm_fusion_args_devicePfj15HIP_vector_typeIjLj3EEjjjS8_jjjS8_jjjj.numbered_sgpr, 22
	.set _ZL13mul_mat_vec_qIL9ggml_type18ELi1ELb0ELb0EEvPKvS2_PKi31ggml_cuda_mm_fusion_args_devicePfj15HIP_vector_typeIjLj3EEjjjS8_jjjS8_jjjj.num_named_barrier, 0
	.set _ZL13mul_mat_vec_qIL9ggml_type18ELi1ELb0ELb0EEvPKvS2_PKi31ggml_cuda_mm_fusion_args_devicePfj15HIP_vector_typeIjLj3EEjjjS8_jjjS8_jjjj.private_seg_size, 0
	.set _ZL13mul_mat_vec_qIL9ggml_type18ELi1ELb0ELb0EEvPKvS2_PKi31ggml_cuda_mm_fusion_args_devicePfj15HIP_vector_typeIjLj3EEjjjS8_jjjS8_jjjj.uses_vcc, 1
	.set _ZL13mul_mat_vec_qIL9ggml_type18ELi1ELb0ELb0EEvPKvS2_PKi31ggml_cuda_mm_fusion_args_devicePfj15HIP_vector_typeIjLj3EEjjjS8_jjjS8_jjjj.uses_flat_scratch, 0
	.set _ZL13mul_mat_vec_qIL9ggml_type18ELi1ELb0ELb0EEvPKvS2_PKi31ggml_cuda_mm_fusion_args_devicePfj15HIP_vector_typeIjLj3EEjjjS8_jjjS8_jjjj.has_dyn_sized_stack, 0
	.set _ZL13mul_mat_vec_qIL9ggml_type18ELi1ELb0ELb0EEvPKvS2_PKi31ggml_cuda_mm_fusion_args_devicePfj15HIP_vector_typeIjLj3EEjjjS8_jjjS8_jjjj.has_recursion, 0
	.set _ZL13mul_mat_vec_qIL9ggml_type18ELi1ELb0ELb0EEvPKvS2_PKi31ggml_cuda_mm_fusion_args_devicePfj15HIP_vector_typeIjLj3EEjjjS8_jjjS8_jjjj.has_indirect_call, 0
	.section	.AMDGPU.csdata,"",@progbits
; Kernel info:
; codeLenInByte = 3056
; TotalNumSgprs: 24
; NumVgprs: 63
; ScratchSize: 0
; MemoryBound: 0
; FloatMode: 240
; IeeeMode: 1
; LDSByteSize: 0 bytes/workgroup (compile time only)
; SGPRBlocks: 0
; VGPRBlocks: 7
; NumSGPRsForWavesPerEU: 24
; NumVGPRsForWavesPerEU: 63
; Occupancy: 16
; WaveLimiterHint : 0
; COMPUTE_PGM_RSRC2:SCRATCH_EN: 0
; COMPUTE_PGM_RSRC2:USER_SGPR: 6
; COMPUTE_PGM_RSRC2:TRAP_HANDLER: 0
; COMPUTE_PGM_RSRC2:TGID_X_EN: 1
; COMPUTE_PGM_RSRC2:TGID_Y_EN: 1
; COMPUTE_PGM_RSRC2:TGID_Z_EN: 1
; COMPUTE_PGM_RSRC2:TIDIG_COMP_CNT: 1
	.section	.text._ZL13mul_mat_vec_qIL9ggml_type18ELi2ELb0ELb0EEvPKvS2_PKi31ggml_cuda_mm_fusion_args_devicePfj15HIP_vector_typeIjLj3EEjjjS8_jjjS8_jjjj,"axG",@progbits,_ZL13mul_mat_vec_qIL9ggml_type18ELi2ELb0ELb0EEvPKvS2_PKi31ggml_cuda_mm_fusion_args_devicePfj15HIP_vector_typeIjLj3EEjjjS8_jjjS8_jjjj,comdat
	.globl	_ZL13mul_mat_vec_qIL9ggml_type18ELi2ELb0ELb0EEvPKvS2_PKi31ggml_cuda_mm_fusion_args_devicePfj15HIP_vector_typeIjLj3EEjjjS8_jjjS8_jjjj ; -- Begin function _ZL13mul_mat_vec_qIL9ggml_type18ELi2ELb0ELb0EEvPKvS2_PKi31ggml_cuda_mm_fusion_args_devicePfj15HIP_vector_typeIjLj3EEjjjS8_jjjS8_jjjj
	.p2align	8
	.type	_ZL13mul_mat_vec_qIL9ggml_type18ELi2ELb0ELb0EEvPKvS2_PKi31ggml_cuda_mm_fusion_args_devicePfj15HIP_vector_typeIjLj3EEjjjS8_jjjS8_jjjj,@function
_ZL13mul_mat_vec_qIL9ggml_type18ELi2ELb0ELb0EEvPKvS2_PKi31ggml_cuda_mm_fusion_args_devicePfj15HIP_vector_typeIjLj3EEjjjS8_jjjS8_jjjj: ; @_ZL13mul_mat_vec_qIL9ggml_type18ELi2ELb0ELb0EEvPKvS2_PKi31ggml_cuda_mm_fusion_args_devicePfj15HIP_vector_typeIjLj3EEjjjS8_jjjS8_jjjj
; %bb.0:
	s_clause 0x5
	s_load_dword s9, s[4:5], 0x40
	s_load_dwordx4 s[0:3], s[4:5], 0x50
	s_load_dword s24, s[4:5], 0x60
	s_load_dwordx4 s[12:15], s[4:5], 0x68
	;; [unrolled: 2-line block ×3, first 2 shown]
	v_lshl_or_b32 v2, v1, 5, v0
	v_mov_b32_e32 v8, 0
	v_mov_b32_e32 v10, 0
	v_lshrrev_b32_e32 v9, 3, v2
	s_waitcnt lgkmcnt(0)
	s_lshr_b32 s10, s9, 8
	s_mov_b32 s9, exec_lo
	v_cmpx_gt_u32_e64 s10, v9
	s_cbranch_execz .LBB197_4
; %bb.1:
	s_mul_hi_u32 s3, s3, s7
	s_mul_i32 s13, s13, s7
	s_add_i32 s3, s7, s3
	s_mul_hi_u32 s25, s13, 36
	s_lshr_b32 s3, s3, s24
	s_mul_i32 s24, s13, 36
	s_load_dwordx4 s[20:23], s[4:5], 0x0
	v_mad_u64_u32 v[2:3], null, 0x120, v9, s[24:25]
	s_mul_i32 s3, s3, s12
	s_mul_i32 s12, s17, s8
	v_lshlrev_b32_e32 v4, 1, v0
	v_and_b32_e32 v6, 7, v0
	s_mul_hi_u32 s15, s15, s8
	s_mul_hi_u32 s13, s12, 36
	v_mad_u64_u32 v[2:3], null, s12, 36, v[2:3]
	v_and_b32_e32 v7, 14, v4
	s_add_i32 s15, s8, s15
	s_mul_i32 s0, s0, s6
	s_lshr_b32 s11, s15, s11
	s_mul_i32 s15, s12, 36
	v_lshlrev_b32_e32 v8, 1, v7
	v_mad_u64_u32 v[4:5], null, v6, 36, v[2:3]
	v_mov_b32_e32 v11, 0
	s_waitcnt lgkmcnt(0)
	s_add_u32 s12, s22, s15
	s_addc_u32 s13, s23, s13
	s_add_u32 s12, s12, s24
	s_addc_u32 s13, s13, s25
	v_lshl_add_u32 v12, v9, 3, s1
	v_add_co_u32 v4, vcc_lo, s22, v4
	v_add_co_ci_u32_e64 v5, null, s23, v5, vcc_lo
	v_mad_u64_u32 v[2:3], null, v6, 36, s[12:13]
	v_add_co_u32 v4, vcc_lo, v4, 32
	v_add_co_ci_u32_e64 v5, null, 0, v5, vcc_lo
	v_lshlrev_b32_e32 v13, 1, v8
	v_lshlrev_b32_e32 v14, 1, v7
	v_mov_b32_e32 v15, 2
	v_mov_b32_e32 v8, 0
	;; [unrolled: 1-line block ×3, first 2 shown]
	s_mul_i32 s11, s11, s16
	s_add_i32 s3, s3, s0
	s_add_i32 s11, s11, s3
	s_mov_b32 s3, 0
.LBB197_2:                              ; =>This Inner Loop Header: Depth=1
	v_add_nc_u32_e32 v6, s11, v9
	s_getpc_b64 s[0:1]
	s_add_u32 s0, s0, _ZL11iq3xxs_grid@rel32@lo+4
	s_addc_u32 s1, s1, _ZL11iq3xxs_grid@rel32@hi+12
	v_add_nc_u32_e32 v9, 4, v9
	v_mad_i64_i32 v[6:7], null, 0x62, v6, s[20:21]
	v_add_co_u32 v16, vcc_lo, v6, v13
	v_add_co_ci_u32_e64 v17, null, 0, v7, vcc_lo
	global_load_dwordx2 v[21:22], v[16:17], off offset:2
	v_add_co_u32 v16, vcc_lo, v6, v14
	v_add_co_ci_u32_e64 v17, null, 0, v7, vcc_lo
	global_load_ushort v6, v[6:7], off
	v_mov_b32_e32 v7, 0
	global_load_dword v23, v[16:17], off offset:66
	s_waitcnt vmcnt(2)
	v_lshlrev_b32_sdwa v16, v15, v21 dst_sel:DWORD dst_unused:UNUSED_PAD src0_sel:DWORD src1_sel:BYTE_0
	v_lshlrev_b32_sdwa v17, v15, v21 dst_sel:DWORD dst_unused:UNUSED_PAD src0_sel:DWORD src1_sel:BYTE_1
	s_clause 0x1
	global_load_dword v16, v16, s[0:1]
	global_load_dword v17, v17, s[0:1]
	s_waitcnt vmcnt(3)
	v_cvt_f32_f16_e32 v33, v6
	s_waitcnt vmcnt(2)
	v_and_b32_e32 v18, 0xff, v23
	v_bcnt_u32_b32 v19, v18, 0
	v_and_b32_e32 v19, 1, v19
	v_lshlrev_b32_e32 v19, 7, v19
	v_xor_b32_e32 v18, v19, v18
	v_mul_lo_u32 v18, 0x1010101, v18
	v_and_b32_e32 v19, 0x8040201, v18
	v_lshrrev_b32_e32 v20, 18, v18
	v_cmp_ne_u16_sdwa s12, v19, v11 src0_sel:BYTE_3 src1_sel:DWORD
	v_cmp_ne_u16_sdwa s13, v19, v11 src0_sel:BYTE_1 src1_sel:DWORD
	v_bfe_i32 v19, v18, 0, 1
	v_bfe_i32 v20, v20, 0, 1
	v_cndmask_b32_e64 v26, 0, -1, s12
	v_cndmask_b32_e64 v24, 0, -1, s13
	v_lshlrev_b16 v26, 8, v26
	v_lshlrev_b16 v24, 8, v24
	v_or_b32_sdwa v27, v20, v26 dst_sel:WORD_1 dst_unused:UNUSED_PAD src0_sel:BYTE_0 src1_sel:DWORD
	v_or_b32_sdwa v25, v19, v24 dst_sel:DWORD dst_unused:UNUSED_PAD src0_sel:BYTE_0 src1_sel:DWORD
	v_lshlrev_b16 v19, 8, v19
	v_lshlrev_b16 v20, 8, v20
	v_or_b32_sdwa v25, v25, v27 dst_sel:DWORD dst_unused:UNUSED_PAD src0_sel:WORD_0 src1_sel:DWORD
	s_waitcnt vmcnt(1)
	v_xor_b32_e32 v16, v16, v25
	v_lshrrev_b32_e32 v25, 16, v16
	v_and_b32_e32 v27, 0xffffff00, v16
	v_lshlrev_b16 v16, 8, v16
	v_sub_nc_i16 v24, v27, v24 clamp
	v_sub_nc_i16 v16, v16, v19 clamp
	v_and_b32_e32 v19, 0xffffff00, v25
	v_perm_b32 v16, v16, v24, 0xc0c0105
	v_lshlrev_b16 v24, 8, v25
	v_sub_nc_i16 v19, v19, v26 clamp
	v_sub_nc_i16 v20, v24, v20 clamp
	v_perm_b32 v19, v20, v19, 0xc0c0105
	v_lshl_or_b32 v16, v19, 16, v16
	v_and_b32_e32 v19, 0x80402010, v18
	v_lshrrev_b32_e32 v18, 22, v18
	v_cmp_ne_u16_sdwa s12, v19, v11 src0_sel:BYTE_3 src1_sel:DWORD
	v_cmp_ne_u16_sdwa s13, v19, v11 src0_sel:BYTE_1 src1_sel:DWORD
	v_lshrrev_b16 v19, 4, v19
	v_bfe_i32 v18, v18, 0, 1
	v_cndmask_b32_e64 v25, 0, -1, s12
	v_cndmask_b32_e64 v20, 0, -1, s13
	v_bfe_i32 v19, v19, 0, 1
	v_lshlrev_b16 v25, 8, v25
	v_lshlrev_b16 v20, 8, v20
	v_or_b32_sdwa v26, v18, v25 dst_sel:WORD_1 dst_unused:UNUSED_PAD src0_sel:BYTE_0 src1_sel:DWORD
	v_or_b32_sdwa v24, v19, v20 dst_sel:DWORD dst_unused:UNUSED_PAD src0_sel:BYTE_0 src1_sel:DWORD
	v_lshlrev_b16 v19, 8, v19
	v_lshlrev_b16 v18, 8, v18
	v_or_b32_sdwa v24, v24, v26 dst_sel:DWORD dst_unused:UNUSED_PAD src0_sel:WORD_0 src1_sel:DWORD
	s_waitcnt vmcnt(0)
	v_xor_b32_e32 v17, v17, v24
	v_lshrrev_b32_e32 v24, 16, v17
	v_and_b32_e32 v26, 0xffffff00, v17
	v_lshlrev_b16 v17, 8, v17
	v_sub_nc_i16 v20, v26, v20 clamp
	v_sub_nc_i16 v17, v17, v19 clamp
	v_and_b32_e32 v19, 0xffffff00, v24
	v_perm_b32 v17, v17, v20, 0xc0c0105
	v_lshlrev_b16 v20, 8, v24
	v_sub_nc_i16 v19, v19, v25 clamp
	v_sub_nc_i16 v18, v20, v18 clamp
	v_bfe_u32 v20, v23, 7, 8
	v_perm_b32 v18, v18, v19, 0xc0c0105
	v_lshlrev_b32_sdwa v19, v15, v21 dst_sel:DWORD dst_unused:UNUSED_PAD src0_sel:DWORD src1_sel:BYTE_3
	v_lshl_or_b32 v17, v18, 16, v17
	v_lshlrev_b32_sdwa v18, v15, v21 dst_sel:DWORD dst_unused:UNUSED_PAD src0_sel:DWORD src1_sel:BYTE_2
	global_load_dword v19, v19, s[0:1]
	v_bcnt_u32_b32 v21, v20, 0
	global_load_dword v18, v18, s[0:1]
	v_and_b32_e32 v21, 1, v21
	v_lshlrev_b32_e32 v21, 7, v21
	v_xor_b32_e32 v20, v21, v20
	v_mul_lo_u32 v20, 0x1010101, v20
	v_and_b32_e32 v21, 0x8040201, v20
	v_lshrrev_b32_e32 v24, 18, v20
	v_cmp_ne_u16_sdwa s12, v21, v11 src0_sel:BYTE_3 src1_sel:DWORD
	v_cmp_ne_u16_sdwa s13, v21, v11 src0_sel:BYTE_1 src1_sel:DWORD
	v_bfe_i32 v21, v20, 0, 1
	v_bfe_i32 v24, v24, 0, 1
	v_cndmask_b32_e64 v27, 0, -1, s12
	v_cndmask_b32_e64 v25, 0, -1, s13
	v_lshlrev_b16 v27, 8, v27
	v_lshlrev_b16 v25, 8, v25
	v_or_b32_sdwa v28, v24, v27 dst_sel:WORD_1 dst_unused:UNUSED_PAD src0_sel:BYTE_0 src1_sel:DWORD
	v_or_b32_sdwa v26, v21, v25 dst_sel:DWORD dst_unused:UNUSED_PAD src0_sel:BYTE_0 src1_sel:DWORD
	v_lshlrev_b16 v21, 8, v21
	v_lshlrev_b16 v24, 8, v24
	v_or_b32_sdwa v26, v26, v28 dst_sel:DWORD dst_unused:UNUSED_PAD src0_sel:WORD_0 src1_sel:DWORD
	s_waitcnt vmcnt(0)
	v_xor_b32_e32 v18, v18, v26
	v_lshrrev_b32_e32 v26, 16, v18
	v_and_b32_e32 v28, 0xffffff00, v18
	v_lshlrev_b16 v18, 8, v18
	v_sub_nc_i16 v25, v28, v25 clamp
	v_sub_nc_i16 v18, v18, v21 clamp
	v_and_b32_e32 v21, 0xffffff00, v26
	v_perm_b32 v18, v18, v25, 0xc0c0105
	v_lshlrev_b16 v25, 8, v26
	v_sub_nc_i16 v21, v21, v27 clamp
	v_sub_nc_i16 v24, v25, v24 clamp
	v_perm_b32 v21, v24, v21, 0xc0c0105
	v_lshl_or_b32 v18, v21, 16, v18
	v_and_b32_e32 v21, 0x80402010, v20
	v_lshrrev_b32_e32 v20, 22, v20
	v_cmp_ne_u16_sdwa s12, v21, v11 src0_sel:BYTE_3 src1_sel:DWORD
	v_cmp_ne_u16_sdwa s13, v21, v11 src0_sel:BYTE_1 src1_sel:DWORD
	v_lshrrev_b16 v21, 4, v21
	v_bfe_i32 v20, v20, 0, 1
	v_cndmask_b32_e64 v26, 0, -1, s12
	v_cndmask_b32_e64 v24, 0, -1, s13
	v_bfe_i32 v21, v21, 0, 1
	v_lshlrev_b16 v26, 8, v26
	v_lshlrev_b16 v24, 8, v24
	v_or_b32_sdwa v27, v20, v26 dst_sel:WORD_1 dst_unused:UNUSED_PAD src0_sel:BYTE_0 src1_sel:DWORD
	v_or_b32_sdwa v25, v21, v24 dst_sel:DWORD dst_unused:UNUSED_PAD src0_sel:BYTE_0 src1_sel:DWORD
	v_lshlrev_b16 v21, 8, v21
	v_lshlrev_b16 v20, 8, v20
	v_or_b32_sdwa v25, v25, v27 dst_sel:DWORD dst_unused:UNUSED_PAD src0_sel:WORD_0 src1_sel:DWORD
	v_xor_b32_e32 v19, v19, v25
	v_lshrrev_b32_e32 v25, 16, v19
	v_and_b32_e32 v27, 0xffffff00, v19
	v_lshlrev_b16 v19, 8, v19
	v_sub_nc_i16 v24, v27, v24 clamp
	v_sub_nc_i16 v19, v19, v21 clamp
	v_and_b32_e32 v21, 0xffffff00, v25
	v_perm_b32 v19, v19, v24, 0xc0c0105
	v_lshlrev_b16 v24, 8, v25
	v_sub_nc_i16 v21, v21, v26 clamp
	v_sub_nc_i16 v20, v24, v20 clamp
	v_bfe_u32 v24, v23, 14, 8
	v_perm_b32 v20, v20, v21, 0xc0c0105
	v_lshlrev_b32_sdwa v21, v15, v22 dst_sel:DWORD dst_unused:UNUSED_PAD src0_sel:DWORD src1_sel:BYTE_1
	v_bcnt_u32_b32 v25, v24, 0
	v_lshl_or_b32 v19, v20, 16, v19
	v_lshlrev_b32_sdwa v20, v15, v22 dst_sel:DWORD dst_unused:UNUSED_PAD src0_sel:DWORD src1_sel:BYTE_0
	global_load_dword v21, v21, s[0:1]
	v_and_b32_e32 v25, 1, v25
	global_load_dword v20, v20, s[0:1]
	v_lshlrev_b32_e32 v25, 7, v25
	v_xor_b32_e32 v24, v25, v24
	v_mul_lo_u32 v24, 0x1010101, v24
	v_and_b32_e32 v25, 0x8040201, v24
	v_lshrrev_b32_e32 v26, 18, v24
	v_cmp_ne_u16_sdwa s12, v25, v11 src0_sel:BYTE_3 src1_sel:DWORD
	v_cmp_ne_u16_sdwa s13, v25, v11 src0_sel:BYTE_1 src1_sel:DWORD
	v_bfe_i32 v25, v24, 0, 1
	v_bfe_i32 v26, v26, 0, 1
	v_cndmask_b32_e64 v29, 0, -1, s12
	v_cndmask_b32_e64 v27, 0, -1, s13
	v_lshlrev_b16 v29, 8, v29
	v_lshlrev_b16 v27, 8, v27
	v_or_b32_sdwa v30, v26, v29 dst_sel:WORD_1 dst_unused:UNUSED_PAD src0_sel:BYTE_0 src1_sel:DWORD
	v_or_b32_sdwa v28, v25, v27 dst_sel:DWORD dst_unused:UNUSED_PAD src0_sel:BYTE_0 src1_sel:DWORD
	v_lshlrev_b16 v25, 8, v25
	v_lshlrev_b16 v26, 8, v26
	v_or_b32_sdwa v28, v28, v30 dst_sel:DWORD dst_unused:UNUSED_PAD src0_sel:WORD_0 src1_sel:DWORD
	s_waitcnt vmcnt(0)
	v_xor_b32_e32 v20, v20, v28
	v_lshrrev_b32_e32 v28, 16, v20
	v_and_b32_e32 v30, 0xffffff00, v20
	v_lshlrev_b16 v20, 8, v20
	v_sub_nc_i16 v27, v30, v27 clamp
	v_sub_nc_i16 v20, v20, v25 clamp
	v_and_b32_e32 v25, 0xffffff00, v28
	v_perm_b32 v20, v20, v27, 0xc0c0105
	v_lshlrev_b16 v27, 8, v28
	v_sub_nc_i16 v25, v25, v29 clamp
	v_sub_nc_i16 v26, v27, v26 clamp
	v_perm_b32 v25, v26, v25, 0xc0c0105
	v_lshl_or_b32 v20, v25, 16, v20
	v_and_b32_e32 v25, 0x80402010, v24
	v_lshrrev_b32_e32 v24, 22, v24
	v_cmp_ne_u16_sdwa s12, v25, v11 src0_sel:BYTE_3 src1_sel:DWORD
	v_cmp_ne_u16_sdwa s13, v25, v11 src0_sel:BYTE_1 src1_sel:DWORD
	v_lshrrev_b16 v25, 4, v25
	v_bfe_i32 v24, v24, 0, 1
	v_cndmask_b32_e64 v28, 0, -1, s12
	v_cndmask_b32_e64 v26, 0, -1, s13
	v_bfe_i32 v25, v25, 0, 1
	v_lshlrev_b16 v28, 8, v28
	v_lshlrev_b16 v26, 8, v26
	v_or_b32_sdwa v29, v24, v28 dst_sel:WORD_1 dst_unused:UNUSED_PAD src0_sel:BYTE_0 src1_sel:DWORD
	v_or_b32_sdwa v27, v25, v26 dst_sel:DWORD dst_unused:UNUSED_PAD src0_sel:BYTE_0 src1_sel:DWORD
	v_lshlrev_b16 v25, 8, v25
	v_lshlrev_b16 v24, 8, v24
	v_or_b32_sdwa v27, v27, v29 dst_sel:DWORD dst_unused:UNUSED_PAD src0_sel:WORD_0 src1_sel:DWORD
	v_xor_b32_e32 v21, v21, v27
	v_lshrrev_b32_e32 v27, 16, v21
	v_and_b32_e32 v29, 0xffffff00, v21
	v_lshlrev_b16 v21, 8, v21
	v_sub_nc_i16 v26, v29, v26 clamp
	v_sub_nc_i16 v21, v21, v25 clamp
	v_and_b32_e32 v25, 0xffffff00, v27
	v_perm_b32 v21, v21, v26, 0xc0c0105
	v_lshlrev_b16 v26, 8, v27
	v_sub_nc_i16 v25, v25, v28 clamp
	v_sub_nc_i16 v24, v26, v24 clamp
	v_perm_b32 v24, v24, v25, 0xc0c0105
	v_lshl_or_b32 v21, v24, 16, v21
	v_lshlrev_b32_sdwa v24, v15, v22 dst_sel:DWORD dst_unused:UNUSED_PAD src0_sel:DWORD src1_sel:BYTE_2
	v_lshlrev_b32_sdwa v22, v15, v22 dst_sel:DWORD dst_unused:UNUSED_PAD src0_sel:DWORD src1_sel:BYTE_3
	s_clause 0x1
	global_load_dword v24, v24, s[0:1]
	global_load_dword v25, v22, s[0:1]
	v_bfe_u32 v22, v23, 21, 8
	v_lshrrev_b32_e32 v23, 28, v23
	v_bcnt_u32_b32 v26, v22, 0
	v_and_b32_e32 v26, 1, v26
	v_lshlrev_b32_e32 v26, 7, v26
	v_xor_b32_e32 v22, v26, v22
	v_mul_lo_u32 v26, 0x1010101, v22
	v_and_b32_e32 v22, 0x8040201, v26
	v_lshrrev_b32_e32 v27, 18, v26
	v_cmp_ne_u16_sdwa s0, v22, v11 src0_sel:BYTE_3 src1_sel:DWORD
	v_cmp_ne_u16_sdwa s1, v22, v11 src0_sel:BYTE_1 src1_sel:DWORD
	v_bfe_i32 v22, v26, 0, 1
	v_bfe_i32 v27, v27, 0, 1
	v_cndmask_b32_e64 v30, 0, -1, s0
	v_cndmask_b32_e64 v28, 0, -1, s1
	v_lshlrev_b16 v30, 8, v30
	v_lshlrev_b16 v28, 8, v28
	v_or_b32_sdwa v31, v27, v30 dst_sel:WORD_1 dst_unused:UNUSED_PAD src0_sel:BYTE_0 src1_sel:DWORD
	v_or_b32_sdwa v29, v22, v28 dst_sel:DWORD dst_unused:UNUSED_PAD src0_sel:BYTE_0 src1_sel:DWORD
	v_lshlrev_b16 v22, 8, v22
	v_lshlrev_b16 v27, 8, v27
	v_or_b32_sdwa v29, v29, v31 dst_sel:DWORD dst_unused:UNUSED_PAD src0_sel:WORD_0 src1_sel:DWORD
	s_waitcnt vmcnt(1)
	v_xor_b32_e32 v24, v24, v29
	v_lshrrev_b32_e32 v29, 16, v24
	v_and_b32_e32 v31, 0xffffff00, v24
	v_lshlrev_b16 v24, 8, v24
	v_sub_nc_i16 v28, v31, v28 clamp
	v_sub_nc_i16 v22, v24, v22 clamp
	v_and_b32_e32 v24, 0xffffff00, v29
	v_perm_b32 v22, v22, v28, 0xc0c0105
	v_lshlrev_b16 v28, 8, v29
	v_sub_nc_i16 v24, v24, v30 clamp
	v_sub_nc_i16 v27, v28, v27 clamp
	v_perm_b32 v24, v27, v24, 0xc0c0105
	v_lshl_or_b32 v22, v24, 16, v22
	v_and_b32_e32 v24, 0x80402010, v26
	v_lshrrev_b32_e32 v26, 22, v26
	v_cmp_ne_u16_sdwa s0, v24, v11 src0_sel:BYTE_3 src1_sel:DWORD
	v_cmp_ne_u16_sdwa s1, v24, v11 src0_sel:BYTE_1 src1_sel:DWORD
	v_lshrrev_b16 v24, 4, v24
	v_bfe_i32 v26, v26, 0, 1
	v_cndmask_b32_e64 v29, 0, -1, s0
	v_cndmask_b32_e64 v27, 0, -1, s1
	v_bfe_i32 v24, v24, 0, 1
	v_lshlrev_b16 v29, 8, v29
	v_lshlrev_b16 v27, 8, v27
	v_or_b32_sdwa v30, v26, v29 dst_sel:WORD_1 dst_unused:UNUSED_PAD src0_sel:BYTE_0 src1_sel:DWORD
	v_or_b32_sdwa v28, v24, v27 dst_sel:DWORD dst_unused:UNUSED_PAD src0_sel:BYTE_0 src1_sel:DWORD
	v_lshlrev_b16 v24, 8, v24
	v_lshlrev_b16 v26, 8, v26
	v_or_b32_sdwa v28, v28, v30 dst_sel:DWORD dst_unused:UNUSED_PAD src0_sel:WORD_0 src1_sel:DWORD
	s_waitcnt vmcnt(0)
	v_xor_b32_e32 v25, v25, v28
	v_lshrrev_b32_e32 v28, 16, v25
	v_and_b32_e32 v30, 0xffffff00, v25
	v_lshlrev_b16 v25, 8, v25
	v_sub_nc_i16 v27, v30, v27 clamp
	v_sub_nc_i16 v24, v25, v24 clamp
	v_and_b32_e32 v25, 0xffffff00, v28
	v_perm_b32 v24, v24, v27, 0xc0c0105
	v_lshlrev_b16 v27, 8, v28
	v_sub_nc_i16 v25, v25, v29 clamp
	v_sub_nc_i16 v26, v27, v26 clamp
	v_perm_b32 v25, v26, v25, 0xc0c0105
	v_lshl_or_b32 v24, v25, 16, v24
	s_clause 0x2
	global_load_dwordx4 v[25:28], v[4:5], off offset:-32
	global_load_dword v6, v[4:5], off
	global_load_dwordx4 v[29:32], v[4:5], off offset:-16
	v_add_co_u32 v4, vcc_lo, 0x480, v4
	v_add_co_ci_u32_e64 v5, null, 0, v5, vcc_lo
	v_cmp_le_u32_e32 vcc_lo, s10, v9
	s_or_b32 s3, vcc_lo, s3
	s_waitcnt vmcnt(2)
	v_dot4c_i32_i8 v7, v16, v26
	v_dot4c_i32_i8 v7, v17, v27
	;; [unrolled: 1-line block ×3, first 2 shown]
	s_waitcnt vmcnt(0)
	v_dot4c_i32_i8 v7, v19, v29
	v_dot4c_i32_i8 v7, v20, v30
	;; [unrolled: 1-line block ×5, first 2 shown]
	v_lshrrev_b32_e32 v6, 31, v7
	v_add_nc_u32_e32 v6, v7, v6
	v_ashrrev_i32_e32 v6, 1, v6
	v_mad_u64_u32 v[6:7], null, v7, v23, v[6:7]
	v_lshrrev_b32_e32 v7, 31, v6
	v_add_nc_u32_e32 v6, v6, v7
	v_cvt_f32_f16_e32 v7, v25
	v_ashrrev_i32_e32 v6, 1, v6
	v_mul_f32_e32 v7, v33, v7
	v_cvt_f32_i32_e32 v6, v6
	v_fmac_f32_e32 v10, v7, v6
	v_mad_u64_u32 v[6:7], null, v12, 36, v[2:3]
	s_clause 0x2
	global_load_dwordx4 v[25:28], v[6:7], off
	global_load_dword v34, v[6:7], off offset:32
	global_load_dwordx4 v[29:32], v[6:7], off offset:16
	v_mov_b32_e32 v7, 0
	v_add_nc_u32_e32 v12, 32, v12
	s_waitcnt vmcnt(2)
	v_dot4c_i32_i8 v7, v16, v26
	v_dot4c_i32_i8 v7, v17, v27
	;; [unrolled: 1-line block ×3, first 2 shown]
	s_waitcnt vmcnt(0)
	v_dot4c_i32_i8 v7, v19, v29
	v_dot4c_i32_i8 v7, v20, v30
	;; [unrolled: 1-line block ×5, first 2 shown]
	v_lshrrev_b32_e32 v6, 31, v7
	v_add_nc_u32_e32 v6, v7, v6
	v_ashrrev_i32_e32 v6, 1, v6
	v_mad_u64_u32 v[6:7], null, v7, v23, v[6:7]
	v_lshrrev_b32_e32 v7, 31, v6
	v_add_nc_u32_e32 v6, v6, v7
	v_cvt_f32_f16_e32 v7, v25
	v_ashrrev_i32_e32 v6, 1, v6
	v_mul_f32_e32 v7, v33, v7
	v_cvt_f32_i32_e32 v6, v6
	v_fmac_f32_e32 v8, v7, v6
	s_andn2_b32 exec_lo, exec_lo, s3
	s_cbranch_execnz .LBB197_2
; %bb.3:
	s_or_b32 exec_lo, exec_lo, s3
.LBB197_4:
	s_or_b32 exec_lo, exec_lo, s9
	s_mov_b32 s1, 0
	; wave barrier
	buffer_gl0_inv
	s_mov_b32 s0, exec_lo
	v_cmpx_eq_u32_e32 0, v1
	s_cbranch_execz .LBB197_9
; %bb.5:
	v_mbcnt_lo_u32_b32 v5, -1, 0
	s_load_dwordx2 s[4:5], s[4:5], 0x38
	s_mul_i32 s0, s14, s7
	s_mul_i32 s3, s18, s8
	s_add_i32 s0, s0, s6
	v_xor_b32_e32 v1, 16, v5
	v_xor_b32_e32 v2, 8, v5
	;; [unrolled: 1-line block ×3, first 2 shown]
	s_add_i32 s0, s0, s3
	s_lshl_b64 s[0:1], s[0:1], 2
	v_cmp_gt_i32_e32 vcc_lo, 32, v1
	v_cndmask_b32_e32 v1, v5, v1, vcc_lo
	v_cmp_gt_i32_e32 vcc_lo, 32, v2
	v_lshlrev_b32_e32 v1, 2, v1
	v_cndmask_b32_e32 v2, v5, v2, vcc_lo
	s_waitcnt lgkmcnt(0)
	s_add_u32 s0, s4, s0
	s_addc_u32 s1, s5, s1
	ds_bpermute_b32 v3, v1, v10
	v_lshlrev_b32_e32 v2, 2, v2
	s_waitcnt lgkmcnt(0)
	v_add_f32_e32 v4, v10, v3
	v_xor_b32_e32 v3, 4, v5
	ds_bpermute_b32 v6, v2, v4
	v_cmp_gt_i32_e32 vcc_lo, 32, v3
	v_cndmask_b32_e32 v3, v5, v3, vcc_lo
	v_lshlrev_b32_e32 v3, 2, v3
	s_waitcnt lgkmcnt(0)
	v_add_f32_e32 v6, v4, v6
	v_xor_b32_e32 v4, 2, v5
	ds_bpermute_b32 v7, v3, v6
	v_cmp_gt_i32_e32 vcc_lo, 32, v4
	v_cndmask_b32_e32 v4, v5, v4, vcc_lo
	v_cmp_gt_i32_e32 vcc_lo, 32, v9
	v_lshlrev_b32_e32 v4, 2, v4
	v_cndmask_b32_e32 v5, v5, v9, vcc_lo
	v_cmp_eq_u32_e32 vcc_lo, 0, v0
	v_lshlrev_b32_e32 v5, 2, v5
	s_waitcnt lgkmcnt(0)
	v_add_f32_e32 v6, v6, v7
	ds_bpermute_b32 v7, v4, v6
	s_waitcnt lgkmcnt(0)
	v_add_f32_e32 v6, v6, v7
	ds_bpermute_b32 v7, v5, v6
	s_and_saveexec_b32 s3, vcc_lo
	s_cbranch_execz .LBB197_7
; %bb.6:
	s_waitcnt lgkmcnt(0)
	v_add_f32_e32 v0, v6, v7
	v_mov_b32_e32 v6, 0
	global_store_dword v6, v0, s[0:1]
.LBB197_7:
	s_or_b32 exec_lo, exec_lo, s3
	ds_bpermute_b32 v0, v1, v8
	s_waitcnt lgkmcnt(0)
	v_add_f32_e32 v0, v8, v0
	ds_bpermute_b32 v1, v2, v0
	s_waitcnt lgkmcnt(0)
	v_add_f32_e32 v0, v0, v1
	;; [unrolled: 3-line block ×4, first 2 shown]
	ds_bpermute_b32 v1, v5, v0
	s_and_b32 exec_lo, exec_lo, vcc_lo
	s_cbranch_execz .LBB197_9
; %bb.8:
	s_mov_b32 s3, 0
	s_waitcnt lgkmcnt(0)
	v_add_f32_e32 v0, v0, v1
	s_lshl_b64 s[2:3], s[2:3], 2
	v_mov_b32_e32 v1, 0
	s_add_u32 s0, s0, s2
	s_addc_u32 s1, s1, s3
	global_store_dword v1, v0, s[0:1]
.LBB197_9:
	s_endpgm
	.section	.rodata,"a",@progbits
	.p2align	6, 0x0
	.amdhsa_kernel _ZL13mul_mat_vec_qIL9ggml_type18ELi2ELb0ELb0EEvPKvS2_PKi31ggml_cuda_mm_fusion_args_devicePfj15HIP_vector_typeIjLj3EEjjjS8_jjjS8_jjjj
		.amdhsa_group_segment_fixed_size 0
		.amdhsa_private_segment_fixed_size 0
		.amdhsa_kernarg_size 144
		.amdhsa_user_sgpr_count 6
		.amdhsa_user_sgpr_private_segment_buffer 1
		.amdhsa_user_sgpr_dispatch_ptr 0
		.amdhsa_user_sgpr_queue_ptr 0
		.amdhsa_user_sgpr_kernarg_segment_ptr 1
		.amdhsa_user_sgpr_dispatch_id 0
		.amdhsa_user_sgpr_flat_scratch_init 0
		.amdhsa_user_sgpr_private_segment_size 0
		.amdhsa_wavefront_size32 1
		.amdhsa_uses_dynamic_stack 0
		.amdhsa_system_sgpr_private_segment_wavefront_offset 0
		.amdhsa_system_sgpr_workgroup_id_x 1
		.amdhsa_system_sgpr_workgroup_id_y 1
		.amdhsa_system_sgpr_workgroup_id_z 1
		.amdhsa_system_sgpr_workgroup_info 0
		.amdhsa_system_vgpr_workitem_id 1
		.amdhsa_next_free_vgpr 35
		.amdhsa_next_free_sgpr 26
		.amdhsa_reserve_vcc 1
		.amdhsa_reserve_flat_scratch 0
		.amdhsa_float_round_mode_32 0
		.amdhsa_float_round_mode_16_64 0
		.amdhsa_float_denorm_mode_32 3
		.amdhsa_float_denorm_mode_16_64 3
		.amdhsa_dx10_clamp 1
		.amdhsa_ieee_mode 1
		.amdhsa_fp16_overflow 0
		.amdhsa_workgroup_processor_mode 1
		.amdhsa_memory_ordered 1
		.amdhsa_forward_progress 1
		.amdhsa_shared_vgpr_count 0
		.amdhsa_exception_fp_ieee_invalid_op 0
		.amdhsa_exception_fp_denorm_src 0
		.amdhsa_exception_fp_ieee_div_zero 0
		.amdhsa_exception_fp_ieee_overflow 0
		.amdhsa_exception_fp_ieee_underflow 0
		.amdhsa_exception_fp_ieee_inexact 0
		.amdhsa_exception_int_div_zero 0
	.end_amdhsa_kernel
	.section	.text._ZL13mul_mat_vec_qIL9ggml_type18ELi2ELb0ELb0EEvPKvS2_PKi31ggml_cuda_mm_fusion_args_devicePfj15HIP_vector_typeIjLj3EEjjjS8_jjjS8_jjjj,"axG",@progbits,_ZL13mul_mat_vec_qIL9ggml_type18ELi2ELb0ELb0EEvPKvS2_PKi31ggml_cuda_mm_fusion_args_devicePfj15HIP_vector_typeIjLj3EEjjjS8_jjjS8_jjjj,comdat
.Lfunc_end197:
	.size	_ZL13mul_mat_vec_qIL9ggml_type18ELi2ELb0ELb0EEvPKvS2_PKi31ggml_cuda_mm_fusion_args_devicePfj15HIP_vector_typeIjLj3EEjjjS8_jjjS8_jjjj, .Lfunc_end197-_ZL13mul_mat_vec_qIL9ggml_type18ELi2ELb0ELb0EEvPKvS2_PKi31ggml_cuda_mm_fusion_args_devicePfj15HIP_vector_typeIjLj3EEjjjS8_jjjS8_jjjj
                                        ; -- End function
	.set _ZL13mul_mat_vec_qIL9ggml_type18ELi2ELb0ELb0EEvPKvS2_PKi31ggml_cuda_mm_fusion_args_devicePfj15HIP_vector_typeIjLj3EEjjjS8_jjjS8_jjjj.num_vgpr, 35
	.set _ZL13mul_mat_vec_qIL9ggml_type18ELi2ELb0ELb0EEvPKvS2_PKi31ggml_cuda_mm_fusion_args_devicePfj15HIP_vector_typeIjLj3EEjjjS8_jjjS8_jjjj.num_agpr, 0
	.set _ZL13mul_mat_vec_qIL9ggml_type18ELi2ELb0ELb0EEvPKvS2_PKi31ggml_cuda_mm_fusion_args_devicePfj15HIP_vector_typeIjLj3EEjjjS8_jjjS8_jjjj.numbered_sgpr, 26
	.set _ZL13mul_mat_vec_qIL9ggml_type18ELi2ELb0ELb0EEvPKvS2_PKi31ggml_cuda_mm_fusion_args_devicePfj15HIP_vector_typeIjLj3EEjjjS8_jjjS8_jjjj.num_named_barrier, 0
	.set _ZL13mul_mat_vec_qIL9ggml_type18ELi2ELb0ELb0EEvPKvS2_PKi31ggml_cuda_mm_fusion_args_devicePfj15HIP_vector_typeIjLj3EEjjjS8_jjjS8_jjjj.private_seg_size, 0
	.set _ZL13mul_mat_vec_qIL9ggml_type18ELi2ELb0ELb0EEvPKvS2_PKi31ggml_cuda_mm_fusion_args_devicePfj15HIP_vector_typeIjLj3EEjjjS8_jjjS8_jjjj.uses_vcc, 1
	.set _ZL13mul_mat_vec_qIL9ggml_type18ELi2ELb0ELb0EEvPKvS2_PKi31ggml_cuda_mm_fusion_args_devicePfj15HIP_vector_typeIjLj3EEjjjS8_jjjS8_jjjj.uses_flat_scratch, 0
	.set _ZL13mul_mat_vec_qIL9ggml_type18ELi2ELb0ELb0EEvPKvS2_PKi31ggml_cuda_mm_fusion_args_devicePfj15HIP_vector_typeIjLj3EEjjjS8_jjjS8_jjjj.has_dyn_sized_stack, 0
	.set _ZL13mul_mat_vec_qIL9ggml_type18ELi2ELb0ELb0EEvPKvS2_PKi31ggml_cuda_mm_fusion_args_devicePfj15HIP_vector_typeIjLj3EEjjjS8_jjjS8_jjjj.has_recursion, 0
	.set _ZL13mul_mat_vec_qIL9ggml_type18ELi2ELb0ELb0EEvPKvS2_PKi31ggml_cuda_mm_fusion_args_devicePfj15HIP_vector_typeIjLj3EEjjjS8_jjjS8_jjjj.has_indirect_call, 0
	.section	.AMDGPU.csdata,"",@progbits
; Kernel info:
; codeLenInByte = 3216
; TotalNumSgprs: 28
; NumVgprs: 35
; ScratchSize: 0
; MemoryBound: 0
; FloatMode: 240
; IeeeMode: 1
; LDSByteSize: 0 bytes/workgroup (compile time only)
; SGPRBlocks: 0
; VGPRBlocks: 4
; NumSGPRsForWavesPerEU: 28
; NumVGPRsForWavesPerEU: 35
; Occupancy: 16
; WaveLimiterHint : 0
; COMPUTE_PGM_RSRC2:SCRATCH_EN: 0
; COMPUTE_PGM_RSRC2:USER_SGPR: 6
; COMPUTE_PGM_RSRC2:TRAP_HANDLER: 0
; COMPUTE_PGM_RSRC2:TGID_X_EN: 1
; COMPUTE_PGM_RSRC2:TGID_Y_EN: 1
; COMPUTE_PGM_RSRC2:TGID_Z_EN: 1
; COMPUTE_PGM_RSRC2:TIDIG_COMP_CNT: 1
	.section	.text._ZL13mul_mat_vec_qIL9ggml_type18ELi3ELb0ELb0EEvPKvS2_PKi31ggml_cuda_mm_fusion_args_devicePfj15HIP_vector_typeIjLj3EEjjjS8_jjjS8_jjjj,"axG",@progbits,_ZL13mul_mat_vec_qIL9ggml_type18ELi3ELb0ELb0EEvPKvS2_PKi31ggml_cuda_mm_fusion_args_devicePfj15HIP_vector_typeIjLj3EEjjjS8_jjjS8_jjjj,comdat
	.globl	_ZL13mul_mat_vec_qIL9ggml_type18ELi3ELb0ELb0EEvPKvS2_PKi31ggml_cuda_mm_fusion_args_devicePfj15HIP_vector_typeIjLj3EEjjjS8_jjjS8_jjjj ; -- Begin function _ZL13mul_mat_vec_qIL9ggml_type18ELi3ELb0ELb0EEvPKvS2_PKi31ggml_cuda_mm_fusion_args_devicePfj15HIP_vector_typeIjLj3EEjjjS8_jjjS8_jjjj
	.p2align	8
	.type	_ZL13mul_mat_vec_qIL9ggml_type18ELi3ELb0ELb0EEvPKvS2_PKi31ggml_cuda_mm_fusion_args_devicePfj15HIP_vector_typeIjLj3EEjjjS8_jjjS8_jjjj,@function
_ZL13mul_mat_vec_qIL9ggml_type18ELi3ELb0ELb0EEvPKvS2_PKi31ggml_cuda_mm_fusion_args_devicePfj15HIP_vector_typeIjLj3EEjjjS8_jjjS8_jjjj: ; @_ZL13mul_mat_vec_qIL9ggml_type18ELi3ELb0ELb0EEvPKvS2_PKi31ggml_cuda_mm_fusion_args_devicePfj15HIP_vector_typeIjLj3EEjjjS8_jjjS8_jjjj
; %bb.0:
	s_clause 0x5
	s_load_dword s9, s[4:5], 0x40
	s_load_dwordx4 s[0:3], s[4:5], 0x50
	s_load_dword s11, s[4:5], 0x60
	s_load_dwordx4 s[12:15], s[4:5], 0x68
	;; [unrolled: 2-line block ×3, first 2 shown]
	v_lshl_or_b32 v2, v1, 5, v0
	v_mov_b32_e32 v8, 0
	v_mov_b32_e32 v9, 0
	;; [unrolled: 1-line block ×3, first 2 shown]
	v_lshrrev_b32_e32 v10, 3, v2
	s_waitcnt lgkmcnt(0)
	s_lshr_b32 s10, s9, 8
	s_mov_b32 s9, exec_lo
	v_cmpx_gt_u32_e64 s10, v10
	s_cbranch_execz .LBB198_4
; %bb.1:
	s_mul_i32 s13, s13, s7
	s_load_dwordx4 s[20:23], s[4:5], 0x0
	s_mul_hi_u32 s27, s13, 36
	s_mul_i32 s26, s13, 36
	s_mul_i32 s17, s17, s8
	v_mad_u64_u32 v[2:3], null, 0x120, v10, s[26:27]
	v_lshlrev_b32_e32 v4, 1, v0
	v_and_b32_e32 v6, 7, v0
	s_mul_hi_u32 s3, s3, s7
	s_mul_hi_u32 s15, s15, s8
	s_add_i32 s3, s7, s3
	v_and_b32_e32 v7, 14, v4
	v_mad_u64_u32 v[2:3], null, s17, 36, v[2:3]
	s_add_i32 s15, s8, s15
	s_mul_i32 s13, s17, 36
	s_lshr_b32 s3, s3, s11
	s_mul_hi_u32 s19, s17, 36
	s_lshr_b32 s11, s15, s24
	s_mul_i32 s3, s3, s12
	v_mad_u64_u32 v[4:5], null, v6, 36, v[2:3]
	s_waitcnt lgkmcnt(0)
	s_add_u32 s12, s22, s13
	s_addc_u32 s13, s23, s19
	s_add_u32 s12, s12, s26
	s_addc_u32 s13, s13, s27
	v_lshlrev_b32_e32 v8, 3, v10
	v_lshlrev_b32_e32 v9, 1, v7
	v_add_co_u32 v4, vcc_lo, s22, v4
	v_add_co_ci_u32_e64 v5, null, s23, v5, vcc_lo
	v_mad_u64_u32 v[2:3], null, v6, 36, s[12:13]
	v_add_co_u32 v4, vcc_lo, v4, 16
	s_mul_i32 s0, s0, s6
	v_mov_b32_e32 v12, 0
	v_add_nc_u32_e32 v13, s1, v8
	v_lshl_add_u32 v14, s1, 1, v8
	v_add_co_ci_u32_e64 v5, null, 0, v5, vcc_lo
	v_lshlrev_b32_e32 v15, 1, v9
	v_lshlrev_b32_e32 v16, 1, v7
	v_mov_b32_e32 v17, 2
	v_mov_b32_e32 v8, 0
	;; [unrolled: 1-line block ×4, first 2 shown]
	s_mul_i32 s11, s11, s16
	s_add_i32 s3, s3, s0
	s_add_i32 s11, s11, s3
	s_mov_b32 s3, 0
.LBB198_2:                              ; =>This Inner Loop Header: Depth=1
	v_add_nc_u32_e32 v6, s11, v10
	s_getpc_b64 s[0:1]
	s_add_u32 s0, s0, _ZL11iq3xxs_grid@rel32@lo+4
	s_addc_u32 s1, s1, _ZL11iq3xxs_grid@rel32@hi+12
	v_add_nc_u32_e32 v10, 4, v10
	v_mad_i64_i32 v[6:7], null, 0x62, v6, s[20:21]
	v_add_co_u32 v18, vcc_lo, v6, v15
	v_add_co_ci_u32_e64 v19, null, 0, v7, vcc_lo
	global_load_dwordx2 v[23:24], v[18:19], off offset:2
	v_add_co_u32 v18, vcc_lo, v6, v16
	v_add_co_ci_u32_e64 v19, null, 0, v7, vcc_lo
	global_load_ushort v6, v[6:7], off
	v_mov_b32_e32 v7, 0
	global_load_dword v25, v[18:19], off offset:66
	s_waitcnt vmcnt(2)
	v_lshlrev_b32_sdwa v18, v17, v23 dst_sel:DWORD dst_unused:UNUSED_PAD src0_sel:DWORD src1_sel:BYTE_0
	v_lshlrev_b32_sdwa v19, v17, v23 dst_sel:DWORD dst_unused:UNUSED_PAD src0_sel:DWORD src1_sel:BYTE_1
	s_clause 0x1
	global_load_dword v18, v18, s[0:1]
	global_load_dword v19, v19, s[0:1]
	s_waitcnt vmcnt(3)
	v_cvt_f32_f16_e32 v35, v6
	s_waitcnt vmcnt(2)
	v_and_b32_e32 v20, 0xff, v25
	v_bcnt_u32_b32 v21, v20, 0
	v_and_b32_e32 v21, 1, v21
	v_lshlrev_b32_e32 v21, 7, v21
	v_xor_b32_e32 v20, v21, v20
	v_mul_lo_u32 v20, 0x1010101, v20
	v_and_b32_e32 v21, 0x8040201, v20
	v_lshrrev_b32_e32 v22, 18, v20
	v_cmp_ne_u16_sdwa s12, v21, v12 src0_sel:BYTE_3 src1_sel:DWORD
	v_cmp_ne_u16_sdwa s13, v21, v12 src0_sel:BYTE_1 src1_sel:DWORD
	v_bfe_i32 v21, v20, 0, 1
	v_bfe_i32 v22, v22, 0, 1
	v_cndmask_b32_e64 v28, 0, -1, s12
	v_cndmask_b32_e64 v26, 0, -1, s13
	v_lshlrev_b16 v28, 8, v28
	v_lshlrev_b16 v26, 8, v26
	v_or_b32_sdwa v29, v22, v28 dst_sel:WORD_1 dst_unused:UNUSED_PAD src0_sel:BYTE_0 src1_sel:DWORD
	v_or_b32_sdwa v27, v21, v26 dst_sel:DWORD dst_unused:UNUSED_PAD src0_sel:BYTE_0 src1_sel:DWORD
	v_lshlrev_b16 v21, 8, v21
	v_lshlrev_b16 v22, 8, v22
	v_or_b32_sdwa v27, v27, v29 dst_sel:DWORD dst_unused:UNUSED_PAD src0_sel:WORD_0 src1_sel:DWORD
	s_waitcnt vmcnt(1)
	v_xor_b32_e32 v18, v18, v27
	v_lshrrev_b32_e32 v27, 16, v18
	v_and_b32_e32 v29, 0xffffff00, v18
	v_lshlrev_b16 v18, 8, v18
	v_sub_nc_i16 v26, v29, v26 clamp
	v_sub_nc_i16 v18, v18, v21 clamp
	v_and_b32_e32 v21, 0xffffff00, v27
	v_perm_b32 v18, v18, v26, 0xc0c0105
	v_lshlrev_b16 v26, 8, v27
	v_sub_nc_i16 v21, v21, v28 clamp
	v_sub_nc_i16 v22, v26, v22 clamp
	v_perm_b32 v21, v22, v21, 0xc0c0105
	v_lshl_or_b32 v18, v21, 16, v18
	v_and_b32_e32 v21, 0x80402010, v20
	v_lshrrev_b32_e32 v20, 22, v20
	v_cmp_ne_u16_sdwa s12, v21, v12 src0_sel:BYTE_3 src1_sel:DWORD
	v_cmp_ne_u16_sdwa s13, v21, v12 src0_sel:BYTE_1 src1_sel:DWORD
	v_lshrrev_b16 v21, 4, v21
	v_bfe_i32 v20, v20, 0, 1
	v_cndmask_b32_e64 v27, 0, -1, s12
	v_cndmask_b32_e64 v22, 0, -1, s13
	v_bfe_i32 v21, v21, 0, 1
	v_lshlrev_b16 v27, 8, v27
	v_lshlrev_b16 v22, 8, v22
	v_or_b32_sdwa v28, v20, v27 dst_sel:WORD_1 dst_unused:UNUSED_PAD src0_sel:BYTE_0 src1_sel:DWORD
	v_or_b32_sdwa v26, v21, v22 dst_sel:DWORD dst_unused:UNUSED_PAD src0_sel:BYTE_0 src1_sel:DWORD
	v_lshlrev_b16 v21, 8, v21
	v_lshlrev_b16 v20, 8, v20
	v_or_b32_sdwa v26, v26, v28 dst_sel:DWORD dst_unused:UNUSED_PAD src0_sel:WORD_0 src1_sel:DWORD
	s_waitcnt vmcnt(0)
	v_xor_b32_e32 v19, v19, v26
	v_lshrrev_b32_e32 v26, 16, v19
	v_and_b32_e32 v28, 0xffffff00, v19
	v_lshlrev_b16 v19, 8, v19
	v_sub_nc_i16 v22, v28, v22 clamp
	v_sub_nc_i16 v19, v19, v21 clamp
	v_and_b32_e32 v21, 0xffffff00, v26
	v_perm_b32 v19, v19, v22, 0xc0c0105
	v_lshlrev_b16 v22, 8, v26
	v_sub_nc_i16 v21, v21, v27 clamp
	v_sub_nc_i16 v20, v22, v20 clamp
	v_bfe_u32 v22, v25, 7, 8
	v_perm_b32 v20, v20, v21, 0xc0c0105
	v_lshlrev_b32_sdwa v21, v17, v23 dst_sel:DWORD dst_unused:UNUSED_PAD src0_sel:DWORD src1_sel:BYTE_3
	v_lshl_or_b32 v19, v20, 16, v19
	v_lshlrev_b32_sdwa v20, v17, v23 dst_sel:DWORD dst_unused:UNUSED_PAD src0_sel:DWORD src1_sel:BYTE_2
	global_load_dword v21, v21, s[0:1]
	v_bcnt_u32_b32 v23, v22, 0
	global_load_dword v20, v20, s[0:1]
	v_and_b32_e32 v23, 1, v23
	v_lshlrev_b32_e32 v23, 7, v23
	v_xor_b32_e32 v22, v23, v22
	v_mul_lo_u32 v22, 0x1010101, v22
	v_and_b32_e32 v23, 0x8040201, v22
	v_lshrrev_b32_e32 v26, 18, v22
	v_cmp_ne_u16_sdwa s12, v23, v12 src0_sel:BYTE_3 src1_sel:DWORD
	v_cmp_ne_u16_sdwa s13, v23, v12 src0_sel:BYTE_1 src1_sel:DWORD
	v_bfe_i32 v23, v22, 0, 1
	v_bfe_i32 v26, v26, 0, 1
	v_cndmask_b32_e64 v29, 0, -1, s12
	v_cndmask_b32_e64 v27, 0, -1, s13
	v_lshlrev_b16 v29, 8, v29
	v_lshlrev_b16 v27, 8, v27
	v_or_b32_sdwa v30, v26, v29 dst_sel:WORD_1 dst_unused:UNUSED_PAD src0_sel:BYTE_0 src1_sel:DWORD
	v_or_b32_sdwa v28, v23, v27 dst_sel:DWORD dst_unused:UNUSED_PAD src0_sel:BYTE_0 src1_sel:DWORD
	v_lshlrev_b16 v23, 8, v23
	v_lshlrev_b16 v26, 8, v26
	v_or_b32_sdwa v28, v28, v30 dst_sel:DWORD dst_unused:UNUSED_PAD src0_sel:WORD_0 src1_sel:DWORD
	s_waitcnt vmcnt(0)
	v_xor_b32_e32 v20, v20, v28
	v_lshrrev_b32_e32 v28, 16, v20
	v_and_b32_e32 v30, 0xffffff00, v20
	v_lshlrev_b16 v20, 8, v20
	v_sub_nc_i16 v27, v30, v27 clamp
	v_sub_nc_i16 v20, v20, v23 clamp
	v_and_b32_e32 v23, 0xffffff00, v28
	v_perm_b32 v20, v20, v27, 0xc0c0105
	v_lshlrev_b16 v27, 8, v28
	v_sub_nc_i16 v23, v23, v29 clamp
	v_sub_nc_i16 v26, v27, v26 clamp
	v_perm_b32 v23, v26, v23, 0xc0c0105
	v_lshl_or_b32 v20, v23, 16, v20
	v_and_b32_e32 v23, 0x80402010, v22
	v_lshrrev_b32_e32 v22, 22, v22
	v_cmp_ne_u16_sdwa s12, v23, v12 src0_sel:BYTE_3 src1_sel:DWORD
	v_cmp_ne_u16_sdwa s13, v23, v12 src0_sel:BYTE_1 src1_sel:DWORD
	v_lshrrev_b16 v23, 4, v23
	v_bfe_i32 v22, v22, 0, 1
	v_cndmask_b32_e64 v28, 0, -1, s12
	v_cndmask_b32_e64 v26, 0, -1, s13
	v_bfe_i32 v23, v23, 0, 1
	v_lshlrev_b16 v28, 8, v28
	v_lshlrev_b16 v26, 8, v26
	v_or_b32_sdwa v29, v22, v28 dst_sel:WORD_1 dst_unused:UNUSED_PAD src0_sel:BYTE_0 src1_sel:DWORD
	v_or_b32_sdwa v27, v23, v26 dst_sel:DWORD dst_unused:UNUSED_PAD src0_sel:BYTE_0 src1_sel:DWORD
	v_lshlrev_b16 v23, 8, v23
	v_lshlrev_b16 v22, 8, v22
	v_or_b32_sdwa v27, v27, v29 dst_sel:DWORD dst_unused:UNUSED_PAD src0_sel:WORD_0 src1_sel:DWORD
	v_xor_b32_e32 v21, v21, v27
	v_lshrrev_b32_e32 v27, 16, v21
	v_and_b32_e32 v29, 0xffffff00, v21
	v_lshlrev_b16 v21, 8, v21
	v_sub_nc_i16 v26, v29, v26 clamp
	v_sub_nc_i16 v21, v21, v23 clamp
	v_and_b32_e32 v23, 0xffffff00, v27
	v_perm_b32 v21, v21, v26, 0xc0c0105
	v_lshlrev_b16 v26, 8, v27
	v_sub_nc_i16 v23, v23, v28 clamp
	v_sub_nc_i16 v22, v26, v22 clamp
	v_bfe_u32 v26, v25, 14, 8
	v_perm_b32 v22, v22, v23, 0xc0c0105
	v_lshlrev_b32_sdwa v23, v17, v24 dst_sel:DWORD dst_unused:UNUSED_PAD src0_sel:DWORD src1_sel:BYTE_1
	v_bcnt_u32_b32 v27, v26, 0
	v_lshl_or_b32 v21, v22, 16, v21
	v_lshlrev_b32_sdwa v22, v17, v24 dst_sel:DWORD dst_unused:UNUSED_PAD src0_sel:DWORD src1_sel:BYTE_0
	global_load_dword v23, v23, s[0:1]
	v_and_b32_e32 v27, 1, v27
	global_load_dword v22, v22, s[0:1]
	v_lshlrev_b32_e32 v27, 7, v27
	v_xor_b32_e32 v26, v27, v26
	v_mul_lo_u32 v26, 0x1010101, v26
	v_and_b32_e32 v27, 0x8040201, v26
	v_lshrrev_b32_e32 v28, 18, v26
	v_cmp_ne_u16_sdwa s12, v27, v12 src0_sel:BYTE_3 src1_sel:DWORD
	v_cmp_ne_u16_sdwa s13, v27, v12 src0_sel:BYTE_1 src1_sel:DWORD
	v_bfe_i32 v27, v26, 0, 1
	v_bfe_i32 v28, v28, 0, 1
	v_cndmask_b32_e64 v31, 0, -1, s12
	v_cndmask_b32_e64 v29, 0, -1, s13
	v_lshlrev_b16 v31, 8, v31
	v_lshlrev_b16 v29, 8, v29
	v_or_b32_sdwa v32, v28, v31 dst_sel:WORD_1 dst_unused:UNUSED_PAD src0_sel:BYTE_0 src1_sel:DWORD
	v_or_b32_sdwa v30, v27, v29 dst_sel:DWORD dst_unused:UNUSED_PAD src0_sel:BYTE_0 src1_sel:DWORD
	v_lshlrev_b16 v27, 8, v27
	v_lshlrev_b16 v28, 8, v28
	v_or_b32_sdwa v30, v30, v32 dst_sel:DWORD dst_unused:UNUSED_PAD src0_sel:WORD_0 src1_sel:DWORD
	s_waitcnt vmcnt(0)
	v_xor_b32_e32 v22, v22, v30
	v_lshrrev_b32_e32 v30, 16, v22
	v_and_b32_e32 v32, 0xffffff00, v22
	v_lshlrev_b16 v22, 8, v22
	v_sub_nc_i16 v29, v32, v29 clamp
	v_sub_nc_i16 v22, v22, v27 clamp
	v_and_b32_e32 v27, 0xffffff00, v30
	v_perm_b32 v22, v22, v29, 0xc0c0105
	v_lshlrev_b16 v29, 8, v30
	v_sub_nc_i16 v27, v27, v31 clamp
	v_sub_nc_i16 v28, v29, v28 clamp
	v_perm_b32 v27, v28, v27, 0xc0c0105
	v_lshl_or_b32 v22, v27, 16, v22
	v_and_b32_e32 v27, 0x80402010, v26
	v_lshrrev_b32_e32 v26, 22, v26
	v_cmp_ne_u16_sdwa s12, v27, v12 src0_sel:BYTE_3 src1_sel:DWORD
	v_cmp_ne_u16_sdwa s13, v27, v12 src0_sel:BYTE_1 src1_sel:DWORD
	v_lshrrev_b16 v27, 4, v27
	v_bfe_i32 v26, v26, 0, 1
	v_cndmask_b32_e64 v30, 0, -1, s12
	v_cndmask_b32_e64 v28, 0, -1, s13
	v_bfe_i32 v27, v27, 0, 1
	v_lshlrev_b16 v30, 8, v30
	v_lshlrev_b16 v28, 8, v28
	v_or_b32_sdwa v31, v26, v30 dst_sel:WORD_1 dst_unused:UNUSED_PAD src0_sel:BYTE_0 src1_sel:DWORD
	v_or_b32_sdwa v29, v27, v28 dst_sel:DWORD dst_unused:UNUSED_PAD src0_sel:BYTE_0 src1_sel:DWORD
	v_lshlrev_b16 v27, 8, v27
	v_lshlrev_b16 v26, 8, v26
	v_or_b32_sdwa v29, v29, v31 dst_sel:DWORD dst_unused:UNUSED_PAD src0_sel:WORD_0 src1_sel:DWORD
	v_xor_b32_e32 v23, v23, v29
	v_lshrrev_b32_e32 v29, 16, v23
	v_and_b32_e32 v31, 0xffffff00, v23
	v_lshlrev_b16 v23, 8, v23
	v_sub_nc_i16 v28, v31, v28 clamp
	v_sub_nc_i16 v23, v23, v27 clamp
	v_and_b32_e32 v27, 0xffffff00, v29
	v_perm_b32 v23, v23, v28, 0xc0c0105
	v_lshlrev_b16 v28, 8, v29
	v_sub_nc_i16 v27, v27, v30 clamp
	v_sub_nc_i16 v26, v28, v26 clamp
	v_perm_b32 v26, v26, v27, 0xc0c0105
	v_lshl_or_b32 v23, v26, 16, v23
	v_lshlrev_b32_sdwa v26, v17, v24 dst_sel:DWORD dst_unused:UNUSED_PAD src0_sel:DWORD src1_sel:BYTE_2
	v_lshlrev_b32_sdwa v24, v17, v24 dst_sel:DWORD dst_unused:UNUSED_PAD src0_sel:DWORD src1_sel:BYTE_3
	s_clause 0x1
	global_load_dword v26, v26, s[0:1]
	global_load_dword v27, v24, s[0:1]
	v_bfe_u32 v24, v25, 21, 8
	v_lshrrev_b32_e32 v25, 28, v25
	v_bcnt_u32_b32 v28, v24, 0
	v_and_b32_e32 v28, 1, v28
	v_lshlrev_b32_e32 v28, 7, v28
	v_xor_b32_e32 v24, v28, v24
	v_mul_lo_u32 v28, 0x1010101, v24
	v_and_b32_e32 v24, 0x8040201, v28
	v_lshrrev_b32_e32 v29, 18, v28
	v_cmp_ne_u16_sdwa s0, v24, v12 src0_sel:BYTE_3 src1_sel:DWORD
	v_cmp_ne_u16_sdwa s1, v24, v12 src0_sel:BYTE_1 src1_sel:DWORD
	v_bfe_i32 v24, v28, 0, 1
	v_bfe_i32 v29, v29, 0, 1
	v_cndmask_b32_e64 v32, 0, -1, s0
	v_cndmask_b32_e64 v30, 0, -1, s1
	v_lshlrev_b16 v32, 8, v32
	v_lshlrev_b16 v30, 8, v30
	v_or_b32_sdwa v33, v29, v32 dst_sel:WORD_1 dst_unused:UNUSED_PAD src0_sel:BYTE_0 src1_sel:DWORD
	v_or_b32_sdwa v31, v24, v30 dst_sel:DWORD dst_unused:UNUSED_PAD src0_sel:BYTE_0 src1_sel:DWORD
	v_lshlrev_b16 v24, 8, v24
	v_lshlrev_b16 v29, 8, v29
	v_or_b32_sdwa v31, v31, v33 dst_sel:DWORD dst_unused:UNUSED_PAD src0_sel:WORD_0 src1_sel:DWORD
	s_waitcnt vmcnt(1)
	v_xor_b32_e32 v26, v26, v31
	v_lshrrev_b32_e32 v31, 16, v26
	v_and_b32_e32 v33, 0xffffff00, v26
	v_lshlrev_b16 v26, 8, v26
	v_sub_nc_i16 v30, v33, v30 clamp
	v_sub_nc_i16 v24, v26, v24 clamp
	v_and_b32_e32 v26, 0xffffff00, v31
	v_perm_b32 v24, v24, v30, 0xc0c0105
	v_lshlrev_b16 v30, 8, v31
	v_sub_nc_i16 v26, v26, v32 clamp
	v_sub_nc_i16 v29, v30, v29 clamp
	v_perm_b32 v26, v29, v26, 0xc0c0105
	v_lshl_or_b32 v24, v26, 16, v24
	v_and_b32_e32 v26, 0x80402010, v28
	v_lshrrev_b32_e32 v28, 22, v28
	v_cmp_ne_u16_sdwa s0, v26, v12 src0_sel:BYTE_3 src1_sel:DWORD
	v_cmp_ne_u16_sdwa s1, v26, v12 src0_sel:BYTE_1 src1_sel:DWORD
	v_lshrrev_b16 v26, 4, v26
	v_bfe_i32 v28, v28, 0, 1
	v_cndmask_b32_e64 v31, 0, -1, s0
	v_cndmask_b32_e64 v29, 0, -1, s1
	v_bfe_i32 v26, v26, 0, 1
	v_lshlrev_b16 v31, 8, v31
	v_lshlrev_b16 v29, 8, v29
	v_or_b32_sdwa v32, v28, v31 dst_sel:WORD_1 dst_unused:UNUSED_PAD src0_sel:BYTE_0 src1_sel:DWORD
	v_or_b32_sdwa v30, v26, v29 dst_sel:DWORD dst_unused:UNUSED_PAD src0_sel:BYTE_0 src1_sel:DWORD
	v_lshlrev_b16 v26, 8, v26
	v_lshlrev_b16 v28, 8, v28
	v_or_b32_sdwa v30, v30, v32 dst_sel:DWORD dst_unused:UNUSED_PAD src0_sel:WORD_0 src1_sel:DWORD
	s_waitcnt vmcnt(0)
	v_xor_b32_e32 v27, v27, v30
	v_lshrrev_b32_e32 v30, 16, v27
	v_and_b32_e32 v32, 0xffffff00, v27
	v_lshlrev_b16 v27, 8, v27
	v_sub_nc_i16 v29, v32, v29 clamp
	v_sub_nc_i16 v26, v27, v26 clamp
	v_and_b32_e32 v27, 0xffffff00, v30
	v_perm_b32 v26, v26, v29, 0xc0c0105
	v_lshlrev_b16 v29, 8, v30
	v_sub_nc_i16 v27, v27, v31 clamp
	v_sub_nc_i16 v28, v29, v28 clamp
	v_perm_b32 v27, v28, v27, 0xc0c0105
	v_lshl_or_b32 v26, v27, 16, v26
	s_clause 0x2
	global_load_dwordx4 v[27:30], v[4:5], off offset:-16
	global_load_dword v6, v[4:5], off offset:16
	global_load_dwordx4 v[31:34], v[4:5], off
	v_add_co_u32 v4, vcc_lo, 0x480, v4
	v_add_co_ci_u32_e64 v5, null, 0, v5, vcc_lo
	v_cmp_le_u32_e32 vcc_lo, s10, v10
	s_or_b32 s3, vcc_lo, s3
	s_waitcnt vmcnt(2)
	v_dot4c_i32_i8 v7, v18, v28
	v_dot4c_i32_i8 v7, v19, v29
	;; [unrolled: 1-line block ×3, first 2 shown]
	s_waitcnt vmcnt(0)
	v_dot4c_i32_i8 v7, v21, v31
	v_dot4c_i32_i8 v7, v22, v32
	;; [unrolled: 1-line block ×5, first 2 shown]
	v_lshrrev_b32_e32 v6, 31, v7
	v_add_nc_u32_e32 v6, v7, v6
	v_ashrrev_i32_e32 v6, 1, v6
	v_mad_u64_u32 v[6:7], null, v7, v25, v[6:7]
	v_lshrrev_b32_e32 v7, 31, v6
	v_add_nc_u32_e32 v6, v6, v7
	v_cvt_f32_f16_e32 v7, v27
	v_ashrrev_i32_e32 v6, 1, v6
	v_mul_f32_e32 v7, v35, v7
	v_cvt_f32_i32_e32 v6, v6
	v_fmac_f32_e32 v11, v7, v6
	v_mad_u64_u32 v[6:7], null, v13, 36, v[2:3]
	s_clause 0x2
	global_load_dwordx4 v[27:30], v[6:7], off
	global_load_dword v36, v[6:7], off offset:32
	global_load_dwordx4 v[31:34], v[6:7], off offset:16
	v_mov_b32_e32 v7, 0
	v_add_nc_u32_e32 v13, 32, v13
	s_waitcnt vmcnt(2)
	v_dot4c_i32_i8 v7, v18, v28
	v_dot4c_i32_i8 v7, v19, v29
	;; [unrolled: 1-line block ×3, first 2 shown]
	s_waitcnt vmcnt(0)
	v_dot4c_i32_i8 v7, v21, v31
	v_dot4c_i32_i8 v7, v22, v32
	;; [unrolled: 1-line block ×5, first 2 shown]
	v_lshrrev_b32_e32 v6, 31, v7
	v_add_nc_u32_e32 v6, v7, v6
	v_ashrrev_i32_e32 v6, 1, v6
	v_mad_u64_u32 v[6:7], null, v7, v25, v[6:7]
	v_lshrrev_b32_e32 v7, 31, v6
	v_add_nc_u32_e32 v6, v6, v7
	v_cvt_f32_f16_e32 v7, v27
	v_ashrrev_i32_e32 v6, 1, v6
	v_mul_f32_e32 v7, v35, v7
	v_cvt_f32_i32_e32 v6, v6
	v_fmac_f32_e32 v9, v7, v6
	v_mad_u64_u32 v[6:7], null, v14, 36, v[2:3]
	s_clause 0x2
	global_load_dwordx4 v[27:30], v[6:7], off
	global_load_dword v36, v[6:7], off offset:32
	global_load_dwordx4 v[31:34], v[6:7], off offset:16
	v_mov_b32_e32 v7, 0
	v_add_nc_u32_e32 v14, 32, v14
	s_waitcnt vmcnt(2)
	v_dot4c_i32_i8 v7, v18, v28
	v_dot4c_i32_i8 v7, v19, v29
	;; [unrolled: 1-line block ×3, first 2 shown]
	s_waitcnt vmcnt(0)
	v_dot4c_i32_i8 v7, v21, v31
	v_dot4c_i32_i8 v7, v22, v32
	;; [unrolled: 1-line block ×5, first 2 shown]
	v_lshrrev_b32_e32 v6, 31, v7
	v_add_nc_u32_e32 v6, v7, v6
	v_ashrrev_i32_e32 v6, 1, v6
	v_mad_u64_u32 v[6:7], null, v7, v25, v[6:7]
	v_lshrrev_b32_e32 v7, 31, v6
	v_add_nc_u32_e32 v6, v6, v7
	v_cvt_f32_f16_e32 v7, v27
	v_ashrrev_i32_e32 v6, 1, v6
	v_mul_f32_e32 v7, v35, v7
	v_cvt_f32_i32_e32 v6, v6
	v_fmac_f32_e32 v8, v7, v6
	s_andn2_b32 exec_lo, exec_lo, s3
	s_cbranch_execnz .LBB198_2
; %bb.3:
	s_or_b32 exec_lo, exec_lo, s3
.LBB198_4:
	s_or_b32 exec_lo, exec_lo, s9
	s_mov_b32 s1, 0
	; wave barrier
	buffer_gl0_inv
	s_mov_b32 s0, exec_lo
	v_cmpx_eq_u32_e32 0, v1
	s_cbranch_execz .LBB198_11
; %bb.5:
	v_mbcnt_lo_u32_b32 v5, -1, 0
	s_load_dwordx2 s[4:5], s[4:5], 0x38
	s_mul_i32 s0, s14, s7
	s_mul_i32 s3, s18, s8
	s_add_i32 s0, s0, s6
	v_xor_b32_e32 v1, 16, v5
	v_xor_b32_e32 v2, 8, v5
	;; [unrolled: 1-line block ×3, first 2 shown]
	s_add_i32 s0, s0, s3
	s_lshl_b64 s[0:1], s[0:1], 2
	v_cmp_gt_i32_e32 vcc_lo, 32, v1
	v_cndmask_b32_e32 v1, v5, v1, vcc_lo
	v_cmp_gt_i32_e32 vcc_lo, 32, v2
	v_lshlrev_b32_e32 v1, 2, v1
	v_cndmask_b32_e32 v2, v5, v2, vcc_lo
	s_waitcnt lgkmcnt(0)
	s_add_u32 s0, s4, s0
	s_addc_u32 s1, s5, s1
	ds_bpermute_b32 v3, v1, v11
	v_lshlrev_b32_e32 v2, 2, v2
	s_waitcnt lgkmcnt(0)
	v_add_f32_e32 v4, v11, v3
	v_xor_b32_e32 v3, 4, v5
	ds_bpermute_b32 v6, v2, v4
	v_cmp_gt_i32_e32 vcc_lo, 32, v3
	v_cndmask_b32_e32 v3, v5, v3, vcc_lo
	v_lshlrev_b32_e32 v3, 2, v3
	s_waitcnt lgkmcnt(0)
	v_add_f32_e32 v6, v4, v6
	v_xor_b32_e32 v4, 2, v5
	ds_bpermute_b32 v7, v3, v6
	v_cmp_gt_i32_e32 vcc_lo, 32, v4
	v_cndmask_b32_e32 v4, v5, v4, vcc_lo
	v_cmp_gt_i32_e32 vcc_lo, 32, v10
	v_lshlrev_b32_e32 v4, 2, v4
	v_cndmask_b32_e32 v5, v5, v10, vcc_lo
	v_cmp_eq_u32_e32 vcc_lo, 0, v0
	v_lshlrev_b32_e32 v5, 2, v5
	s_waitcnt lgkmcnt(0)
	v_add_f32_e32 v6, v6, v7
	ds_bpermute_b32 v7, v4, v6
	s_waitcnt lgkmcnt(0)
	v_add_f32_e32 v6, v6, v7
	ds_bpermute_b32 v7, v5, v6
	s_and_saveexec_b32 s3, vcc_lo
	s_cbranch_execz .LBB198_7
; %bb.6:
	s_waitcnt lgkmcnt(0)
	v_add_f32_e32 v0, v6, v7
	v_mov_b32_e32 v6, 0
	global_store_dword v6, v0, s[0:1]
.LBB198_7:
	s_or_b32 exec_lo, exec_lo, s3
	ds_bpermute_b32 v0, v1, v9
	s_waitcnt lgkmcnt(0)
	v_add_f32_e32 v0, v9, v0
	ds_bpermute_b32 v6, v2, v0
	s_waitcnt lgkmcnt(0)
	v_add_f32_e32 v0, v0, v6
	;; [unrolled: 3-line block ×4, first 2 shown]
	ds_bpermute_b32 v6, v5, v0
	s_and_saveexec_b32 s4, vcc_lo
	s_cbranch_execz .LBB198_9
; %bb.8:
	s_mov_b32 s3, 0
	s_waitcnt lgkmcnt(0)
	v_add_f32_e32 v0, v0, v6
	s_lshl_b64 s[6:7], s[2:3], 2
	v_mov_b32_e32 v6, 0
	s_add_u32 s6, s0, s6
	s_addc_u32 s7, s1, s7
	global_store_dword v6, v0, s[6:7]
.LBB198_9:
	s_or_b32 exec_lo, exec_lo, s4
	ds_bpermute_b32 v0, v1, v8
	s_waitcnt lgkmcnt(0)
	v_add_f32_e32 v0, v8, v0
	ds_bpermute_b32 v1, v2, v0
	s_waitcnt lgkmcnt(0)
	v_add_f32_e32 v0, v0, v1
	;; [unrolled: 3-line block ×4, first 2 shown]
	ds_bpermute_b32 v1, v5, v0
	s_and_b32 exec_lo, exec_lo, vcc_lo
	s_cbranch_execz .LBB198_11
; %bb.10:
	s_lshl_b32 s2, s2, 1
	s_mov_b32 s3, 0
	s_waitcnt lgkmcnt(0)
	v_add_f32_e32 v0, v0, v1
	s_lshl_b64 s[2:3], s[2:3], 2
	v_mov_b32_e32 v1, 0
	s_add_u32 s0, s0, s2
	s_addc_u32 s1, s1, s3
	global_store_dword v1, v0, s[0:1]
.LBB198_11:
	s_endpgm
	.section	.rodata,"a",@progbits
	.p2align	6, 0x0
	.amdhsa_kernel _ZL13mul_mat_vec_qIL9ggml_type18ELi3ELb0ELb0EEvPKvS2_PKi31ggml_cuda_mm_fusion_args_devicePfj15HIP_vector_typeIjLj3EEjjjS8_jjjS8_jjjj
		.amdhsa_group_segment_fixed_size 0
		.amdhsa_private_segment_fixed_size 0
		.amdhsa_kernarg_size 144
		.amdhsa_user_sgpr_count 6
		.amdhsa_user_sgpr_private_segment_buffer 1
		.amdhsa_user_sgpr_dispatch_ptr 0
		.amdhsa_user_sgpr_queue_ptr 0
		.amdhsa_user_sgpr_kernarg_segment_ptr 1
		.amdhsa_user_sgpr_dispatch_id 0
		.amdhsa_user_sgpr_flat_scratch_init 0
		.amdhsa_user_sgpr_private_segment_size 0
		.amdhsa_wavefront_size32 1
		.amdhsa_uses_dynamic_stack 0
		.amdhsa_system_sgpr_private_segment_wavefront_offset 0
		.amdhsa_system_sgpr_workgroup_id_x 1
		.amdhsa_system_sgpr_workgroup_id_y 1
		.amdhsa_system_sgpr_workgroup_id_z 1
		.amdhsa_system_sgpr_workgroup_info 0
		.amdhsa_system_vgpr_workitem_id 1
		.amdhsa_next_free_vgpr 37
		.amdhsa_next_free_sgpr 28
		.amdhsa_reserve_vcc 1
		.amdhsa_reserve_flat_scratch 0
		.amdhsa_float_round_mode_32 0
		.amdhsa_float_round_mode_16_64 0
		.amdhsa_float_denorm_mode_32 3
		.amdhsa_float_denorm_mode_16_64 3
		.amdhsa_dx10_clamp 1
		.amdhsa_ieee_mode 1
		.amdhsa_fp16_overflow 0
		.amdhsa_workgroup_processor_mode 1
		.amdhsa_memory_ordered 1
		.amdhsa_forward_progress 1
		.amdhsa_shared_vgpr_count 0
		.amdhsa_exception_fp_ieee_invalid_op 0
		.amdhsa_exception_fp_denorm_src 0
		.amdhsa_exception_fp_ieee_div_zero 0
		.amdhsa_exception_fp_ieee_overflow 0
		.amdhsa_exception_fp_ieee_underflow 0
		.amdhsa_exception_fp_ieee_inexact 0
		.amdhsa_exception_int_div_zero 0
	.end_amdhsa_kernel
	.section	.text._ZL13mul_mat_vec_qIL9ggml_type18ELi3ELb0ELb0EEvPKvS2_PKi31ggml_cuda_mm_fusion_args_devicePfj15HIP_vector_typeIjLj3EEjjjS8_jjjS8_jjjj,"axG",@progbits,_ZL13mul_mat_vec_qIL9ggml_type18ELi3ELb0ELb0EEvPKvS2_PKi31ggml_cuda_mm_fusion_args_devicePfj15HIP_vector_typeIjLj3EEjjjS8_jjjS8_jjjj,comdat
.Lfunc_end198:
	.size	_ZL13mul_mat_vec_qIL9ggml_type18ELi3ELb0ELb0EEvPKvS2_PKi31ggml_cuda_mm_fusion_args_devicePfj15HIP_vector_typeIjLj3EEjjjS8_jjjS8_jjjj, .Lfunc_end198-_ZL13mul_mat_vec_qIL9ggml_type18ELi3ELb0ELb0EEvPKvS2_PKi31ggml_cuda_mm_fusion_args_devicePfj15HIP_vector_typeIjLj3EEjjjS8_jjjS8_jjjj
                                        ; -- End function
	.set _ZL13mul_mat_vec_qIL9ggml_type18ELi3ELb0ELb0EEvPKvS2_PKi31ggml_cuda_mm_fusion_args_devicePfj15HIP_vector_typeIjLj3EEjjjS8_jjjS8_jjjj.num_vgpr, 37
	.set _ZL13mul_mat_vec_qIL9ggml_type18ELi3ELb0ELb0EEvPKvS2_PKi31ggml_cuda_mm_fusion_args_devicePfj15HIP_vector_typeIjLj3EEjjjS8_jjjS8_jjjj.num_agpr, 0
	.set _ZL13mul_mat_vec_qIL9ggml_type18ELi3ELb0ELb0EEvPKvS2_PKi31ggml_cuda_mm_fusion_args_devicePfj15HIP_vector_typeIjLj3EEjjjS8_jjjS8_jjjj.numbered_sgpr, 28
	.set _ZL13mul_mat_vec_qIL9ggml_type18ELi3ELb0ELb0EEvPKvS2_PKi31ggml_cuda_mm_fusion_args_devicePfj15HIP_vector_typeIjLj3EEjjjS8_jjjS8_jjjj.num_named_barrier, 0
	.set _ZL13mul_mat_vec_qIL9ggml_type18ELi3ELb0ELb0EEvPKvS2_PKi31ggml_cuda_mm_fusion_args_devicePfj15HIP_vector_typeIjLj3EEjjjS8_jjjS8_jjjj.private_seg_size, 0
	.set _ZL13mul_mat_vec_qIL9ggml_type18ELi3ELb0ELb0EEvPKvS2_PKi31ggml_cuda_mm_fusion_args_devicePfj15HIP_vector_typeIjLj3EEjjjS8_jjjS8_jjjj.uses_vcc, 1
	.set _ZL13mul_mat_vec_qIL9ggml_type18ELi3ELb0ELb0EEvPKvS2_PKi31ggml_cuda_mm_fusion_args_devicePfj15HIP_vector_typeIjLj3EEjjjS8_jjjS8_jjjj.uses_flat_scratch, 0
	.set _ZL13mul_mat_vec_qIL9ggml_type18ELi3ELb0ELb0EEvPKvS2_PKi31ggml_cuda_mm_fusion_args_devicePfj15HIP_vector_typeIjLj3EEjjjS8_jjjS8_jjjj.has_dyn_sized_stack, 0
	.set _ZL13mul_mat_vec_qIL9ggml_type18ELi3ELb0ELb0EEvPKvS2_PKi31ggml_cuda_mm_fusion_args_devicePfj15HIP_vector_typeIjLj3EEjjjS8_jjjS8_jjjj.has_recursion, 0
	.set _ZL13mul_mat_vec_qIL9ggml_type18ELi3ELb0ELb0EEvPKvS2_PKi31ggml_cuda_mm_fusion_args_devicePfj15HIP_vector_typeIjLj3EEjjjS8_jjjS8_jjjj.has_indirect_call, 0
	.section	.AMDGPU.csdata,"",@progbits
; Kernel info:
; codeLenInByte = 3488
; TotalNumSgprs: 30
; NumVgprs: 37
; ScratchSize: 0
; MemoryBound: 0
; FloatMode: 240
; IeeeMode: 1
; LDSByteSize: 0 bytes/workgroup (compile time only)
; SGPRBlocks: 0
; VGPRBlocks: 4
; NumSGPRsForWavesPerEU: 30
; NumVGPRsForWavesPerEU: 37
; Occupancy: 16
; WaveLimiterHint : 0
; COMPUTE_PGM_RSRC2:SCRATCH_EN: 0
; COMPUTE_PGM_RSRC2:USER_SGPR: 6
; COMPUTE_PGM_RSRC2:TRAP_HANDLER: 0
; COMPUTE_PGM_RSRC2:TGID_X_EN: 1
; COMPUTE_PGM_RSRC2:TGID_Y_EN: 1
; COMPUTE_PGM_RSRC2:TGID_Z_EN: 1
; COMPUTE_PGM_RSRC2:TIDIG_COMP_CNT: 1
	.section	.text._ZL13mul_mat_vec_qIL9ggml_type18ELi4ELb0ELb0EEvPKvS2_PKi31ggml_cuda_mm_fusion_args_devicePfj15HIP_vector_typeIjLj3EEjjjS8_jjjS8_jjjj,"axG",@progbits,_ZL13mul_mat_vec_qIL9ggml_type18ELi4ELb0ELb0EEvPKvS2_PKi31ggml_cuda_mm_fusion_args_devicePfj15HIP_vector_typeIjLj3EEjjjS8_jjjS8_jjjj,comdat
	.globl	_ZL13mul_mat_vec_qIL9ggml_type18ELi4ELb0ELb0EEvPKvS2_PKi31ggml_cuda_mm_fusion_args_devicePfj15HIP_vector_typeIjLj3EEjjjS8_jjjS8_jjjj ; -- Begin function _ZL13mul_mat_vec_qIL9ggml_type18ELi4ELb0ELb0EEvPKvS2_PKi31ggml_cuda_mm_fusion_args_devicePfj15HIP_vector_typeIjLj3EEjjjS8_jjjS8_jjjj
	.p2align	8
	.type	_ZL13mul_mat_vec_qIL9ggml_type18ELi4ELb0ELb0EEvPKvS2_PKi31ggml_cuda_mm_fusion_args_devicePfj15HIP_vector_typeIjLj3EEjjjS8_jjjS8_jjjj,@function
_ZL13mul_mat_vec_qIL9ggml_type18ELi4ELb0ELb0EEvPKvS2_PKi31ggml_cuda_mm_fusion_args_devicePfj15HIP_vector_typeIjLj3EEjjjS8_jjjS8_jjjj: ; @_ZL13mul_mat_vec_qIL9ggml_type18ELi4ELb0ELb0EEvPKvS2_PKi31ggml_cuda_mm_fusion_args_devicePfj15HIP_vector_typeIjLj3EEjjjS8_jjjS8_jjjj
; %bb.0:
	s_clause 0x5
	s_load_dword s9, s[4:5], 0x40
	s_load_dwordx4 s[0:3], s[4:5], 0x50
	s_load_dword s24, s[4:5], 0x60
	s_load_dwordx4 s[12:15], s[4:5], 0x68
	;; [unrolled: 2-line block ×3, first 2 shown]
	v_lshl_or_b32 v2, v1, 5, v0
	v_mov_b32_e32 v9, 0
	v_mov_b32_e32 v10, 0
	v_mov_b32_e32 v11, 0
	v_mov_b32_e32 v13, 0
	v_lshrrev_b32_e32 v12, 3, v2
	s_waitcnt lgkmcnt(0)
	s_lshr_b32 s10, s9, 8
	s_mov_b32 s9, exec_lo
	v_cmpx_gt_u32_e64 s10, v12
	s_cbranch_execz .LBB199_4
; %bb.1:
	s_mul_i32 s13, s13, s7
	s_load_dwordx4 s[20:23], s[4:5], 0x0
	s_mul_hi_u32 s27, s13, 36
	s_mul_i32 s26, s13, 36
	s_mul_i32 s17, s17, s8
	v_mad_u64_u32 v[2:3], null, 0x120, v12, s[26:27]
	v_lshlrev_b32_e32 v4, 1, v0
	s_mul_hi_u32 s3, s3, s7
	s_mul_hi_u32 s15, s15, s8
	s_add_i32 s3, s7, s3
	s_add_i32 s15, s8, s15
	v_and_b32_e32 v9, 14, v4
	v_mad_u64_u32 v[2:3], null, s17, 36, v[2:3]
	v_and_b32_e32 v4, 7, v0
	s_mul_i32 s25, s17, 36
	s_lshr_b32 s3, s3, s24
	s_mul_hi_u32 s19, s17, 36
	s_lshr_b32 s11, s15, s11
	s_mul_i32 s3, s3, s12
	v_mad_u64_u32 v[7:8], null, v4, 36, v[2:3]
	s_waitcnt lgkmcnt(0)
	s_add_u32 s12, s22, s25
	v_lshlrev_b32_e32 v6, 3, v12
	s_addc_u32 s13, s23, s19
	s_add_u32 s12, s12, s26
	s_addc_u32 s13, s13, s27
	v_lshlrev_b32_e32 v10, 1, v9
	v_mad_u64_u32 v[2:3], null, v4, 36, s[12:13]
	v_mad_u64_u32 v[4:5], null, s1, 3, v[6:7]
	v_add_co_u32 v5, vcc_lo, s22, v7
	v_add_co_ci_u32_e64 v7, null, s23, v8, vcc_lo
	s_mul_i32 s0, s0, s6
	v_add_co_u32 v5, vcc_lo, v5, 16
	v_mov_b32_e32 v14, 0
	v_add_nc_u32_e32 v15, s1, v6
	v_lshl_add_u32 v16, s1, 1, v6
	v_add_co_ci_u32_e64 v6, null, 0, v7, vcc_lo
	v_lshlrev_b32_e32 v17, 1, v10
	v_lshlrev_b32_e32 v18, 1, v9
	v_mov_b32_e32 v19, 2
	v_mov_b32_e32 v9, 0
	;; [unrolled: 1-line block ×5, first 2 shown]
	s_mul_i32 s11, s11, s16
	s_add_i32 s3, s3, s0
	s_add_i32 s11, s11, s3
	s_mov_b32 s3, 0
.LBB199_2:                              ; =>This Inner Loop Header: Depth=1
	v_add_nc_u32_e32 v7, s11, v12
	s_getpc_b64 s[0:1]
	s_add_u32 s0, s0, _ZL11iq3xxs_grid@rel32@lo+4
	s_addc_u32 s1, s1, _ZL11iq3xxs_grid@rel32@hi+12
	v_add_nc_u32_e32 v12, 4, v12
	v_mad_i64_i32 v[7:8], null, 0x62, v7, s[20:21]
	v_add_co_u32 v20, vcc_lo, v7, v17
	v_add_co_ci_u32_e64 v21, null, 0, v8, vcc_lo
	global_load_dwordx2 v[25:26], v[20:21], off offset:2
	v_add_co_u32 v20, vcc_lo, v7, v18
	v_add_co_ci_u32_e64 v21, null, 0, v8, vcc_lo
	global_load_ushort v7, v[7:8], off
	v_mov_b32_e32 v8, 0
	global_load_dword v27, v[20:21], off offset:66
	s_waitcnt vmcnt(2)
	v_lshlrev_b32_sdwa v20, v19, v25 dst_sel:DWORD dst_unused:UNUSED_PAD src0_sel:DWORD src1_sel:BYTE_0
	v_lshlrev_b32_sdwa v21, v19, v25 dst_sel:DWORD dst_unused:UNUSED_PAD src0_sel:DWORD src1_sel:BYTE_1
	s_clause 0x1
	global_load_dword v20, v20, s[0:1]
	global_load_dword v21, v21, s[0:1]
	s_waitcnt vmcnt(3)
	v_cvt_f32_f16_e32 v37, v7
	s_waitcnt vmcnt(2)
	v_and_b32_e32 v22, 0xff, v27
	v_bcnt_u32_b32 v23, v22, 0
	v_and_b32_e32 v23, 1, v23
	v_lshlrev_b32_e32 v23, 7, v23
	v_xor_b32_e32 v22, v23, v22
	v_mul_lo_u32 v22, 0x1010101, v22
	v_and_b32_e32 v23, 0x8040201, v22
	v_lshrrev_b32_e32 v24, 18, v22
	v_cmp_ne_u16_sdwa s12, v23, v14 src0_sel:BYTE_3 src1_sel:DWORD
	v_cmp_ne_u16_sdwa s13, v23, v14 src0_sel:BYTE_1 src1_sel:DWORD
	v_bfe_i32 v23, v22, 0, 1
	v_bfe_i32 v24, v24, 0, 1
	v_cndmask_b32_e64 v30, 0, -1, s12
	v_cndmask_b32_e64 v28, 0, -1, s13
	v_lshlrev_b16 v30, 8, v30
	v_lshlrev_b16 v28, 8, v28
	v_or_b32_sdwa v31, v24, v30 dst_sel:WORD_1 dst_unused:UNUSED_PAD src0_sel:BYTE_0 src1_sel:DWORD
	v_or_b32_sdwa v29, v23, v28 dst_sel:DWORD dst_unused:UNUSED_PAD src0_sel:BYTE_0 src1_sel:DWORD
	v_lshlrev_b16 v23, 8, v23
	v_lshlrev_b16 v24, 8, v24
	v_or_b32_sdwa v29, v29, v31 dst_sel:DWORD dst_unused:UNUSED_PAD src0_sel:WORD_0 src1_sel:DWORD
	s_waitcnt vmcnt(1)
	v_xor_b32_e32 v20, v20, v29
	v_lshrrev_b32_e32 v29, 16, v20
	v_and_b32_e32 v31, 0xffffff00, v20
	v_lshlrev_b16 v20, 8, v20
	v_sub_nc_i16 v28, v31, v28 clamp
	v_sub_nc_i16 v20, v20, v23 clamp
	v_and_b32_e32 v23, 0xffffff00, v29
	v_perm_b32 v20, v20, v28, 0xc0c0105
	v_lshlrev_b16 v28, 8, v29
	v_sub_nc_i16 v23, v23, v30 clamp
	v_sub_nc_i16 v24, v28, v24 clamp
	v_perm_b32 v23, v24, v23, 0xc0c0105
	v_lshl_or_b32 v20, v23, 16, v20
	v_and_b32_e32 v23, 0x80402010, v22
	v_lshrrev_b32_e32 v22, 22, v22
	v_cmp_ne_u16_sdwa s12, v23, v14 src0_sel:BYTE_3 src1_sel:DWORD
	v_cmp_ne_u16_sdwa s13, v23, v14 src0_sel:BYTE_1 src1_sel:DWORD
	v_lshrrev_b16 v23, 4, v23
	v_bfe_i32 v22, v22, 0, 1
	v_cndmask_b32_e64 v29, 0, -1, s12
	v_cndmask_b32_e64 v24, 0, -1, s13
	v_bfe_i32 v23, v23, 0, 1
	v_lshlrev_b16 v29, 8, v29
	v_lshlrev_b16 v24, 8, v24
	v_or_b32_sdwa v30, v22, v29 dst_sel:WORD_1 dst_unused:UNUSED_PAD src0_sel:BYTE_0 src1_sel:DWORD
	v_or_b32_sdwa v28, v23, v24 dst_sel:DWORD dst_unused:UNUSED_PAD src0_sel:BYTE_0 src1_sel:DWORD
	v_lshlrev_b16 v23, 8, v23
	v_lshlrev_b16 v22, 8, v22
	v_or_b32_sdwa v28, v28, v30 dst_sel:DWORD dst_unused:UNUSED_PAD src0_sel:WORD_0 src1_sel:DWORD
	s_waitcnt vmcnt(0)
	v_xor_b32_e32 v21, v21, v28
	v_lshrrev_b32_e32 v28, 16, v21
	v_and_b32_e32 v30, 0xffffff00, v21
	v_lshlrev_b16 v21, 8, v21
	v_sub_nc_i16 v24, v30, v24 clamp
	v_sub_nc_i16 v21, v21, v23 clamp
	v_and_b32_e32 v23, 0xffffff00, v28
	v_perm_b32 v21, v21, v24, 0xc0c0105
	v_lshlrev_b16 v24, 8, v28
	v_sub_nc_i16 v23, v23, v29 clamp
	v_sub_nc_i16 v22, v24, v22 clamp
	v_bfe_u32 v24, v27, 7, 8
	v_perm_b32 v22, v22, v23, 0xc0c0105
	v_lshlrev_b32_sdwa v23, v19, v25 dst_sel:DWORD dst_unused:UNUSED_PAD src0_sel:DWORD src1_sel:BYTE_3
	v_lshl_or_b32 v21, v22, 16, v21
	v_lshlrev_b32_sdwa v22, v19, v25 dst_sel:DWORD dst_unused:UNUSED_PAD src0_sel:DWORD src1_sel:BYTE_2
	global_load_dword v23, v23, s[0:1]
	v_bcnt_u32_b32 v25, v24, 0
	global_load_dword v22, v22, s[0:1]
	v_and_b32_e32 v25, 1, v25
	v_lshlrev_b32_e32 v25, 7, v25
	v_xor_b32_e32 v24, v25, v24
	v_mul_lo_u32 v24, 0x1010101, v24
	v_and_b32_e32 v25, 0x8040201, v24
	v_lshrrev_b32_e32 v28, 18, v24
	v_cmp_ne_u16_sdwa s12, v25, v14 src0_sel:BYTE_3 src1_sel:DWORD
	v_cmp_ne_u16_sdwa s13, v25, v14 src0_sel:BYTE_1 src1_sel:DWORD
	v_bfe_i32 v25, v24, 0, 1
	v_bfe_i32 v28, v28, 0, 1
	v_cndmask_b32_e64 v31, 0, -1, s12
	v_cndmask_b32_e64 v29, 0, -1, s13
	v_lshlrev_b16 v31, 8, v31
	v_lshlrev_b16 v29, 8, v29
	v_or_b32_sdwa v32, v28, v31 dst_sel:WORD_1 dst_unused:UNUSED_PAD src0_sel:BYTE_0 src1_sel:DWORD
	v_or_b32_sdwa v30, v25, v29 dst_sel:DWORD dst_unused:UNUSED_PAD src0_sel:BYTE_0 src1_sel:DWORD
	v_lshlrev_b16 v25, 8, v25
	v_lshlrev_b16 v28, 8, v28
	v_or_b32_sdwa v30, v30, v32 dst_sel:DWORD dst_unused:UNUSED_PAD src0_sel:WORD_0 src1_sel:DWORD
	s_waitcnt vmcnt(0)
	v_xor_b32_e32 v22, v22, v30
	v_lshrrev_b32_e32 v30, 16, v22
	v_and_b32_e32 v32, 0xffffff00, v22
	v_lshlrev_b16 v22, 8, v22
	v_sub_nc_i16 v29, v32, v29 clamp
	v_sub_nc_i16 v22, v22, v25 clamp
	v_and_b32_e32 v25, 0xffffff00, v30
	v_perm_b32 v22, v22, v29, 0xc0c0105
	v_lshlrev_b16 v29, 8, v30
	v_sub_nc_i16 v25, v25, v31 clamp
	v_sub_nc_i16 v28, v29, v28 clamp
	v_perm_b32 v25, v28, v25, 0xc0c0105
	v_lshl_or_b32 v22, v25, 16, v22
	v_and_b32_e32 v25, 0x80402010, v24
	v_lshrrev_b32_e32 v24, 22, v24
	v_cmp_ne_u16_sdwa s12, v25, v14 src0_sel:BYTE_3 src1_sel:DWORD
	v_cmp_ne_u16_sdwa s13, v25, v14 src0_sel:BYTE_1 src1_sel:DWORD
	v_lshrrev_b16 v25, 4, v25
	v_bfe_i32 v24, v24, 0, 1
	v_cndmask_b32_e64 v30, 0, -1, s12
	v_cndmask_b32_e64 v28, 0, -1, s13
	v_bfe_i32 v25, v25, 0, 1
	v_lshlrev_b16 v30, 8, v30
	v_lshlrev_b16 v28, 8, v28
	v_or_b32_sdwa v31, v24, v30 dst_sel:WORD_1 dst_unused:UNUSED_PAD src0_sel:BYTE_0 src1_sel:DWORD
	v_or_b32_sdwa v29, v25, v28 dst_sel:DWORD dst_unused:UNUSED_PAD src0_sel:BYTE_0 src1_sel:DWORD
	v_lshlrev_b16 v25, 8, v25
	v_lshlrev_b16 v24, 8, v24
	v_or_b32_sdwa v29, v29, v31 dst_sel:DWORD dst_unused:UNUSED_PAD src0_sel:WORD_0 src1_sel:DWORD
	v_xor_b32_e32 v23, v23, v29
	v_lshrrev_b32_e32 v29, 16, v23
	v_and_b32_e32 v31, 0xffffff00, v23
	v_lshlrev_b16 v23, 8, v23
	v_sub_nc_i16 v28, v31, v28 clamp
	v_sub_nc_i16 v23, v23, v25 clamp
	v_and_b32_e32 v25, 0xffffff00, v29
	v_perm_b32 v23, v23, v28, 0xc0c0105
	v_lshlrev_b16 v28, 8, v29
	v_sub_nc_i16 v25, v25, v30 clamp
	v_sub_nc_i16 v24, v28, v24 clamp
	v_bfe_u32 v28, v27, 14, 8
	v_perm_b32 v24, v24, v25, 0xc0c0105
	v_lshlrev_b32_sdwa v25, v19, v26 dst_sel:DWORD dst_unused:UNUSED_PAD src0_sel:DWORD src1_sel:BYTE_1
	v_bcnt_u32_b32 v29, v28, 0
	v_lshl_or_b32 v23, v24, 16, v23
	v_lshlrev_b32_sdwa v24, v19, v26 dst_sel:DWORD dst_unused:UNUSED_PAD src0_sel:DWORD src1_sel:BYTE_0
	global_load_dword v25, v25, s[0:1]
	v_and_b32_e32 v29, 1, v29
	global_load_dword v24, v24, s[0:1]
	v_lshlrev_b32_e32 v29, 7, v29
	v_xor_b32_e32 v28, v29, v28
	v_mul_lo_u32 v28, 0x1010101, v28
	v_and_b32_e32 v29, 0x8040201, v28
	v_lshrrev_b32_e32 v30, 18, v28
	v_cmp_ne_u16_sdwa s12, v29, v14 src0_sel:BYTE_3 src1_sel:DWORD
	v_cmp_ne_u16_sdwa s13, v29, v14 src0_sel:BYTE_1 src1_sel:DWORD
	v_bfe_i32 v29, v28, 0, 1
	v_bfe_i32 v30, v30, 0, 1
	v_cndmask_b32_e64 v33, 0, -1, s12
	v_cndmask_b32_e64 v31, 0, -1, s13
	v_lshlrev_b16 v33, 8, v33
	v_lshlrev_b16 v31, 8, v31
	v_or_b32_sdwa v34, v30, v33 dst_sel:WORD_1 dst_unused:UNUSED_PAD src0_sel:BYTE_0 src1_sel:DWORD
	v_or_b32_sdwa v32, v29, v31 dst_sel:DWORD dst_unused:UNUSED_PAD src0_sel:BYTE_0 src1_sel:DWORD
	v_lshlrev_b16 v29, 8, v29
	v_lshlrev_b16 v30, 8, v30
	v_or_b32_sdwa v32, v32, v34 dst_sel:DWORD dst_unused:UNUSED_PAD src0_sel:WORD_0 src1_sel:DWORD
	s_waitcnt vmcnt(0)
	v_xor_b32_e32 v24, v24, v32
	v_lshrrev_b32_e32 v32, 16, v24
	v_and_b32_e32 v34, 0xffffff00, v24
	v_lshlrev_b16 v24, 8, v24
	v_sub_nc_i16 v31, v34, v31 clamp
	v_sub_nc_i16 v24, v24, v29 clamp
	v_and_b32_e32 v29, 0xffffff00, v32
	v_perm_b32 v24, v24, v31, 0xc0c0105
	v_lshlrev_b16 v31, 8, v32
	v_sub_nc_i16 v29, v29, v33 clamp
	v_sub_nc_i16 v30, v31, v30 clamp
	v_perm_b32 v29, v30, v29, 0xc0c0105
	v_lshl_or_b32 v24, v29, 16, v24
	v_and_b32_e32 v29, 0x80402010, v28
	v_lshrrev_b32_e32 v28, 22, v28
	v_cmp_ne_u16_sdwa s12, v29, v14 src0_sel:BYTE_3 src1_sel:DWORD
	v_cmp_ne_u16_sdwa s13, v29, v14 src0_sel:BYTE_1 src1_sel:DWORD
	v_lshrrev_b16 v29, 4, v29
	v_bfe_i32 v28, v28, 0, 1
	v_cndmask_b32_e64 v32, 0, -1, s12
	v_cndmask_b32_e64 v30, 0, -1, s13
	v_bfe_i32 v29, v29, 0, 1
	v_lshlrev_b16 v32, 8, v32
	v_lshlrev_b16 v30, 8, v30
	v_or_b32_sdwa v33, v28, v32 dst_sel:WORD_1 dst_unused:UNUSED_PAD src0_sel:BYTE_0 src1_sel:DWORD
	v_or_b32_sdwa v31, v29, v30 dst_sel:DWORD dst_unused:UNUSED_PAD src0_sel:BYTE_0 src1_sel:DWORD
	v_lshlrev_b16 v29, 8, v29
	v_lshlrev_b16 v28, 8, v28
	v_or_b32_sdwa v31, v31, v33 dst_sel:DWORD dst_unused:UNUSED_PAD src0_sel:WORD_0 src1_sel:DWORD
	v_xor_b32_e32 v25, v25, v31
	v_lshrrev_b32_e32 v31, 16, v25
	v_and_b32_e32 v33, 0xffffff00, v25
	v_lshlrev_b16 v25, 8, v25
	v_sub_nc_i16 v30, v33, v30 clamp
	v_sub_nc_i16 v25, v25, v29 clamp
	v_and_b32_e32 v29, 0xffffff00, v31
	v_perm_b32 v25, v25, v30, 0xc0c0105
	v_lshlrev_b16 v30, 8, v31
	v_sub_nc_i16 v29, v29, v32 clamp
	v_sub_nc_i16 v28, v30, v28 clamp
	v_perm_b32 v28, v28, v29, 0xc0c0105
	v_lshl_or_b32 v25, v28, 16, v25
	v_lshlrev_b32_sdwa v28, v19, v26 dst_sel:DWORD dst_unused:UNUSED_PAD src0_sel:DWORD src1_sel:BYTE_2
	v_lshlrev_b32_sdwa v26, v19, v26 dst_sel:DWORD dst_unused:UNUSED_PAD src0_sel:DWORD src1_sel:BYTE_3
	s_clause 0x1
	global_load_dword v28, v28, s[0:1]
	global_load_dword v29, v26, s[0:1]
	v_bfe_u32 v26, v27, 21, 8
	v_lshrrev_b32_e32 v27, 28, v27
	v_bcnt_u32_b32 v30, v26, 0
	v_and_b32_e32 v30, 1, v30
	v_lshlrev_b32_e32 v30, 7, v30
	v_xor_b32_e32 v26, v30, v26
	v_mul_lo_u32 v30, 0x1010101, v26
	v_and_b32_e32 v26, 0x8040201, v30
	v_lshrrev_b32_e32 v31, 18, v30
	v_cmp_ne_u16_sdwa s0, v26, v14 src0_sel:BYTE_3 src1_sel:DWORD
	v_cmp_ne_u16_sdwa s1, v26, v14 src0_sel:BYTE_1 src1_sel:DWORD
	v_bfe_i32 v26, v30, 0, 1
	v_bfe_i32 v31, v31, 0, 1
	v_cndmask_b32_e64 v34, 0, -1, s0
	v_cndmask_b32_e64 v32, 0, -1, s1
	v_lshlrev_b16 v34, 8, v34
	v_lshlrev_b16 v32, 8, v32
	v_or_b32_sdwa v35, v31, v34 dst_sel:WORD_1 dst_unused:UNUSED_PAD src0_sel:BYTE_0 src1_sel:DWORD
	v_or_b32_sdwa v33, v26, v32 dst_sel:DWORD dst_unused:UNUSED_PAD src0_sel:BYTE_0 src1_sel:DWORD
	v_lshlrev_b16 v26, 8, v26
	v_lshlrev_b16 v31, 8, v31
	v_or_b32_sdwa v33, v33, v35 dst_sel:DWORD dst_unused:UNUSED_PAD src0_sel:WORD_0 src1_sel:DWORD
	s_waitcnt vmcnt(1)
	v_xor_b32_e32 v28, v28, v33
	v_lshrrev_b32_e32 v33, 16, v28
	v_and_b32_e32 v35, 0xffffff00, v28
	v_lshlrev_b16 v28, 8, v28
	v_sub_nc_i16 v32, v35, v32 clamp
	v_sub_nc_i16 v26, v28, v26 clamp
	v_and_b32_e32 v28, 0xffffff00, v33
	v_perm_b32 v26, v26, v32, 0xc0c0105
	v_lshlrev_b16 v32, 8, v33
	v_sub_nc_i16 v28, v28, v34 clamp
	v_sub_nc_i16 v31, v32, v31 clamp
	v_perm_b32 v28, v31, v28, 0xc0c0105
	v_lshl_or_b32 v26, v28, 16, v26
	v_and_b32_e32 v28, 0x80402010, v30
	v_lshrrev_b32_e32 v30, 22, v30
	v_cmp_ne_u16_sdwa s0, v28, v14 src0_sel:BYTE_3 src1_sel:DWORD
	v_cmp_ne_u16_sdwa s1, v28, v14 src0_sel:BYTE_1 src1_sel:DWORD
	v_lshrrev_b16 v28, 4, v28
	v_bfe_i32 v30, v30, 0, 1
	v_cndmask_b32_e64 v33, 0, -1, s0
	v_cndmask_b32_e64 v31, 0, -1, s1
	v_bfe_i32 v28, v28, 0, 1
	v_lshlrev_b16 v33, 8, v33
	v_lshlrev_b16 v31, 8, v31
	v_or_b32_sdwa v34, v30, v33 dst_sel:WORD_1 dst_unused:UNUSED_PAD src0_sel:BYTE_0 src1_sel:DWORD
	v_or_b32_sdwa v32, v28, v31 dst_sel:DWORD dst_unused:UNUSED_PAD src0_sel:BYTE_0 src1_sel:DWORD
	v_lshlrev_b16 v28, 8, v28
	v_lshlrev_b16 v30, 8, v30
	v_or_b32_sdwa v32, v32, v34 dst_sel:DWORD dst_unused:UNUSED_PAD src0_sel:WORD_0 src1_sel:DWORD
	s_waitcnt vmcnt(0)
	v_xor_b32_e32 v29, v29, v32
	v_lshrrev_b32_e32 v32, 16, v29
	v_and_b32_e32 v34, 0xffffff00, v29
	v_lshlrev_b16 v29, 8, v29
	v_sub_nc_i16 v31, v34, v31 clamp
	v_sub_nc_i16 v28, v29, v28 clamp
	v_and_b32_e32 v29, 0xffffff00, v32
	v_perm_b32 v28, v28, v31, 0xc0c0105
	v_lshlrev_b16 v31, 8, v32
	v_sub_nc_i16 v29, v29, v33 clamp
	v_sub_nc_i16 v30, v31, v30 clamp
	v_perm_b32 v29, v30, v29, 0xc0c0105
	v_lshl_or_b32 v28, v29, 16, v28
	s_clause 0x2
	global_load_dwordx4 v[29:32], v[5:6], off offset:-16
	global_load_dword v7, v[5:6], off offset:16
	global_load_dwordx4 v[33:36], v[5:6], off
	v_add_co_u32 v5, vcc_lo, 0x480, v5
	v_add_co_ci_u32_e64 v6, null, 0, v6, vcc_lo
	v_cmp_le_u32_e32 vcc_lo, s10, v12
	s_or_b32 s3, vcc_lo, s3
	s_waitcnt vmcnt(2)
	v_dot4c_i32_i8 v8, v20, v30
	v_dot4c_i32_i8 v8, v21, v31
	v_dot4c_i32_i8 v8, v22, v32
	s_waitcnt vmcnt(0)
	v_dot4c_i32_i8 v8, v23, v33
	v_dot4c_i32_i8 v8, v24, v34
	v_dot4c_i32_i8 v8, v25, v35
	v_dot4c_i32_i8 v8, v26, v36
	v_dot4c_i32_i8 v8, v28, v7
	v_lshrrev_b32_e32 v7, 31, v8
	v_add_nc_u32_e32 v7, v8, v7
	v_ashrrev_i32_e32 v7, 1, v7
	v_mad_u64_u32 v[7:8], null, v8, v27, v[7:8]
	v_lshrrev_b32_e32 v8, 31, v7
	v_add_nc_u32_e32 v7, v7, v8
	v_cvt_f32_f16_e32 v8, v29
	v_ashrrev_i32_e32 v7, 1, v7
	v_mul_f32_e32 v8, v37, v8
	v_cvt_f32_i32_e32 v7, v7
	v_fmac_f32_e32 v13, v8, v7
	v_mad_u64_u32 v[7:8], null, v15, 36, v[2:3]
	s_clause 0x2
	global_load_dwordx4 v[29:32], v[7:8], off
	global_load_dword v38, v[7:8], off offset:32
	global_load_dwordx4 v[33:36], v[7:8], off offset:16
	v_mov_b32_e32 v8, 0
	v_add_nc_u32_e32 v15, 32, v15
	s_waitcnt vmcnt(2)
	v_dot4c_i32_i8 v8, v20, v30
	v_dot4c_i32_i8 v8, v21, v31
	v_dot4c_i32_i8 v8, v22, v32
	s_waitcnt vmcnt(0)
	v_dot4c_i32_i8 v8, v23, v33
	v_dot4c_i32_i8 v8, v24, v34
	v_dot4c_i32_i8 v8, v25, v35
	v_dot4c_i32_i8 v8, v26, v36
	v_dot4c_i32_i8 v8, v28, v38
	v_lshrrev_b32_e32 v7, 31, v8
	v_add_nc_u32_e32 v7, v8, v7
	v_ashrrev_i32_e32 v7, 1, v7
	v_mad_u64_u32 v[7:8], null, v8, v27, v[7:8]
	v_lshrrev_b32_e32 v8, 31, v7
	v_add_nc_u32_e32 v7, v7, v8
	v_cvt_f32_f16_e32 v8, v29
	v_ashrrev_i32_e32 v7, 1, v7
	v_mul_f32_e32 v8, v37, v8
	v_cvt_f32_i32_e32 v7, v7
	v_fmac_f32_e32 v11, v8, v7
	v_mad_u64_u32 v[7:8], null, v16, 36, v[2:3]
	s_clause 0x2
	global_load_dwordx4 v[29:32], v[7:8], off
	global_load_dword v38, v[7:8], off offset:32
	global_load_dwordx4 v[33:36], v[7:8], off offset:16
	v_mov_b32_e32 v8, 0
	v_add_nc_u32_e32 v16, 32, v16
	;; [unrolled: 28-line block ×3, first 2 shown]
	s_waitcnt vmcnt(2)
	v_dot4c_i32_i8 v8, v20, v30
	v_dot4c_i32_i8 v8, v21, v31
	;; [unrolled: 1-line block ×3, first 2 shown]
	s_waitcnt vmcnt(0)
	v_dot4c_i32_i8 v8, v23, v33
	v_dot4c_i32_i8 v8, v24, v34
	;; [unrolled: 1-line block ×5, first 2 shown]
	v_lshrrev_b32_e32 v7, 31, v8
	v_add_nc_u32_e32 v7, v8, v7
	v_ashrrev_i32_e32 v7, 1, v7
	v_mad_u64_u32 v[7:8], null, v8, v27, v[7:8]
	v_lshrrev_b32_e32 v8, 31, v7
	v_add_nc_u32_e32 v7, v7, v8
	v_cvt_f32_f16_e32 v8, v29
	v_ashrrev_i32_e32 v7, 1, v7
	v_mul_f32_e32 v8, v37, v8
	v_cvt_f32_i32_e32 v7, v7
	v_fmac_f32_e32 v9, v8, v7
	s_andn2_b32 exec_lo, exec_lo, s3
	s_cbranch_execnz .LBB199_2
; %bb.3:
	s_or_b32 exec_lo, exec_lo, s3
.LBB199_4:
	s_or_b32 exec_lo, exec_lo, s9
	s_mov_b32 s1, 0
	; wave barrier
	buffer_gl0_inv
	s_mov_b32 s0, exec_lo
	v_cmpx_eq_u32_e32 0, v1
	s_cbranch_execz .LBB199_13
; %bb.5:
	v_mbcnt_lo_u32_b32 v5, -1, 0
	s_load_dwordx2 s[4:5], s[4:5], 0x38
	s_mul_i32 s0, s14, s7
	s_mul_i32 s3, s18, s8
	s_add_i32 s0, s0, s6
	v_xor_b32_e32 v1, 16, v5
	v_xor_b32_e32 v2, 8, v5
	;; [unrolled: 1-line block ×3, first 2 shown]
	s_add_i32 s0, s0, s3
	s_lshl_b64 s[0:1], s[0:1], 2
	v_cmp_gt_i32_e32 vcc_lo, 32, v1
	v_cndmask_b32_e32 v1, v5, v1, vcc_lo
	v_cmp_gt_i32_e32 vcc_lo, 32, v2
	v_lshlrev_b32_e32 v1, 2, v1
	v_cndmask_b32_e32 v2, v5, v2, vcc_lo
	s_waitcnt lgkmcnt(0)
	s_add_u32 s0, s4, s0
	s_addc_u32 s1, s5, s1
	ds_bpermute_b32 v3, v1, v13
	v_lshlrev_b32_e32 v2, 2, v2
	s_waitcnt lgkmcnt(0)
	v_add_f32_e32 v4, v13, v3
	v_xor_b32_e32 v3, 4, v5
	ds_bpermute_b32 v6, v2, v4
	v_cmp_gt_i32_e32 vcc_lo, 32, v3
	v_cndmask_b32_e32 v3, v5, v3, vcc_lo
	v_lshlrev_b32_e32 v3, 2, v3
	s_waitcnt lgkmcnt(0)
	v_add_f32_e32 v6, v4, v6
	v_xor_b32_e32 v4, 2, v5
	ds_bpermute_b32 v7, v3, v6
	v_cmp_gt_i32_e32 vcc_lo, 32, v4
	v_cndmask_b32_e32 v4, v5, v4, vcc_lo
	v_cmp_gt_i32_e32 vcc_lo, 32, v8
	v_lshlrev_b32_e32 v4, 2, v4
	v_cndmask_b32_e32 v5, v5, v8, vcc_lo
	v_cmp_eq_u32_e32 vcc_lo, 0, v0
	v_lshlrev_b32_e32 v5, 2, v5
	s_waitcnt lgkmcnt(0)
	v_add_f32_e32 v6, v6, v7
	ds_bpermute_b32 v7, v4, v6
	s_waitcnt lgkmcnt(0)
	v_add_f32_e32 v6, v6, v7
	ds_bpermute_b32 v7, v5, v6
	s_and_saveexec_b32 s3, vcc_lo
	s_cbranch_execz .LBB199_7
; %bb.6:
	s_waitcnt lgkmcnt(0)
	v_add_f32_e32 v0, v6, v7
	v_mov_b32_e32 v6, 0
	global_store_dword v6, v0, s[0:1]
.LBB199_7:
	s_or_b32 exec_lo, exec_lo, s3
	ds_bpermute_b32 v0, v1, v11
	s_waitcnt lgkmcnt(0)
	v_add_f32_e32 v0, v11, v0
	ds_bpermute_b32 v6, v2, v0
	s_waitcnt lgkmcnt(0)
	v_add_f32_e32 v0, v0, v6
	;; [unrolled: 3-line block ×4, first 2 shown]
	ds_bpermute_b32 v6, v5, v0
	s_and_saveexec_b32 s4, vcc_lo
	s_cbranch_execz .LBB199_9
; %bb.8:
	s_mov_b32 s3, 0
	s_waitcnt lgkmcnt(0)
	v_add_f32_e32 v0, v0, v6
	s_lshl_b64 s[6:7], s[2:3], 2
	v_mov_b32_e32 v6, 0
	s_add_u32 s6, s0, s6
	s_addc_u32 s7, s1, s7
	global_store_dword v6, v0, s[6:7]
.LBB199_9:
	s_or_b32 exec_lo, exec_lo, s4
	ds_bpermute_b32 v0, v1, v10
	s_waitcnt lgkmcnt(0)
	v_add_f32_e32 v0, v10, v0
	ds_bpermute_b32 v6, v2, v0
	s_waitcnt lgkmcnt(0)
	v_add_f32_e32 v0, v0, v6
	;; [unrolled: 3-line block ×4, first 2 shown]
	ds_bpermute_b32 v6, v5, v0
	s_and_saveexec_b32 s3, vcc_lo
	s_cbranch_execz .LBB199_11
; %bb.10:
	s_lshl_b32 s4, s2, 1
	s_mov_b32 s5, 0
	s_waitcnt lgkmcnt(0)
	v_add_f32_e32 v0, v0, v6
	s_lshl_b64 s[4:5], s[4:5], 2
	v_mov_b32_e32 v6, 0
	s_add_u32 s4, s0, s4
	s_addc_u32 s5, s1, s5
	global_store_dword v6, v0, s[4:5]
.LBB199_11:
	s_or_b32 exec_lo, exec_lo, s3
	ds_bpermute_b32 v0, v1, v9
	s_waitcnt lgkmcnt(0)
	v_add_f32_e32 v0, v9, v0
	ds_bpermute_b32 v1, v2, v0
	s_waitcnt lgkmcnt(0)
	v_add_f32_e32 v0, v0, v1
	;; [unrolled: 3-line block ×4, first 2 shown]
	ds_bpermute_b32 v1, v5, v0
	s_and_b32 exec_lo, exec_lo, vcc_lo
	s_cbranch_execz .LBB199_13
; %bb.12:
	s_mul_i32 s2, s2, 3
	s_mov_b32 s3, 0
	s_waitcnt lgkmcnt(0)
	v_add_f32_e32 v0, v0, v1
	s_lshl_b64 s[2:3], s[2:3], 2
	v_mov_b32_e32 v1, 0
	s_add_u32 s0, s0, s2
	s_addc_u32 s1, s1, s3
	global_store_dword v1, v0, s[0:1]
.LBB199_13:
	s_endpgm
	.section	.rodata,"a",@progbits
	.p2align	6, 0x0
	.amdhsa_kernel _ZL13mul_mat_vec_qIL9ggml_type18ELi4ELb0ELb0EEvPKvS2_PKi31ggml_cuda_mm_fusion_args_devicePfj15HIP_vector_typeIjLj3EEjjjS8_jjjS8_jjjj
		.amdhsa_group_segment_fixed_size 0
		.amdhsa_private_segment_fixed_size 0
		.amdhsa_kernarg_size 144
		.amdhsa_user_sgpr_count 6
		.amdhsa_user_sgpr_private_segment_buffer 1
		.amdhsa_user_sgpr_dispatch_ptr 0
		.amdhsa_user_sgpr_queue_ptr 0
		.amdhsa_user_sgpr_kernarg_segment_ptr 1
		.amdhsa_user_sgpr_dispatch_id 0
		.amdhsa_user_sgpr_flat_scratch_init 0
		.amdhsa_user_sgpr_private_segment_size 0
		.amdhsa_wavefront_size32 1
		.amdhsa_uses_dynamic_stack 0
		.amdhsa_system_sgpr_private_segment_wavefront_offset 0
		.amdhsa_system_sgpr_workgroup_id_x 1
		.amdhsa_system_sgpr_workgroup_id_y 1
		.amdhsa_system_sgpr_workgroup_id_z 1
		.amdhsa_system_sgpr_workgroup_info 0
		.amdhsa_system_vgpr_workitem_id 1
		.amdhsa_next_free_vgpr 39
		.amdhsa_next_free_sgpr 28
		.amdhsa_reserve_vcc 1
		.amdhsa_reserve_flat_scratch 0
		.amdhsa_float_round_mode_32 0
		.amdhsa_float_round_mode_16_64 0
		.amdhsa_float_denorm_mode_32 3
		.amdhsa_float_denorm_mode_16_64 3
		.amdhsa_dx10_clamp 1
		.amdhsa_ieee_mode 1
		.amdhsa_fp16_overflow 0
		.amdhsa_workgroup_processor_mode 1
		.amdhsa_memory_ordered 1
		.amdhsa_forward_progress 1
		.amdhsa_shared_vgpr_count 0
		.amdhsa_exception_fp_ieee_invalid_op 0
		.amdhsa_exception_fp_denorm_src 0
		.amdhsa_exception_fp_ieee_div_zero 0
		.amdhsa_exception_fp_ieee_overflow 0
		.amdhsa_exception_fp_ieee_underflow 0
		.amdhsa_exception_fp_ieee_inexact 0
		.amdhsa_exception_int_div_zero 0
	.end_amdhsa_kernel
	.section	.text._ZL13mul_mat_vec_qIL9ggml_type18ELi4ELb0ELb0EEvPKvS2_PKi31ggml_cuda_mm_fusion_args_devicePfj15HIP_vector_typeIjLj3EEjjjS8_jjjS8_jjjj,"axG",@progbits,_ZL13mul_mat_vec_qIL9ggml_type18ELi4ELb0ELb0EEvPKvS2_PKi31ggml_cuda_mm_fusion_args_devicePfj15HIP_vector_typeIjLj3EEjjjS8_jjjS8_jjjj,comdat
.Lfunc_end199:
	.size	_ZL13mul_mat_vec_qIL9ggml_type18ELi4ELb0ELb0EEvPKvS2_PKi31ggml_cuda_mm_fusion_args_devicePfj15HIP_vector_typeIjLj3EEjjjS8_jjjS8_jjjj, .Lfunc_end199-_ZL13mul_mat_vec_qIL9ggml_type18ELi4ELb0ELb0EEvPKvS2_PKi31ggml_cuda_mm_fusion_args_devicePfj15HIP_vector_typeIjLj3EEjjjS8_jjjS8_jjjj
                                        ; -- End function
	.set _ZL13mul_mat_vec_qIL9ggml_type18ELi4ELb0ELb0EEvPKvS2_PKi31ggml_cuda_mm_fusion_args_devicePfj15HIP_vector_typeIjLj3EEjjjS8_jjjS8_jjjj.num_vgpr, 39
	.set _ZL13mul_mat_vec_qIL9ggml_type18ELi4ELb0ELb0EEvPKvS2_PKi31ggml_cuda_mm_fusion_args_devicePfj15HIP_vector_typeIjLj3EEjjjS8_jjjS8_jjjj.num_agpr, 0
	.set _ZL13mul_mat_vec_qIL9ggml_type18ELi4ELb0ELb0EEvPKvS2_PKi31ggml_cuda_mm_fusion_args_devicePfj15HIP_vector_typeIjLj3EEjjjS8_jjjS8_jjjj.numbered_sgpr, 28
	.set _ZL13mul_mat_vec_qIL9ggml_type18ELi4ELb0ELb0EEvPKvS2_PKi31ggml_cuda_mm_fusion_args_devicePfj15HIP_vector_typeIjLj3EEjjjS8_jjjS8_jjjj.num_named_barrier, 0
	.set _ZL13mul_mat_vec_qIL9ggml_type18ELi4ELb0ELb0EEvPKvS2_PKi31ggml_cuda_mm_fusion_args_devicePfj15HIP_vector_typeIjLj3EEjjjS8_jjjS8_jjjj.private_seg_size, 0
	.set _ZL13mul_mat_vec_qIL9ggml_type18ELi4ELb0ELb0EEvPKvS2_PKi31ggml_cuda_mm_fusion_args_devicePfj15HIP_vector_typeIjLj3EEjjjS8_jjjS8_jjjj.uses_vcc, 1
	.set _ZL13mul_mat_vec_qIL9ggml_type18ELi4ELb0ELb0EEvPKvS2_PKi31ggml_cuda_mm_fusion_args_devicePfj15HIP_vector_typeIjLj3EEjjjS8_jjjS8_jjjj.uses_flat_scratch, 0
	.set _ZL13mul_mat_vec_qIL9ggml_type18ELi4ELb0ELb0EEvPKvS2_PKi31ggml_cuda_mm_fusion_args_devicePfj15HIP_vector_typeIjLj3EEjjjS8_jjjS8_jjjj.has_dyn_sized_stack, 0
	.set _ZL13mul_mat_vec_qIL9ggml_type18ELi4ELb0ELb0EEvPKvS2_PKi31ggml_cuda_mm_fusion_args_devicePfj15HIP_vector_typeIjLj3EEjjjS8_jjjS8_jjjj.has_recursion, 0
	.set _ZL13mul_mat_vec_qIL9ggml_type18ELi4ELb0ELb0EEvPKvS2_PKi31ggml_cuda_mm_fusion_args_devicePfj15HIP_vector_typeIjLj3EEjjjS8_jjjS8_jjjj.has_indirect_call, 0
	.section	.AMDGPU.csdata,"",@progbits
; Kernel info:
; codeLenInByte = 3760
; TotalNumSgprs: 30
; NumVgprs: 39
; ScratchSize: 0
; MemoryBound: 0
; FloatMode: 240
; IeeeMode: 1
; LDSByteSize: 0 bytes/workgroup (compile time only)
; SGPRBlocks: 0
; VGPRBlocks: 4
; NumSGPRsForWavesPerEU: 30
; NumVGPRsForWavesPerEU: 39
; Occupancy: 16
; WaveLimiterHint : 0
; COMPUTE_PGM_RSRC2:SCRATCH_EN: 0
; COMPUTE_PGM_RSRC2:USER_SGPR: 6
; COMPUTE_PGM_RSRC2:TRAP_HANDLER: 0
; COMPUTE_PGM_RSRC2:TGID_X_EN: 1
; COMPUTE_PGM_RSRC2:TGID_Y_EN: 1
; COMPUTE_PGM_RSRC2:TGID_Z_EN: 1
; COMPUTE_PGM_RSRC2:TIDIG_COMP_CNT: 1
	.section	.text._ZL13mul_mat_vec_qIL9ggml_type18ELi5ELb0ELb0EEvPKvS2_PKi31ggml_cuda_mm_fusion_args_devicePfj15HIP_vector_typeIjLj3EEjjjS8_jjjS8_jjjj,"axG",@progbits,_ZL13mul_mat_vec_qIL9ggml_type18ELi5ELb0ELb0EEvPKvS2_PKi31ggml_cuda_mm_fusion_args_devicePfj15HIP_vector_typeIjLj3EEjjjS8_jjjS8_jjjj,comdat
	.globl	_ZL13mul_mat_vec_qIL9ggml_type18ELi5ELb0ELb0EEvPKvS2_PKi31ggml_cuda_mm_fusion_args_devicePfj15HIP_vector_typeIjLj3EEjjjS8_jjjS8_jjjj ; -- Begin function _ZL13mul_mat_vec_qIL9ggml_type18ELi5ELb0ELb0EEvPKvS2_PKi31ggml_cuda_mm_fusion_args_devicePfj15HIP_vector_typeIjLj3EEjjjS8_jjjS8_jjjj
	.p2align	8
	.type	_ZL13mul_mat_vec_qIL9ggml_type18ELi5ELb0ELb0EEvPKvS2_PKi31ggml_cuda_mm_fusion_args_devicePfj15HIP_vector_typeIjLj3EEjjjS8_jjjS8_jjjj,@function
_ZL13mul_mat_vec_qIL9ggml_type18ELi5ELb0ELb0EEvPKvS2_PKi31ggml_cuda_mm_fusion_args_devicePfj15HIP_vector_typeIjLj3EEjjjS8_jjjS8_jjjj: ; @_ZL13mul_mat_vec_qIL9ggml_type18ELi5ELb0ELb0EEvPKvS2_PKi31ggml_cuda_mm_fusion_args_devicePfj15HIP_vector_typeIjLj3EEjjjS8_jjjS8_jjjj
; %bb.0:
	s_clause 0x5
	s_load_dword s9, s[4:5], 0x40
	s_load_dwordx4 s[0:3], s[4:5], 0x50
	s_load_dword s11, s[4:5], 0x60
	s_load_dwordx4 s[12:15], s[4:5], 0x68
	;; [unrolled: 2-line block ×3, first 2 shown]
	v_lshl_or_b32 v2, v1, 5, v0
	v_mov_b32_e32 v7, 0
	v_mov_b32_e32 v8, 0
	;; [unrolled: 1-line block ×4, first 2 shown]
	v_lshrrev_b32_e32 v11, 3, v2
	v_mov_b32_e32 v12, 0
	s_waitcnt lgkmcnt(0)
	s_lshr_b32 s10, s9, 8
	s_mov_b32 s9, exec_lo
	v_cmpx_gt_u32_e64 s10, v11
	s_cbranch_execz .LBB200_4
; %bb.1:
	s_mul_i32 s13, s13, s7
	s_load_dwordx4 s[20:23], s[4:5], 0x0
	s_mul_hi_u32 s27, s13, 36
	s_mul_i32 s26, s13, 36
	s_mul_i32 s17, s17, s8
	v_mad_u64_u32 v[2:3], null, 0x120, v11, s[26:27]
	v_lshlrev_b32_e32 v4, 1, v0
	s_mul_hi_u32 s3, s3, s7
	s_mul_hi_u32 s15, s15, s8
	s_add_i32 s3, s7, s3
	s_add_i32 s15, s8, s15
	v_and_b32_e32 v9, 14, v4
	v_mad_u64_u32 v[2:3], null, s17, 36, v[2:3]
	v_and_b32_e32 v4, 7, v0
	s_mul_i32 s25, s17, 36
	s_lshr_b32 s3, s3, s11
	s_mul_hi_u32 s19, s17, 36
	s_lshr_b32 s11, s15, s24
	s_mul_i32 s3, s3, s12
	v_mad_u64_u32 v[7:8], null, v4, 36, v[2:3]
	s_waitcnt lgkmcnt(0)
	s_add_u32 s12, s22, s25
	v_lshlrev_b32_e32 v6, 3, v11
	s_addc_u32 s13, s23, s19
	s_add_u32 s12, s12, s26
	s_addc_u32 s13, s13, s27
	v_lshlrev_b32_e32 v10, 1, v9
	v_mad_u64_u32 v[2:3], null, v4, 36, s[12:13]
	v_mad_u64_u32 v[4:5], null, s1, 3, v[6:7]
	v_add_co_u32 v5, vcc_lo, s22, v7
	v_add_co_ci_u32_e64 v7, null, s23, v8, vcc_lo
	s_mul_i32 s0, s0, s6
	v_add_co_u32 v5, vcc_lo, v5, 16
	v_mov_b32_e32 v13, 0
	v_add_nc_u32_e32 v14, s1, v6
	v_lshl_add_u32 v15, s1, 2, v6
	v_lshl_add_u32 v16, s1, 1, v6
	v_add_co_ci_u32_e64 v6, null, 0, v7, vcc_lo
	v_lshlrev_b32_e32 v17, 1, v10
	v_lshlrev_b32_e32 v18, 1, v9
	v_mov_b32_e32 v19, 2
	v_mov_b32_e32 v7, 0
	;; [unrolled: 1-line block ×6, first 2 shown]
	s_mul_i32 s11, s11, s16
	s_add_i32 s3, s3, s0
	s_add_i32 s11, s11, s3
	s_mov_b32 s3, 0
.LBB200_2:                              ; =>This Inner Loop Header: Depth=1
	v_add_nc_u32_e32 v20, s11, v11
	s_getpc_b64 s[0:1]
	s_add_u32 s0, s0, _ZL11iq3xxs_grid@rel32@lo+4
	s_addc_u32 s1, s1, _ZL11iq3xxs_grid@rel32@hi+12
	v_mov_b32_e32 v39, 0
	v_add_nc_u32_e32 v11, 4, v11
	v_mad_i64_i32 v[30:31], null, 0x62, v20, s[20:21]
	v_add_co_u32 v20, vcc_lo, v30, v17
	v_add_co_ci_u32_e64 v21, null, 0, v31, vcc_lo
	global_load_dwordx2 v[25:26], v[20:21], off offset:2
	v_add_co_u32 v20, vcc_lo, v30, v18
	v_add_co_ci_u32_e64 v21, null, 0, v31, vcc_lo
	global_load_dword v27, v[20:21], off offset:66
	s_waitcnt vmcnt(1)
	v_lshlrev_b32_sdwa v20, v19, v25 dst_sel:DWORD dst_unused:UNUSED_PAD src0_sel:DWORD src1_sel:BYTE_0
	v_lshlrev_b32_sdwa v21, v19, v25 dst_sel:DWORD dst_unused:UNUSED_PAD src0_sel:DWORD src1_sel:BYTE_1
	s_clause 0x1
	global_load_dword v20, v20, s[0:1]
	global_load_dword v21, v21, s[0:1]
	s_waitcnt vmcnt(2)
	v_and_b32_e32 v22, 0xff, v27
	v_bcnt_u32_b32 v23, v22, 0
	v_and_b32_e32 v23, 1, v23
	v_lshlrev_b32_e32 v23, 7, v23
	v_xor_b32_e32 v22, v23, v22
	v_mul_lo_u32 v22, 0x1010101, v22
	v_and_b32_e32 v23, 0x8040201, v22
	v_lshrrev_b32_e32 v24, 18, v22
	v_cmp_ne_u16_sdwa s12, v23, v13 src0_sel:BYTE_3 src1_sel:DWORD
	v_cmp_ne_u16_sdwa s13, v23, v13 src0_sel:BYTE_1 src1_sel:DWORD
	v_bfe_i32 v23, v22, 0, 1
	v_bfe_i32 v24, v24, 0, 1
	v_cndmask_b32_e64 v32, 0, -1, s12
	v_cndmask_b32_e64 v28, 0, -1, s13
	v_lshlrev_b16 v32, 8, v32
	v_lshlrev_b16 v28, 8, v28
	v_or_b32_sdwa v33, v24, v32 dst_sel:WORD_1 dst_unused:UNUSED_PAD src0_sel:BYTE_0 src1_sel:DWORD
	v_or_b32_sdwa v29, v23, v28 dst_sel:DWORD dst_unused:UNUSED_PAD src0_sel:BYTE_0 src1_sel:DWORD
	v_lshlrev_b16 v23, 8, v23
	v_lshlrev_b16 v24, 8, v24
	v_or_b32_sdwa v29, v29, v33 dst_sel:DWORD dst_unused:UNUSED_PAD src0_sel:WORD_0 src1_sel:DWORD
	s_waitcnt vmcnt(1)
	v_xor_b32_e32 v20, v20, v29
	v_lshrrev_b32_e32 v29, 16, v20
	v_and_b32_e32 v33, 0xffffff00, v20
	v_lshlrev_b16 v20, 8, v20
	v_sub_nc_i16 v28, v33, v28 clamp
	v_sub_nc_i16 v20, v20, v23 clamp
	v_and_b32_e32 v23, 0xffffff00, v29
	v_perm_b32 v20, v20, v28, 0xc0c0105
	v_lshlrev_b16 v28, 8, v29
	v_sub_nc_i16 v23, v23, v32 clamp
	v_sub_nc_i16 v24, v28, v24 clamp
	v_perm_b32 v23, v24, v23, 0xc0c0105
	v_lshl_or_b32 v20, v23, 16, v20
	v_and_b32_e32 v23, 0x80402010, v22
	v_lshrrev_b32_e32 v22, 22, v22
	v_cmp_ne_u16_sdwa s12, v23, v13 src0_sel:BYTE_3 src1_sel:DWORD
	v_cmp_ne_u16_sdwa s13, v23, v13 src0_sel:BYTE_1 src1_sel:DWORD
	v_lshrrev_b16 v23, 4, v23
	v_bfe_i32 v22, v22, 0, 1
	v_cndmask_b32_e64 v29, 0, -1, s12
	v_cndmask_b32_e64 v24, 0, -1, s13
	v_bfe_i32 v23, v23, 0, 1
	v_lshlrev_b16 v29, 8, v29
	v_lshlrev_b16 v24, 8, v24
	v_or_b32_sdwa v32, v22, v29 dst_sel:WORD_1 dst_unused:UNUSED_PAD src0_sel:BYTE_0 src1_sel:DWORD
	v_or_b32_sdwa v28, v23, v24 dst_sel:DWORD dst_unused:UNUSED_PAD src0_sel:BYTE_0 src1_sel:DWORD
	v_lshlrev_b16 v23, 8, v23
	v_lshlrev_b16 v22, 8, v22
	v_or_b32_sdwa v28, v28, v32 dst_sel:DWORD dst_unused:UNUSED_PAD src0_sel:WORD_0 src1_sel:DWORD
	s_waitcnt vmcnt(0)
	v_xor_b32_e32 v21, v21, v28
	v_lshrrev_b32_e32 v28, 16, v21
	v_and_b32_e32 v32, 0xffffff00, v21
	v_lshlrev_b16 v21, 8, v21
	v_sub_nc_i16 v24, v32, v24 clamp
	v_sub_nc_i16 v21, v21, v23 clamp
	v_and_b32_e32 v23, 0xffffff00, v28
	v_perm_b32 v21, v21, v24, 0xc0c0105
	v_lshlrev_b16 v24, 8, v28
	v_sub_nc_i16 v23, v23, v29 clamp
	v_sub_nc_i16 v22, v24, v22 clamp
	v_bfe_u32 v24, v27, 7, 8
	v_perm_b32 v22, v22, v23, 0xc0c0105
	v_lshlrev_b32_sdwa v23, v19, v25 dst_sel:DWORD dst_unused:UNUSED_PAD src0_sel:DWORD src1_sel:BYTE_3
	v_lshl_or_b32 v21, v22, 16, v21
	v_lshlrev_b32_sdwa v22, v19, v25 dst_sel:DWORD dst_unused:UNUSED_PAD src0_sel:DWORD src1_sel:BYTE_2
	global_load_dword v23, v23, s[0:1]
	v_bcnt_u32_b32 v25, v24, 0
	global_load_dword v22, v22, s[0:1]
	v_and_b32_e32 v25, 1, v25
	v_lshlrev_b32_e32 v25, 7, v25
	v_xor_b32_e32 v24, v25, v24
	v_mul_lo_u32 v24, 0x1010101, v24
	v_and_b32_e32 v25, 0x8040201, v24
	v_lshrrev_b32_e32 v28, 18, v24
	v_cmp_ne_u16_sdwa s12, v25, v13 src0_sel:BYTE_3 src1_sel:DWORD
	v_cmp_ne_u16_sdwa s13, v25, v13 src0_sel:BYTE_1 src1_sel:DWORD
	v_bfe_i32 v25, v24, 0, 1
	v_bfe_i32 v28, v28, 0, 1
	v_cndmask_b32_e64 v33, 0, -1, s12
	v_cndmask_b32_e64 v29, 0, -1, s13
	v_lshlrev_b16 v33, 8, v33
	v_lshlrev_b16 v29, 8, v29
	v_or_b32_sdwa v34, v28, v33 dst_sel:WORD_1 dst_unused:UNUSED_PAD src0_sel:BYTE_0 src1_sel:DWORD
	v_or_b32_sdwa v32, v25, v29 dst_sel:DWORD dst_unused:UNUSED_PAD src0_sel:BYTE_0 src1_sel:DWORD
	v_lshlrev_b16 v25, 8, v25
	v_lshlrev_b16 v28, 8, v28
	v_or_b32_sdwa v32, v32, v34 dst_sel:DWORD dst_unused:UNUSED_PAD src0_sel:WORD_0 src1_sel:DWORD
	s_waitcnt vmcnt(0)
	v_xor_b32_e32 v22, v22, v32
	v_lshrrev_b32_e32 v32, 16, v22
	v_and_b32_e32 v34, 0xffffff00, v22
	v_lshlrev_b16 v22, 8, v22
	v_sub_nc_i16 v29, v34, v29 clamp
	v_sub_nc_i16 v22, v22, v25 clamp
	v_and_b32_e32 v25, 0xffffff00, v32
	v_perm_b32 v22, v22, v29, 0xc0c0105
	v_lshlrev_b16 v29, 8, v32
	v_sub_nc_i16 v25, v25, v33 clamp
	v_sub_nc_i16 v28, v29, v28 clamp
	v_perm_b32 v25, v28, v25, 0xc0c0105
	v_lshl_or_b32 v22, v25, 16, v22
	v_and_b32_e32 v25, 0x80402010, v24
	v_lshrrev_b32_e32 v24, 22, v24
	v_cmp_ne_u16_sdwa s12, v25, v13 src0_sel:BYTE_3 src1_sel:DWORD
	v_cmp_ne_u16_sdwa s13, v25, v13 src0_sel:BYTE_1 src1_sel:DWORD
	v_lshrrev_b16 v25, 4, v25
	v_bfe_i32 v24, v24, 0, 1
	v_cndmask_b32_e64 v32, 0, -1, s12
	v_cndmask_b32_e64 v28, 0, -1, s13
	v_bfe_i32 v25, v25, 0, 1
	v_lshlrev_b16 v32, 8, v32
	v_lshlrev_b16 v28, 8, v28
	v_or_b32_sdwa v33, v24, v32 dst_sel:WORD_1 dst_unused:UNUSED_PAD src0_sel:BYTE_0 src1_sel:DWORD
	v_or_b32_sdwa v29, v25, v28 dst_sel:DWORD dst_unused:UNUSED_PAD src0_sel:BYTE_0 src1_sel:DWORD
	v_lshlrev_b16 v25, 8, v25
	v_lshlrev_b16 v24, 8, v24
	v_or_b32_sdwa v29, v29, v33 dst_sel:DWORD dst_unused:UNUSED_PAD src0_sel:WORD_0 src1_sel:DWORD
	v_xor_b32_e32 v23, v23, v29
	v_lshrrev_b32_e32 v29, 16, v23
	v_and_b32_e32 v33, 0xffffff00, v23
	v_lshlrev_b16 v23, 8, v23
	v_sub_nc_i16 v28, v33, v28 clamp
	v_sub_nc_i16 v23, v23, v25 clamp
	v_and_b32_e32 v25, 0xffffff00, v29
	v_perm_b32 v23, v23, v28, 0xc0c0105
	v_lshlrev_b16 v28, 8, v29
	v_sub_nc_i16 v25, v25, v32 clamp
	v_sub_nc_i16 v24, v28, v24 clamp
	v_bfe_u32 v28, v27, 14, 8
	v_perm_b32 v24, v24, v25, 0xc0c0105
	v_lshlrev_b32_sdwa v25, v19, v26 dst_sel:DWORD dst_unused:UNUSED_PAD src0_sel:DWORD src1_sel:BYTE_1
	v_bcnt_u32_b32 v29, v28, 0
	v_lshl_or_b32 v23, v24, 16, v23
	v_lshlrev_b32_sdwa v24, v19, v26 dst_sel:DWORD dst_unused:UNUSED_PAD src0_sel:DWORD src1_sel:BYTE_0
	global_load_dword v25, v25, s[0:1]
	v_and_b32_e32 v29, 1, v29
	global_load_dword v24, v24, s[0:1]
	v_lshlrev_b32_e32 v29, 7, v29
	v_xor_b32_e32 v28, v29, v28
	v_mul_lo_u32 v28, 0x1010101, v28
	v_and_b32_e32 v29, 0x8040201, v28
	v_lshrrev_b32_e32 v32, 18, v28
	v_cmp_ne_u16_sdwa s12, v29, v13 src0_sel:BYTE_3 src1_sel:DWORD
	v_cmp_ne_u16_sdwa s13, v29, v13 src0_sel:BYTE_1 src1_sel:DWORD
	v_bfe_i32 v29, v28, 0, 1
	v_bfe_i32 v32, v32, 0, 1
	v_cndmask_b32_e64 v35, 0, -1, s12
	v_cndmask_b32_e64 v33, 0, -1, s13
	v_lshlrev_b16 v35, 8, v35
	v_lshlrev_b16 v33, 8, v33
	v_or_b32_sdwa v36, v32, v35 dst_sel:WORD_1 dst_unused:UNUSED_PAD src0_sel:BYTE_0 src1_sel:DWORD
	v_or_b32_sdwa v34, v29, v33 dst_sel:DWORD dst_unused:UNUSED_PAD src0_sel:BYTE_0 src1_sel:DWORD
	v_lshlrev_b16 v29, 8, v29
	v_lshlrev_b16 v32, 8, v32
	v_or_b32_sdwa v34, v34, v36 dst_sel:DWORD dst_unused:UNUSED_PAD src0_sel:WORD_0 src1_sel:DWORD
	s_waitcnt vmcnt(0)
	v_xor_b32_e32 v24, v24, v34
	v_lshrrev_b32_e32 v34, 16, v24
	v_and_b32_e32 v36, 0xffffff00, v24
	v_lshlrev_b16 v24, 8, v24
	v_sub_nc_i16 v33, v36, v33 clamp
	v_sub_nc_i16 v24, v24, v29 clamp
	v_and_b32_e32 v29, 0xffffff00, v34
	v_perm_b32 v24, v24, v33, 0xc0c0105
	v_lshlrev_b16 v33, 8, v34
	v_sub_nc_i16 v29, v29, v35 clamp
	v_sub_nc_i16 v32, v33, v32 clamp
	v_perm_b32 v29, v32, v29, 0xc0c0105
	v_lshl_or_b32 v24, v29, 16, v24
	v_and_b32_e32 v29, 0x80402010, v28
	v_lshrrev_b32_e32 v28, 22, v28
	v_cmp_ne_u16_sdwa s12, v29, v13 src0_sel:BYTE_3 src1_sel:DWORD
	v_cmp_ne_u16_sdwa s13, v29, v13 src0_sel:BYTE_1 src1_sel:DWORD
	v_lshrrev_b16 v29, 4, v29
	v_bfe_i32 v28, v28, 0, 1
	v_cndmask_b32_e64 v34, 0, -1, s12
	v_cndmask_b32_e64 v32, 0, -1, s13
	v_bfe_i32 v29, v29, 0, 1
	v_lshlrev_b16 v34, 8, v34
	v_lshlrev_b16 v32, 8, v32
	v_or_b32_sdwa v35, v28, v34 dst_sel:WORD_1 dst_unused:UNUSED_PAD src0_sel:BYTE_0 src1_sel:DWORD
	v_or_b32_sdwa v33, v29, v32 dst_sel:DWORD dst_unused:UNUSED_PAD src0_sel:BYTE_0 src1_sel:DWORD
	v_lshlrev_b16 v29, 8, v29
	v_lshlrev_b16 v28, 8, v28
	v_or_b32_sdwa v33, v33, v35 dst_sel:DWORD dst_unused:UNUSED_PAD src0_sel:WORD_0 src1_sel:DWORD
	v_xor_b32_e32 v25, v25, v33
	v_lshrrev_b32_e32 v33, 16, v25
	v_and_b32_e32 v35, 0xffffff00, v25
	v_lshlrev_b16 v25, 8, v25
	v_sub_nc_i16 v32, v35, v32 clamp
	v_sub_nc_i16 v25, v25, v29 clamp
	v_and_b32_e32 v29, 0xffffff00, v33
	v_perm_b32 v25, v25, v32, 0xc0c0105
	v_lshlrev_b16 v32, 8, v33
	v_sub_nc_i16 v29, v29, v34 clamp
	v_sub_nc_i16 v28, v32, v28 clamp
	v_perm_b32 v28, v28, v29, 0xc0c0105
	v_lshl_or_b32 v25, v28, 16, v25
	v_lshlrev_b32_sdwa v28, v19, v26 dst_sel:DWORD dst_unused:UNUSED_PAD src0_sel:DWORD src1_sel:BYTE_2
	v_lshlrev_b32_sdwa v26, v19, v26 dst_sel:DWORD dst_unused:UNUSED_PAD src0_sel:DWORD src1_sel:BYTE_3
	s_clause 0x1
	global_load_dword v28, v28, s[0:1]
	global_load_dword v29, v26, s[0:1]
	v_bfe_u32 v26, v27, 21, 8
	v_bcnt_u32_b32 v32, v26, 0
	v_and_b32_e32 v32, 1, v32
	v_lshlrev_b32_e32 v32, 7, v32
	v_xor_b32_e32 v26, v32, v26
	v_mul_lo_u32 v32, 0x1010101, v26
	v_and_b32_e32 v26, 0x8040201, v32
	v_lshrrev_b32_e32 v33, 18, v32
	v_cmp_ne_u16_sdwa s0, v26, v13 src0_sel:BYTE_3 src1_sel:DWORD
	v_cmp_ne_u16_sdwa s1, v26, v13 src0_sel:BYTE_1 src1_sel:DWORD
	v_bfe_i32 v26, v32, 0, 1
	v_bfe_i32 v33, v33, 0, 1
	v_cndmask_b32_e64 v36, 0, -1, s0
	v_cndmask_b32_e64 v34, 0, -1, s1
	v_lshlrev_b16 v36, 8, v36
	v_lshlrev_b16 v34, 8, v34
	v_or_b32_sdwa v37, v33, v36 dst_sel:WORD_1 dst_unused:UNUSED_PAD src0_sel:BYTE_0 src1_sel:DWORD
	v_or_b32_sdwa v35, v26, v34 dst_sel:DWORD dst_unused:UNUSED_PAD src0_sel:BYTE_0 src1_sel:DWORD
	v_lshlrev_b16 v26, 8, v26
	v_lshlrev_b16 v33, 8, v33
	v_or_b32_sdwa v35, v35, v37 dst_sel:DWORD dst_unused:UNUSED_PAD src0_sel:WORD_0 src1_sel:DWORD
	s_waitcnt vmcnt(1)
	v_xor_b32_e32 v28, v28, v35
	v_lshrrev_b32_e32 v35, 16, v28
	v_and_b32_e32 v37, 0xffffff00, v28
	v_lshlrev_b16 v28, 8, v28
	v_sub_nc_i16 v34, v37, v34 clamp
	v_sub_nc_i16 v26, v28, v26 clamp
	v_and_b32_e32 v28, 0xffffff00, v35
	v_perm_b32 v26, v26, v34, 0xc0c0105
	v_lshlrev_b16 v34, 8, v35
	v_sub_nc_i16 v28, v28, v36 clamp
	v_sub_nc_i16 v33, v34, v33 clamp
	v_perm_b32 v28, v33, v28, 0xc0c0105
	v_lshl_or_b32 v26, v28, 16, v26
	v_and_b32_e32 v28, 0x80402010, v32
	v_lshrrev_b32_e32 v32, 22, v32
	v_cmp_ne_u16_sdwa s0, v28, v13 src0_sel:BYTE_3 src1_sel:DWORD
	v_cmp_ne_u16_sdwa s1, v28, v13 src0_sel:BYTE_1 src1_sel:DWORD
	v_lshrrev_b16 v28, 4, v28
	v_bfe_i32 v32, v32, 0, 1
	v_cndmask_b32_e64 v35, 0, -1, s0
	v_cndmask_b32_e64 v33, 0, -1, s1
	v_bfe_i32 v28, v28, 0, 1
	v_lshlrev_b16 v35, 8, v35
	v_lshlrev_b16 v33, 8, v33
	v_or_b32_sdwa v36, v32, v35 dst_sel:WORD_1 dst_unused:UNUSED_PAD src0_sel:BYTE_0 src1_sel:DWORD
	v_or_b32_sdwa v34, v28, v33 dst_sel:DWORD dst_unused:UNUSED_PAD src0_sel:BYTE_0 src1_sel:DWORD
	v_lshlrev_b16 v28, 8, v28
	v_lshlrev_b16 v32, 8, v32
	v_or_b32_sdwa v34, v34, v36 dst_sel:DWORD dst_unused:UNUSED_PAD src0_sel:WORD_0 src1_sel:DWORD
	s_waitcnt vmcnt(0)
	v_xor_b32_e32 v29, v29, v34
	v_lshrrev_b32_e32 v34, 16, v29
	v_and_b32_e32 v36, 0xffffff00, v29
	v_lshlrev_b16 v29, 8, v29
	v_sub_nc_i16 v33, v36, v33 clamp
	v_sub_nc_i16 v28, v29, v28 clamp
	v_and_b32_e32 v29, 0xffffff00, v34
	v_perm_b32 v28, v28, v33, 0xc0c0105
	v_lshlrev_b16 v33, 8, v34
	v_sub_nc_i16 v29, v29, v35 clamp
	v_sub_nc_i16 v32, v33, v32 clamp
	v_perm_b32 v29, v32, v29, 0xc0c0105
	v_lshl_or_b32 v29, v29, 16, v28
	v_lshrrev_b32_e32 v28, 28, v27
	global_load_ushort v27, v[30:31], off
	s_clause 0x2
	global_load_dwordx4 v[30:33], v[5:6], off offset:-16
	global_load_dword v38, v[5:6], off offset:16
	global_load_dwordx4 v[34:37], v[5:6], off
	v_add_co_u32 v5, vcc_lo, 0x480, v5
	v_add_co_ci_u32_e64 v6, null, 0, v6, vcc_lo
	v_cmp_le_u32_e32 vcc_lo, s10, v11
	s_or_b32 s3, vcc_lo, s3
	s_waitcnt vmcnt(2)
	v_dot4c_i32_i8 v39, v20, v31
	v_cvt_f32_f16_e32 v27, v27
	v_cvt_f32_f16_e32 v30, v30
	v_dot4c_i32_i8 v39, v21, v32
	v_mul_f32_e32 v30, v27, v30
	v_dot4c_i32_i8 v39, v22, v33
	s_waitcnt vmcnt(0)
	v_dot4c_i32_i8 v39, v23, v34
	v_dot4c_i32_i8 v39, v24, v35
	v_mad_u64_u32 v[34:35], null, v14, 36, v[2:3]
	v_add_nc_u32_e32 v14, 32, v14
	v_dot4c_i32_i8 v39, v25, v36
	v_dot4c_i32_i8 v39, v26, v37
	v_dot4c_i32_i8 v39, v29, v38
	v_lshrrev_b32_e32 v31, 31, v39
	v_add_nc_u32_e32 v31, v39, v31
	v_ashrrev_i32_e32 v31, 1, v31
	v_mad_u64_u32 v[31:32], null, v39, v28, v[31:32]
	v_mov_b32_e32 v39, 0
	v_lshrrev_b32_e32 v32, 31, v31
	v_add_nc_u32_e32 v31, v31, v32
	v_ashrrev_i32_e32 v31, 1, v31
	v_cvt_f32_i32_e32 v31, v31
	v_fmac_f32_e32 v12, v30, v31
	s_clause 0x2
	global_load_dwordx4 v[30:33], v[34:35], off
	global_load_dword v38, v[34:35], off offset:32
	global_load_dwordx4 v[34:37], v[34:35], off offset:16
	s_waitcnt vmcnt(2)
	v_dot4c_i32_i8 v39, v20, v31
	v_cvt_f32_f16_e32 v30, v30
	v_dot4c_i32_i8 v39, v21, v32
	v_mul_f32_e32 v30, v27, v30
	v_dot4c_i32_i8 v39, v22, v33
	s_waitcnt vmcnt(0)
	v_dot4c_i32_i8 v39, v23, v34
	v_dot4c_i32_i8 v39, v24, v35
	v_mad_u64_u32 v[34:35], null, v16, 36, v[2:3]
	v_add_nc_u32_e32 v16, 32, v16
	v_dot4c_i32_i8 v39, v25, v36
	v_dot4c_i32_i8 v39, v26, v37
	v_dot4c_i32_i8 v39, v29, v38
	v_lshrrev_b32_e32 v31, 31, v39
	v_add_nc_u32_e32 v31, v39, v31
	v_ashrrev_i32_e32 v31, 1, v31
	v_mad_u64_u32 v[31:32], null, v39, v28, v[31:32]
	v_mov_b32_e32 v39, 0
	v_lshrrev_b32_e32 v32, 31, v31
	v_add_nc_u32_e32 v31, v31, v32
	v_ashrrev_i32_e32 v31, 1, v31
	v_cvt_f32_i32_e32 v31, v31
	v_fmac_f32_e32 v10, v30, v31
	s_clause 0x2
	global_load_dwordx4 v[30:33], v[34:35], off
	global_load_dword v38, v[34:35], off offset:32
	global_load_dwordx4 v[34:37], v[34:35], off offset:16
	s_waitcnt vmcnt(2)
	v_dot4c_i32_i8 v39, v20, v31
	v_cvt_f32_f16_e32 v30, v30
	v_dot4c_i32_i8 v39, v21, v32
	v_mul_f32_e32 v30, v27, v30
	v_dot4c_i32_i8 v39, v22, v33
	s_waitcnt vmcnt(0)
	v_dot4c_i32_i8 v39, v23, v34
	v_dot4c_i32_i8 v39, v24, v35
	v_mad_u64_u32 v[34:35], null, v4, 36, v[2:3]
	v_add_nc_u32_e32 v4, 32, v4
	v_dot4c_i32_i8 v39, v25, v36
	v_dot4c_i32_i8 v39, v26, v37
	v_dot4c_i32_i8 v39, v29, v38
	v_lshrrev_b32_e32 v31, 31, v39
	v_add_nc_u32_e32 v31, v39, v31
	v_ashrrev_i32_e32 v31, 1, v31
	v_mad_u64_u32 v[31:32], null, v39, v28, v[31:32]
	v_mov_b32_e32 v39, 0
	v_lshrrev_b32_e32 v32, 31, v31
	v_add_nc_u32_e32 v31, v31, v32
	v_ashrrev_i32_e32 v31, 1, v31
	v_cvt_f32_i32_e32 v31, v31
	v_fmac_f32_e32 v9, v30, v31
	s_clause 0x2
	global_load_dwordx4 v[30:33], v[34:35], off
	global_load_dword v38, v[34:35], off offset:32
	global_load_dwordx4 v[34:37], v[34:35], off offset:16
	s_waitcnt vmcnt(2)
	v_dot4c_i32_i8 v39, v20, v31
	v_cvt_f32_f16_e32 v30, v30
	v_dot4c_i32_i8 v39, v21, v32
	v_mul_f32_e32 v30, v27, v30
	v_dot4c_i32_i8 v39, v22, v33
	s_waitcnt vmcnt(0)
	v_dot4c_i32_i8 v39, v23, v34
	v_dot4c_i32_i8 v39, v24, v35
	v_mad_u64_u32 v[34:35], null, v15, 36, v[2:3]
	v_add_nc_u32_e32 v15, 32, v15
	v_dot4c_i32_i8 v39, v25, v36
	v_dot4c_i32_i8 v39, v26, v37
	v_dot4c_i32_i8 v39, v29, v38
	v_lshrrev_b32_e32 v31, 31, v39
	v_add_nc_u32_e32 v31, v39, v31
	v_ashrrev_i32_e32 v31, 1, v31
	v_mad_u64_u32 v[31:32], null, v39, v28, v[31:32]
	v_mov_b32_e32 v39, 0
	v_lshrrev_b32_e32 v32, 31, v31
	v_add_nc_u32_e32 v31, v31, v32
	v_ashrrev_i32_e32 v31, 1, v31
	v_cvt_f32_i32_e32 v31, v31
	v_fmac_f32_e32 v8, v30, v31
	s_clause 0x2
	global_load_dwordx4 v[30:33], v[34:35], off
	global_load_dword v38, v[34:35], off offset:32
	global_load_dwordx4 v[34:37], v[34:35], off offset:16
	s_waitcnt vmcnt(2)
	v_dot4c_i32_i8 v39, v20, v31
	v_dot4c_i32_i8 v39, v21, v32
	v_dot4c_i32_i8 v39, v22, v33
	s_waitcnt vmcnt(0)
	v_dot4c_i32_i8 v39, v23, v34
	v_dot4c_i32_i8 v39, v24, v35
	;; [unrolled: 1-line block ×5, first 2 shown]
	v_lshrrev_b32_e32 v20, 31, v39
	v_add_nc_u32_e32 v20, v39, v20
	v_ashrrev_i32_e32 v20, 1, v20
	v_mad_u64_u32 v[20:21], null, v39, v28, v[20:21]
	v_lshrrev_b32_e32 v21, 31, v20
	v_add_nc_u32_e32 v20, v20, v21
	v_cvt_f32_f16_e32 v21, v30
	v_ashrrev_i32_e32 v20, 1, v20
	v_mul_f32_e32 v21, v27, v21
	v_cvt_f32_i32_e32 v20, v20
	v_fmac_f32_e32 v7, v21, v20
	s_andn2_b32 exec_lo, exec_lo, s3
	s_cbranch_execnz .LBB200_2
; %bb.3:
	s_or_b32 exec_lo, exec_lo, s3
.LBB200_4:
	s_or_b32 exec_lo, exec_lo, s9
	s_mov_b32 s1, 0
	; wave barrier
	buffer_gl0_inv
	s_mov_b32 s0, exec_lo
	v_cmpx_eq_u32_e32 0, v1
	s_cbranch_execz .LBB200_15
; %bb.5:
	v_mbcnt_lo_u32_b32 v5, -1, 0
	s_load_dwordx2 s[4:5], s[4:5], 0x38
	s_mul_i32 s0, s14, s7
	s_mul_i32 s3, s18, s8
	s_add_i32 s0, s0, s6
	v_xor_b32_e32 v1, 16, v5
	v_xor_b32_e32 v2, 8, v5
	s_add_i32 s0, s0, s3
	s_lshl_b64 s[0:1], s[0:1], 2
	v_cmp_gt_i32_e32 vcc_lo, 32, v1
	v_cndmask_b32_e32 v1, v5, v1, vcc_lo
	v_cmp_gt_i32_e32 vcc_lo, 32, v2
	v_lshlrev_b32_e32 v1, 2, v1
	v_cndmask_b32_e32 v2, v5, v2, vcc_lo
	s_waitcnt lgkmcnt(0)
	s_add_u32 s0, s4, s0
	s_addc_u32 s1, s5, s1
	ds_bpermute_b32 v3, v1, v12
	v_lshlrev_b32_e32 v2, 2, v2
	s_waitcnt lgkmcnt(0)
	v_add_f32_e32 v4, v12, v3
	v_xor_b32_e32 v3, 4, v5
	v_xor_b32_e32 v12, 1, v5
	ds_bpermute_b32 v6, v2, v4
	v_cmp_gt_i32_e32 vcc_lo, 32, v3
	v_cndmask_b32_e32 v3, v5, v3, vcc_lo
	v_lshlrev_b32_e32 v3, 2, v3
	s_waitcnt lgkmcnt(0)
	v_add_f32_e32 v6, v4, v6
	v_xor_b32_e32 v4, 2, v5
	ds_bpermute_b32 v11, v3, v6
	v_cmp_gt_i32_e32 vcc_lo, 32, v4
	v_cndmask_b32_e32 v4, v5, v4, vcc_lo
	v_cmp_gt_i32_e32 vcc_lo, 32, v12
	v_lshlrev_b32_e32 v4, 2, v4
	v_cndmask_b32_e32 v5, v5, v12, vcc_lo
	v_cmp_eq_u32_e32 vcc_lo, 0, v0
	v_lshlrev_b32_e32 v5, 2, v5
	s_waitcnt lgkmcnt(0)
	v_add_f32_e32 v6, v6, v11
	ds_bpermute_b32 v11, v4, v6
	s_waitcnt lgkmcnt(0)
	v_add_f32_e32 v6, v6, v11
	ds_bpermute_b32 v11, v5, v6
	s_and_saveexec_b32 s3, vcc_lo
	s_cbranch_execz .LBB200_7
; %bb.6:
	s_waitcnt lgkmcnt(0)
	v_add_f32_e32 v0, v6, v11
	v_mov_b32_e32 v6, 0
	global_store_dword v6, v0, s[0:1]
.LBB200_7:
	s_or_b32 exec_lo, exec_lo, s3
	ds_bpermute_b32 v0, v1, v10
	s_waitcnt lgkmcnt(0)
	v_add_f32_e32 v0, v10, v0
	ds_bpermute_b32 v6, v2, v0
	s_waitcnt lgkmcnt(0)
	v_add_f32_e32 v0, v0, v6
	;; [unrolled: 3-line block ×4, first 2 shown]
	ds_bpermute_b32 v6, v5, v0
	s_and_saveexec_b32 s4, vcc_lo
	s_cbranch_execz .LBB200_9
; %bb.8:
	s_mov_b32 s3, 0
	s_waitcnt lgkmcnt(0)
	v_add_f32_e32 v0, v0, v6
	s_lshl_b64 s[6:7], s[2:3], 2
	v_mov_b32_e32 v6, 0
	s_add_u32 s6, s0, s6
	s_addc_u32 s7, s1, s7
	global_store_dword v6, v0, s[6:7]
.LBB200_9:
	s_or_b32 exec_lo, exec_lo, s4
	ds_bpermute_b32 v0, v1, v9
	s_waitcnt lgkmcnt(0)
	v_add_f32_e32 v0, v9, v0
	ds_bpermute_b32 v6, v2, v0
	s_waitcnt lgkmcnt(0)
	v_add_f32_e32 v0, v0, v6
	;; [unrolled: 3-line block ×4, first 2 shown]
	ds_bpermute_b32 v6, v5, v0
	s_and_saveexec_b32 s3, vcc_lo
	s_cbranch_execz .LBB200_11
; %bb.10:
	s_lshl_b32 s4, s2, 1
	s_mov_b32 s5, 0
	s_waitcnt lgkmcnt(0)
	v_add_f32_e32 v0, v0, v6
	s_lshl_b64 s[4:5], s[4:5], 2
	v_mov_b32_e32 v6, 0
	s_add_u32 s4, s0, s4
	s_addc_u32 s5, s1, s5
	global_store_dword v6, v0, s[4:5]
.LBB200_11:
	s_or_b32 exec_lo, exec_lo, s3
	ds_bpermute_b32 v0, v1, v8
	s_waitcnt lgkmcnt(0)
	v_add_f32_e32 v0, v8, v0
	ds_bpermute_b32 v6, v2, v0
	s_waitcnt lgkmcnt(0)
	v_add_f32_e32 v0, v0, v6
	;; [unrolled: 3-line block ×4, first 2 shown]
	ds_bpermute_b32 v6, v5, v0
	s_and_saveexec_b32 s3, vcc_lo
	s_cbranch_execz .LBB200_13
; %bb.12:
	s_mul_i32 s4, s2, 3
	s_mov_b32 s5, 0
	s_waitcnt lgkmcnt(0)
	v_add_f32_e32 v0, v0, v6
	s_lshl_b64 s[4:5], s[4:5], 2
	v_mov_b32_e32 v6, 0
	s_add_u32 s4, s0, s4
	s_addc_u32 s5, s1, s5
	global_store_dword v6, v0, s[4:5]
.LBB200_13:
	s_or_b32 exec_lo, exec_lo, s3
	ds_bpermute_b32 v0, v1, v7
	s_waitcnt lgkmcnt(0)
	v_add_f32_e32 v0, v7, v0
	ds_bpermute_b32 v1, v2, v0
	s_waitcnt lgkmcnt(0)
	v_add_f32_e32 v0, v0, v1
	;; [unrolled: 3-line block ×4, first 2 shown]
	ds_bpermute_b32 v1, v5, v0
	s_and_b32 exec_lo, exec_lo, vcc_lo
	s_cbranch_execz .LBB200_15
; %bb.14:
	s_lshl_b32 s2, s2, 2
	s_mov_b32 s3, 0
	s_waitcnt lgkmcnt(0)
	v_add_f32_e32 v0, v0, v1
	s_lshl_b64 s[2:3], s[2:3], 2
	v_mov_b32_e32 v1, 0
	s_add_u32 s0, s0, s2
	s_addc_u32 s1, s1, s3
	global_store_dword v1, v0, s[0:1]
.LBB200_15:
	s_endpgm
	.section	.rodata,"a",@progbits
	.p2align	6, 0x0
	.amdhsa_kernel _ZL13mul_mat_vec_qIL9ggml_type18ELi5ELb0ELb0EEvPKvS2_PKi31ggml_cuda_mm_fusion_args_devicePfj15HIP_vector_typeIjLj3EEjjjS8_jjjS8_jjjj
		.amdhsa_group_segment_fixed_size 0
		.amdhsa_private_segment_fixed_size 0
		.amdhsa_kernarg_size 144
		.amdhsa_user_sgpr_count 6
		.amdhsa_user_sgpr_private_segment_buffer 1
		.amdhsa_user_sgpr_dispatch_ptr 0
		.amdhsa_user_sgpr_queue_ptr 0
		.amdhsa_user_sgpr_kernarg_segment_ptr 1
		.amdhsa_user_sgpr_dispatch_id 0
		.amdhsa_user_sgpr_flat_scratch_init 0
		.amdhsa_user_sgpr_private_segment_size 0
		.amdhsa_wavefront_size32 1
		.amdhsa_uses_dynamic_stack 0
		.amdhsa_system_sgpr_private_segment_wavefront_offset 0
		.amdhsa_system_sgpr_workgroup_id_x 1
		.amdhsa_system_sgpr_workgroup_id_y 1
		.amdhsa_system_sgpr_workgroup_id_z 1
		.amdhsa_system_sgpr_workgroup_info 0
		.amdhsa_system_vgpr_workitem_id 1
		.amdhsa_next_free_vgpr 40
		.amdhsa_next_free_sgpr 28
		.amdhsa_reserve_vcc 1
		.amdhsa_reserve_flat_scratch 0
		.amdhsa_float_round_mode_32 0
		.amdhsa_float_round_mode_16_64 0
		.amdhsa_float_denorm_mode_32 3
		.amdhsa_float_denorm_mode_16_64 3
		.amdhsa_dx10_clamp 1
		.amdhsa_ieee_mode 1
		.amdhsa_fp16_overflow 0
		.amdhsa_workgroup_processor_mode 1
		.amdhsa_memory_ordered 1
		.amdhsa_forward_progress 1
		.amdhsa_shared_vgpr_count 0
		.amdhsa_exception_fp_ieee_invalid_op 0
		.amdhsa_exception_fp_denorm_src 0
		.amdhsa_exception_fp_ieee_div_zero 0
		.amdhsa_exception_fp_ieee_overflow 0
		.amdhsa_exception_fp_ieee_underflow 0
		.amdhsa_exception_fp_ieee_inexact 0
		.amdhsa_exception_int_div_zero 0
	.end_amdhsa_kernel
	.section	.text._ZL13mul_mat_vec_qIL9ggml_type18ELi5ELb0ELb0EEvPKvS2_PKi31ggml_cuda_mm_fusion_args_devicePfj15HIP_vector_typeIjLj3EEjjjS8_jjjS8_jjjj,"axG",@progbits,_ZL13mul_mat_vec_qIL9ggml_type18ELi5ELb0ELb0EEvPKvS2_PKi31ggml_cuda_mm_fusion_args_devicePfj15HIP_vector_typeIjLj3EEjjjS8_jjjS8_jjjj,comdat
.Lfunc_end200:
	.size	_ZL13mul_mat_vec_qIL9ggml_type18ELi5ELb0ELb0EEvPKvS2_PKi31ggml_cuda_mm_fusion_args_devicePfj15HIP_vector_typeIjLj3EEjjjS8_jjjS8_jjjj, .Lfunc_end200-_ZL13mul_mat_vec_qIL9ggml_type18ELi5ELb0ELb0EEvPKvS2_PKi31ggml_cuda_mm_fusion_args_devicePfj15HIP_vector_typeIjLj3EEjjjS8_jjjS8_jjjj
                                        ; -- End function
	.set _ZL13mul_mat_vec_qIL9ggml_type18ELi5ELb0ELb0EEvPKvS2_PKi31ggml_cuda_mm_fusion_args_devicePfj15HIP_vector_typeIjLj3EEjjjS8_jjjS8_jjjj.num_vgpr, 40
	.set _ZL13mul_mat_vec_qIL9ggml_type18ELi5ELb0ELb0EEvPKvS2_PKi31ggml_cuda_mm_fusion_args_devicePfj15HIP_vector_typeIjLj3EEjjjS8_jjjS8_jjjj.num_agpr, 0
	.set _ZL13mul_mat_vec_qIL9ggml_type18ELi5ELb0ELb0EEvPKvS2_PKi31ggml_cuda_mm_fusion_args_devicePfj15HIP_vector_typeIjLj3EEjjjS8_jjjS8_jjjj.numbered_sgpr, 28
	.set _ZL13mul_mat_vec_qIL9ggml_type18ELi5ELb0ELb0EEvPKvS2_PKi31ggml_cuda_mm_fusion_args_devicePfj15HIP_vector_typeIjLj3EEjjjS8_jjjS8_jjjj.num_named_barrier, 0
	.set _ZL13mul_mat_vec_qIL9ggml_type18ELi5ELb0ELb0EEvPKvS2_PKi31ggml_cuda_mm_fusion_args_devicePfj15HIP_vector_typeIjLj3EEjjjS8_jjjS8_jjjj.private_seg_size, 0
	.set _ZL13mul_mat_vec_qIL9ggml_type18ELi5ELb0ELb0EEvPKvS2_PKi31ggml_cuda_mm_fusion_args_devicePfj15HIP_vector_typeIjLj3EEjjjS8_jjjS8_jjjj.uses_vcc, 1
	.set _ZL13mul_mat_vec_qIL9ggml_type18ELi5ELb0ELb0EEvPKvS2_PKi31ggml_cuda_mm_fusion_args_devicePfj15HIP_vector_typeIjLj3EEjjjS8_jjjS8_jjjj.uses_flat_scratch, 0
	.set _ZL13mul_mat_vec_qIL9ggml_type18ELi5ELb0ELb0EEvPKvS2_PKi31ggml_cuda_mm_fusion_args_devicePfj15HIP_vector_typeIjLj3EEjjjS8_jjjS8_jjjj.has_dyn_sized_stack, 0
	.set _ZL13mul_mat_vec_qIL9ggml_type18ELi5ELb0ELb0EEvPKvS2_PKi31ggml_cuda_mm_fusion_args_devicePfj15HIP_vector_typeIjLj3EEjjjS8_jjjS8_jjjj.has_recursion, 0
	.set _ZL13mul_mat_vec_qIL9ggml_type18ELi5ELb0ELb0EEvPKvS2_PKi31ggml_cuda_mm_fusion_args_devicePfj15HIP_vector_typeIjLj3EEjjjS8_jjjS8_jjjj.has_indirect_call, 0
	.section	.AMDGPU.csdata,"",@progbits
; Kernel info:
; codeLenInByte = 4028
; TotalNumSgprs: 30
; NumVgprs: 40
; ScratchSize: 0
; MemoryBound: 0
; FloatMode: 240
; IeeeMode: 1
; LDSByteSize: 0 bytes/workgroup (compile time only)
; SGPRBlocks: 0
; VGPRBlocks: 4
; NumSGPRsForWavesPerEU: 30
; NumVGPRsForWavesPerEU: 40
; Occupancy: 16
; WaveLimiterHint : 0
; COMPUTE_PGM_RSRC2:SCRATCH_EN: 0
; COMPUTE_PGM_RSRC2:USER_SGPR: 6
; COMPUTE_PGM_RSRC2:TRAP_HANDLER: 0
; COMPUTE_PGM_RSRC2:TGID_X_EN: 1
; COMPUTE_PGM_RSRC2:TGID_Y_EN: 1
; COMPUTE_PGM_RSRC2:TGID_Z_EN: 1
; COMPUTE_PGM_RSRC2:TIDIG_COMP_CNT: 1
	.section	.text._ZL13mul_mat_vec_qIL9ggml_type18ELi6ELb0ELb0EEvPKvS2_PKi31ggml_cuda_mm_fusion_args_devicePfj15HIP_vector_typeIjLj3EEjjjS8_jjjS8_jjjj,"axG",@progbits,_ZL13mul_mat_vec_qIL9ggml_type18ELi6ELb0ELb0EEvPKvS2_PKi31ggml_cuda_mm_fusion_args_devicePfj15HIP_vector_typeIjLj3EEjjjS8_jjjS8_jjjj,comdat
	.globl	_ZL13mul_mat_vec_qIL9ggml_type18ELi6ELb0ELb0EEvPKvS2_PKi31ggml_cuda_mm_fusion_args_devicePfj15HIP_vector_typeIjLj3EEjjjS8_jjjS8_jjjj ; -- Begin function _ZL13mul_mat_vec_qIL9ggml_type18ELi6ELb0ELb0EEvPKvS2_PKi31ggml_cuda_mm_fusion_args_devicePfj15HIP_vector_typeIjLj3EEjjjS8_jjjS8_jjjj
	.p2align	8
	.type	_ZL13mul_mat_vec_qIL9ggml_type18ELi6ELb0ELb0EEvPKvS2_PKi31ggml_cuda_mm_fusion_args_devicePfj15HIP_vector_typeIjLj3EEjjjS8_jjjS8_jjjj,@function
_ZL13mul_mat_vec_qIL9ggml_type18ELi6ELb0ELb0EEvPKvS2_PKi31ggml_cuda_mm_fusion_args_devicePfj15HIP_vector_typeIjLj3EEjjjS8_jjjS8_jjjj: ; @_ZL13mul_mat_vec_qIL9ggml_type18ELi6ELb0ELb0EEvPKvS2_PKi31ggml_cuda_mm_fusion_args_devicePfj15HIP_vector_typeIjLj3EEjjjS8_jjjS8_jjjj
; %bb.0:
	s_clause 0x5
	s_load_dword s9, s[4:5], 0x40
	s_load_dwordx4 s[0:3], s[4:5], 0x50
	s_load_dword s11, s[4:5], 0x60
	s_load_dwordx4 s[12:15], s[4:5], 0x68
	;; [unrolled: 2-line block ×3, first 2 shown]
	v_lshl_or_b32 v2, v1, 5, v0
	v_mov_b32_e32 v10, 0
	v_mov_b32_e32 v11, 0
	;; [unrolled: 1-line block ×4, first 2 shown]
	v_lshrrev_b32_e32 v15, 3, v2
	v_mov_b32_e32 v14, 0
	v_mov_b32_e32 v16, 0
	s_waitcnt lgkmcnt(0)
	s_lshr_b32 s10, s9, 8
	s_mov_b32 s9, exec_lo
	v_cmpx_gt_u32_e64 s10, v15
	s_cbranch_execz .LBB201_4
; %bb.1:
	s_mul_i32 s13, s13, s7
	s_load_dwordx4 s[20:23], s[4:5], 0x0
	s_mul_hi_u32 s27, s13, 36
	s_mul_i32 s26, s13, 36
	v_lshlrev_b32_e32 v4, 1, v0
	v_mad_u64_u32 v[2:3], null, 0x120, v15, s[26:27]
	s_mul_i32 s17, s17, s8
	v_and_b32_e32 v6, 7, v0
	v_and_b32_e32 v10, 14, v4
	s_mul_hi_u32 s3, s3, s7
	s_mul_hi_u32 s15, s15, s8
	s_add_i32 s3, s7, s3
	v_mad_u64_u32 v[4:5], null, s17, 36, v[2:3]
	s_add_i32 s15, s8, s15
	s_mul_i32 s25, s17, 36
	s_lshr_b32 s3, s3, s11
	s_mul_hi_u32 s19, s17, 36
	s_lshr_b32 s11, s15, s24
	v_lshlrev_b32_e32 v7, 3, v15
	v_mad_u64_u32 v[8:9], null, v6, 36, v[4:5]
	s_mul_i32 s3, s3, s12
	s_waitcnt lgkmcnt(0)
	s_add_u32 s12, s22, s25
	s_addc_u32 s13, s23, s19
	s_add_u32 s12, s12, s26
	s_addc_u32 s13, s13, s27
	v_lshlrev_b32_e32 v11, 1, v10
	v_mad_u64_u32 v[4:5], null, s1, 5, v[7:8]
	v_mad_u64_u32 v[2:3], null, v6, 36, s[12:13]
	;; [unrolled: 1-line block ×3, first 2 shown]
	v_add_co_u32 v6, vcc_lo, s22, v8
	v_add_co_ci_u32_e64 v8, null, s23, v9, vcc_lo
	s_mul_i32 s0, s0, s6
	v_add_co_u32 v6, vcc_lo, v6, 16
	v_mov_b32_e32 v17, 0
	v_add_nc_u32_e32 v18, s1, v7
	v_lshl_add_u32 v19, s1, 2, v7
	v_lshl_add_u32 v20, s1, 1, v7
	v_add_co_ci_u32_e64 v7, null, 0, v8, vcc_lo
	v_lshlrev_b32_e32 v21, 1, v11
	v_lshlrev_b32_e32 v22, 1, v10
	v_mov_b32_e32 v23, 2
	v_mov_b32_e32 v10, 0
	;; [unrolled: 1-line block ×7, first 2 shown]
	s_mul_i32 s11, s11, s16
	s_add_i32 s3, s3, s0
	s_add_i32 s11, s11, s3
	s_mov_b32 s3, 0
.LBB201_2:                              ; =>This Inner Loop Header: Depth=1
	v_add_nc_u32_e32 v8, s11, v15
	s_getpc_b64 s[0:1]
	s_add_u32 s0, s0, _ZL11iq3xxs_grid@rel32@lo+4
	s_addc_u32 s1, s1, _ZL11iq3xxs_grid@rel32@hi+12
	v_mov_b32_e32 v41, 0
	v_add_nc_u32_e32 v15, 4, v15
	v_mad_i64_i32 v[8:9], null, 0x62, v8, s[20:21]
	v_add_co_u32 v24, vcc_lo, v8, v21
	v_add_co_ci_u32_e64 v25, null, 0, v9, vcc_lo
	global_load_dwordx2 v[29:30], v[24:25], off offset:2
	v_add_co_u32 v24, vcc_lo, v8, v22
	v_add_co_ci_u32_e64 v25, null, 0, v9, vcc_lo
	s_clause 0x1
	global_load_ushort v8, v[8:9], off
	global_load_dword v31, v[24:25], off offset:66
	s_waitcnt vmcnt(2)
	v_lshlrev_b32_sdwa v24, v23, v29 dst_sel:DWORD dst_unused:UNUSED_PAD src0_sel:DWORD src1_sel:BYTE_0
	v_lshlrev_b32_sdwa v25, v23, v29 dst_sel:DWORD dst_unused:UNUSED_PAD src0_sel:DWORD src1_sel:BYTE_1
	s_clause 0x1
	global_load_dword v24, v24, s[0:1]
	global_load_dword v25, v25, s[0:1]
	s_waitcnt vmcnt(3)
	v_cvt_f32_f16_e32 v8, v8
	s_waitcnt vmcnt(2)
	v_and_b32_e32 v26, 0xff, v31
	v_bcnt_u32_b32 v27, v26, 0
	v_and_b32_e32 v27, 1, v27
	v_lshlrev_b32_e32 v27, 7, v27
	v_xor_b32_e32 v26, v27, v26
	v_mul_lo_u32 v26, 0x1010101, v26
	v_and_b32_e32 v27, 0x8040201, v26
	v_lshrrev_b32_e32 v28, 18, v26
	v_cmp_ne_u16_sdwa s12, v27, v17 src0_sel:BYTE_3 src1_sel:DWORD
	v_cmp_ne_u16_sdwa s13, v27, v17 src0_sel:BYTE_1 src1_sel:DWORD
	v_bfe_i32 v27, v26, 0, 1
	v_bfe_i32 v28, v28, 0, 1
	v_cndmask_b32_e64 v34, 0, -1, s12
	v_cndmask_b32_e64 v32, 0, -1, s13
	v_lshlrev_b16 v34, 8, v34
	v_lshlrev_b16 v32, 8, v32
	v_or_b32_sdwa v35, v28, v34 dst_sel:WORD_1 dst_unused:UNUSED_PAD src0_sel:BYTE_0 src1_sel:DWORD
	v_or_b32_sdwa v33, v27, v32 dst_sel:DWORD dst_unused:UNUSED_PAD src0_sel:BYTE_0 src1_sel:DWORD
	v_lshlrev_b16 v27, 8, v27
	v_lshlrev_b16 v28, 8, v28
	v_or_b32_sdwa v33, v33, v35 dst_sel:DWORD dst_unused:UNUSED_PAD src0_sel:WORD_0 src1_sel:DWORD
	s_waitcnt vmcnt(1)
	v_xor_b32_e32 v24, v24, v33
	v_lshrrev_b32_e32 v33, 16, v24
	v_and_b32_e32 v35, 0xffffff00, v24
	v_lshlrev_b16 v24, 8, v24
	v_sub_nc_i16 v32, v35, v32 clamp
	v_sub_nc_i16 v24, v24, v27 clamp
	v_and_b32_e32 v27, 0xffffff00, v33
	v_perm_b32 v24, v24, v32, 0xc0c0105
	v_lshlrev_b16 v32, 8, v33
	v_sub_nc_i16 v27, v27, v34 clamp
	v_sub_nc_i16 v28, v32, v28 clamp
	v_perm_b32 v27, v28, v27, 0xc0c0105
	v_lshl_or_b32 v24, v27, 16, v24
	v_and_b32_e32 v27, 0x80402010, v26
	v_lshrrev_b32_e32 v26, 22, v26
	v_cmp_ne_u16_sdwa s12, v27, v17 src0_sel:BYTE_3 src1_sel:DWORD
	v_cmp_ne_u16_sdwa s13, v27, v17 src0_sel:BYTE_1 src1_sel:DWORD
	v_lshrrev_b16 v27, 4, v27
	v_bfe_i32 v26, v26, 0, 1
	v_cndmask_b32_e64 v33, 0, -1, s12
	v_cndmask_b32_e64 v28, 0, -1, s13
	v_bfe_i32 v27, v27, 0, 1
	v_lshlrev_b16 v33, 8, v33
	v_lshlrev_b16 v28, 8, v28
	v_or_b32_sdwa v34, v26, v33 dst_sel:WORD_1 dst_unused:UNUSED_PAD src0_sel:BYTE_0 src1_sel:DWORD
	v_or_b32_sdwa v32, v27, v28 dst_sel:DWORD dst_unused:UNUSED_PAD src0_sel:BYTE_0 src1_sel:DWORD
	v_lshlrev_b16 v27, 8, v27
	v_lshlrev_b16 v26, 8, v26
	v_or_b32_sdwa v32, v32, v34 dst_sel:DWORD dst_unused:UNUSED_PAD src0_sel:WORD_0 src1_sel:DWORD
	s_waitcnt vmcnt(0)
	v_xor_b32_e32 v25, v25, v32
	v_lshrrev_b32_e32 v32, 16, v25
	v_and_b32_e32 v34, 0xffffff00, v25
	v_lshlrev_b16 v25, 8, v25
	v_sub_nc_i16 v28, v34, v28 clamp
	v_sub_nc_i16 v25, v25, v27 clamp
	v_and_b32_e32 v27, 0xffffff00, v32
	v_perm_b32 v25, v25, v28, 0xc0c0105
	v_lshlrev_b16 v28, 8, v32
	v_sub_nc_i16 v27, v27, v33 clamp
	v_sub_nc_i16 v26, v28, v26 clamp
	v_bfe_u32 v28, v31, 7, 8
	v_perm_b32 v26, v26, v27, 0xc0c0105
	v_lshlrev_b32_sdwa v27, v23, v29 dst_sel:DWORD dst_unused:UNUSED_PAD src0_sel:DWORD src1_sel:BYTE_3
	v_lshl_or_b32 v25, v26, 16, v25
	v_lshlrev_b32_sdwa v26, v23, v29 dst_sel:DWORD dst_unused:UNUSED_PAD src0_sel:DWORD src1_sel:BYTE_2
	global_load_dword v27, v27, s[0:1]
	v_bcnt_u32_b32 v29, v28, 0
	global_load_dword v26, v26, s[0:1]
	v_and_b32_e32 v29, 1, v29
	v_lshlrev_b32_e32 v29, 7, v29
	v_xor_b32_e32 v28, v29, v28
	v_mul_lo_u32 v28, 0x1010101, v28
	v_and_b32_e32 v29, 0x8040201, v28
	v_lshrrev_b32_e32 v32, 18, v28
	v_cmp_ne_u16_sdwa s12, v29, v17 src0_sel:BYTE_3 src1_sel:DWORD
	v_cmp_ne_u16_sdwa s13, v29, v17 src0_sel:BYTE_1 src1_sel:DWORD
	v_bfe_i32 v29, v28, 0, 1
	v_bfe_i32 v32, v32, 0, 1
	v_cndmask_b32_e64 v35, 0, -1, s12
	v_cndmask_b32_e64 v33, 0, -1, s13
	v_lshlrev_b16 v35, 8, v35
	v_lshlrev_b16 v33, 8, v33
	v_or_b32_sdwa v36, v32, v35 dst_sel:WORD_1 dst_unused:UNUSED_PAD src0_sel:BYTE_0 src1_sel:DWORD
	v_or_b32_sdwa v34, v29, v33 dst_sel:DWORD dst_unused:UNUSED_PAD src0_sel:BYTE_0 src1_sel:DWORD
	v_lshlrev_b16 v29, 8, v29
	v_lshlrev_b16 v32, 8, v32
	v_or_b32_sdwa v34, v34, v36 dst_sel:DWORD dst_unused:UNUSED_PAD src0_sel:WORD_0 src1_sel:DWORD
	s_waitcnt vmcnt(0)
	v_xor_b32_e32 v26, v26, v34
	v_lshrrev_b32_e32 v34, 16, v26
	v_and_b32_e32 v36, 0xffffff00, v26
	v_lshlrev_b16 v26, 8, v26
	v_sub_nc_i16 v33, v36, v33 clamp
	v_sub_nc_i16 v26, v26, v29 clamp
	v_and_b32_e32 v29, 0xffffff00, v34
	v_perm_b32 v26, v26, v33, 0xc0c0105
	v_lshlrev_b16 v33, 8, v34
	v_sub_nc_i16 v29, v29, v35 clamp
	v_sub_nc_i16 v32, v33, v32 clamp
	v_perm_b32 v29, v32, v29, 0xc0c0105
	v_lshl_or_b32 v26, v29, 16, v26
	v_and_b32_e32 v29, 0x80402010, v28
	v_lshrrev_b32_e32 v28, 22, v28
	v_cmp_ne_u16_sdwa s12, v29, v17 src0_sel:BYTE_3 src1_sel:DWORD
	v_cmp_ne_u16_sdwa s13, v29, v17 src0_sel:BYTE_1 src1_sel:DWORD
	v_lshrrev_b16 v29, 4, v29
	v_bfe_i32 v28, v28, 0, 1
	v_cndmask_b32_e64 v34, 0, -1, s12
	v_cndmask_b32_e64 v32, 0, -1, s13
	v_bfe_i32 v29, v29, 0, 1
	v_lshlrev_b16 v34, 8, v34
	v_lshlrev_b16 v32, 8, v32
	v_or_b32_sdwa v35, v28, v34 dst_sel:WORD_1 dst_unused:UNUSED_PAD src0_sel:BYTE_0 src1_sel:DWORD
	v_or_b32_sdwa v33, v29, v32 dst_sel:DWORD dst_unused:UNUSED_PAD src0_sel:BYTE_0 src1_sel:DWORD
	v_lshlrev_b16 v29, 8, v29
	v_lshlrev_b16 v28, 8, v28
	v_or_b32_sdwa v33, v33, v35 dst_sel:DWORD dst_unused:UNUSED_PAD src0_sel:WORD_0 src1_sel:DWORD
	v_xor_b32_e32 v27, v27, v33
	v_lshrrev_b32_e32 v33, 16, v27
	v_and_b32_e32 v35, 0xffffff00, v27
	v_lshlrev_b16 v27, 8, v27
	v_sub_nc_i16 v32, v35, v32 clamp
	v_sub_nc_i16 v27, v27, v29 clamp
	v_and_b32_e32 v29, 0xffffff00, v33
	v_perm_b32 v27, v27, v32, 0xc0c0105
	v_lshlrev_b16 v32, 8, v33
	v_sub_nc_i16 v29, v29, v34 clamp
	v_sub_nc_i16 v28, v32, v28 clamp
	v_bfe_u32 v32, v31, 14, 8
	v_perm_b32 v28, v28, v29, 0xc0c0105
	v_lshlrev_b32_sdwa v29, v23, v30 dst_sel:DWORD dst_unused:UNUSED_PAD src0_sel:DWORD src1_sel:BYTE_1
	v_bcnt_u32_b32 v33, v32, 0
	v_lshl_or_b32 v27, v28, 16, v27
	v_lshlrev_b32_sdwa v28, v23, v30 dst_sel:DWORD dst_unused:UNUSED_PAD src0_sel:DWORD src1_sel:BYTE_0
	global_load_dword v29, v29, s[0:1]
	v_and_b32_e32 v33, 1, v33
	global_load_dword v28, v28, s[0:1]
	v_lshlrev_b32_e32 v33, 7, v33
	v_xor_b32_e32 v32, v33, v32
	v_mul_lo_u32 v32, 0x1010101, v32
	v_and_b32_e32 v33, 0x8040201, v32
	v_lshrrev_b32_e32 v34, 18, v32
	v_cmp_ne_u16_sdwa s12, v33, v17 src0_sel:BYTE_3 src1_sel:DWORD
	v_cmp_ne_u16_sdwa s13, v33, v17 src0_sel:BYTE_1 src1_sel:DWORD
	v_bfe_i32 v33, v32, 0, 1
	v_bfe_i32 v34, v34, 0, 1
	v_cndmask_b32_e64 v37, 0, -1, s12
	v_cndmask_b32_e64 v35, 0, -1, s13
	v_lshlrev_b16 v37, 8, v37
	v_lshlrev_b16 v35, 8, v35
	v_or_b32_sdwa v38, v34, v37 dst_sel:WORD_1 dst_unused:UNUSED_PAD src0_sel:BYTE_0 src1_sel:DWORD
	v_or_b32_sdwa v36, v33, v35 dst_sel:DWORD dst_unused:UNUSED_PAD src0_sel:BYTE_0 src1_sel:DWORD
	v_lshlrev_b16 v33, 8, v33
	v_lshlrev_b16 v34, 8, v34
	v_or_b32_sdwa v36, v36, v38 dst_sel:DWORD dst_unused:UNUSED_PAD src0_sel:WORD_0 src1_sel:DWORD
	s_waitcnt vmcnt(0)
	v_xor_b32_e32 v28, v28, v36
	v_lshrrev_b32_e32 v36, 16, v28
	v_and_b32_e32 v38, 0xffffff00, v28
	v_lshlrev_b16 v28, 8, v28
	v_sub_nc_i16 v35, v38, v35 clamp
	v_sub_nc_i16 v28, v28, v33 clamp
	v_and_b32_e32 v33, 0xffffff00, v36
	v_perm_b32 v28, v28, v35, 0xc0c0105
	v_lshlrev_b16 v35, 8, v36
	v_sub_nc_i16 v33, v33, v37 clamp
	v_sub_nc_i16 v34, v35, v34 clamp
	v_perm_b32 v33, v34, v33, 0xc0c0105
	v_lshl_or_b32 v28, v33, 16, v28
	v_and_b32_e32 v33, 0x80402010, v32
	v_lshrrev_b32_e32 v32, 22, v32
	v_cmp_ne_u16_sdwa s12, v33, v17 src0_sel:BYTE_3 src1_sel:DWORD
	v_cmp_ne_u16_sdwa s13, v33, v17 src0_sel:BYTE_1 src1_sel:DWORD
	v_lshrrev_b16 v33, 4, v33
	v_bfe_i32 v32, v32, 0, 1
	v_cndmask_b32_e64 v36, 0, -1, s12
	v_cndmask_b32_e64 v34, 0, -1, s13
	v_bfe_i32 v33, v33, 0, 1
	v_lshlrev_b16 v36, 8, v36
	v_lshlrev_b16 v34, 8, v34
	v_or_b32_sdwa v37, v32, v36 dst_sel:WORD_1 dst_unused:UNUSED_PAD src0_sel:BYTE_0 src1_sel:DWORD
	v_or_b32_sdwa v35, v33, v34 dst_sel:DWORD dst_unused:UNUSED_PAD src0_sel:BYTE_0 src1_sel:DWORD
	v_lshlrev_b16 v33, 8, v33
	v_lshlrev_b16 v32, 8, v32
	v_or_b32_sdwa v35, v35, v37 dst_sel:DWORD dst_unused:UNUSED_PAD src0_sel:WORD_0 src1_sel:DWORD
	v_xor_b32_e32 v29, v29, v35
	v_lshrrev_b32_e32 v35, 16, v29
	v_and_b32_e32 v37, 0xffffff00, v29
	v_lshlrev_b16 v29, 8, v29
	v_sub_nc_i16 v34, v37, v34 clamp
	v_sub_nc_i16 v29, v29, v33 clamp
	v_and_b32_e32 v33, 0xffffff00, v35
	v_perm_b32 v29, v29, v34, 0xc0c0105
	v_lshlrev_b16 v34, 8, v35
	v_sub_nc_i16 v33, v33, v36 clamp
	v_sub_nc_i16 v32, v34, v32 clamp
	v_perm_b32 v32, v32, v33, 0xc0c0105
	v_lshl_or_b32 v29, v32, 16, v29
	v_lshlrev_b32_sdwa v32, v23, v30 dst_sel:DWORD dst_unused:UNUSED_PAD src0_sel:DWORD src1_sel:BYTE_2
	v_lshlrev_b32_sdwa v30, v23, v30 dst_sel:DWORD dst_unused:UNUSED_PAD src0_sel:DWORD src1_sel:BYTE_3
	s_clause 0x1
	global_load_dword v32, v32, s[0:1]
	global_load_dword v33, v30, s[0:1]
	v_bfe_u32 v30, v31, 21, 8
	v_lshrrev_b32_e32 v31, 28, v31
	v_bcnt_u32_b32 v34, v30, 0
	v_and_b32_e32 v34, 1, v34
	v_lshlrev_b32_e32 v34, 7, v34
	v_xor_b32_e32 v30, v34, v30
	v_mul_lo_u32 v34, 0x1010101, v30
	v_and_b32_e32 v30, 0x8040201, v34
	v_lshrrev_b32_e32 v35, 18, v34
	v_cmp_ne_u16_sdwa s0, v30, v17 src0_sel:BYTE_3 src1_sel:DWORD
	v_cmp_ne_u16_sdwa s1, v30, v17 src0_sel:BYTE_1 src1_sel:DWORD
	v_bfe_i32 v30, v34, 0, 1
	v_bfe_i32 v35, v35, 0, 1
	v_cndmask_b32_e64 v38, 0, -1, s0
	v_cndmask_b32_e64 v36, 0, -1, s1
	v_lshlrev_b16 v38, 8, v38
	v_lshlrev_b16 v36, 8, v36
	v_or_b32_sdwa v39, v35, v38 dst_sel:WORD_1 dst_unused:UNUSED_PAD src0_sel:BYTE_0 src1_sel:DWORD
	v_or_b32_sdwa v37, v30, v36 dst_sel:DWORD dst_unused:UNUSED_PAD src0_sel:BYTE_0 src1_sel:DWORD
	v_lshlrev_b16 v30, 8, v30
	v_lshlrev_b16 v35, 8, v35
	v_or_b32_sdwa v37, v37, v39 dst_sel:DWORD dst_unused:UNUSED_PAD src0_sel:WORD_0 src1_sel:DWORD
	s_waitcnt vmcnt(1)
	v_xor_b32_e32 v32, v32, v37
	v_lshrrev_b32_e32 v37, 16, v32
	v_and_b32_e32 v39, 0xffffff00, v32
	v_lshlrev_b16 v32, 8, v32
	v_sub_nc_i16 v36, v39, v36 clamp
	v_sub_nc_i16 v30, v32, v30 clamp
	v_and_b32_e32 v32, 0xffffff00, v37
	v_perm_b32 v30, v30, v36, 0xc0c0105
	v_lshlrev_b16 v36, 8, v37
	v_sub_nc_i16 v32, v32, v38 clamp
	v_sub_nc_i16 v35, v36, v35 clamp
	v_perm_b32 v32, v35, v32, 0xc0c0105
	v_lshl_or_b32 v30, v32, 16, v30
	v_and_b32_e32 v32, 0x80402010, v34
	v_lshrrev_b32_e32 v34, 22, v34
	v_cmp_ne_u16_sdwa s0, v32, v17 src0_sel:BYTE_3 src1_sel:DWORD
	v_cmp_ne_u16_sdwa s1, v32, v17 src0_sel:BYTE_1 src1_sel:DWORD
	v_lshrrev_b16 v32, 4, v32
	v_bfe_i32 v34, v34, 0, 1
	v_cndmask_b32_e64 v37, 0, -1, s0
	v_cndmask_b32_e64 v35, 0, -1, s1
	v_bfe_i32 v32, v32, 0, 1
	v_lshlrev_b16 v37, 8, v37
	v_lshlrev_b16 v35, 8, v35
	v_or_b32_sdwa v38, v34, v37 dst_sel:WORD_1 dst_unused:UNUSED_PAD src0_sel:BYTE_0 src1_sel:DWORD
	v_or_b32_sdwa v36, v32, v35 dst_sel:DWORD dst_unused:UNUSED_PAD src0_sel:BYTE_0 src1_sel:DWORD
	v_lshlrev_b16 v32, 8, v32
	v_lshlrev_b16 v34, 8, v34
	v_or_b32_sdwa v36, v36, v38 dst_sel:DWORD dst_unused:UNUSED_PAD src0_sel:WORD_0 src1_sel:DWORD
	s_waitcnt vmcnt(0)
	v_xor_b32_e32 v33, v33, v36
	v_lshrrev_b32_e32 v36, 16, v33
	v_and_b32_e32 v38, 0xffffff00, v33
	v_lshlrev_b16 v33, 8, v33
	v_sub_nc_i16 v35, v38, v35 clamp
	v_sub_nc_i16 v32, v33, v32 clamp
	v_and_b32_e32 v33, 0xffffff00, v36
	v_perm_b32 v32, v32, v35, 0xc0c0105
	v_lshlrev_b16 v35, 8, v36
	v_sub_nc_i16 v33, v33, v37 clamp
	v_sub_nc_i16 v34, v35, v34 clamp
	v_perm_b32 v33, v34, v33, 0xc0c0105
	v_lshl_or_b32 v32, v33, 16, v32
	s_clause 0x2
	global_load_dwordx4 v[33:36], v[6:7], off offset:-16
	global_load_dword v9, v[6:7], off offset:16
	global_load_dwordx4 v[37:40], v[6:7], off
	v_add_co_u32 v6, vcc_lo, 0x480, v6
	v_add_co_ci_u32_e64 v7, null, 0, v7, vcc_lo
	v_cmp_le_u32_e32 vcc_lo, s10, v15
	s_or_b32 s3, vcc_lo, s3
	s_waitcnt vmcnt(2)
	v_dot4c_i32_i8 v41, v24, v34
	v_cvt_f32_f16_e32 v33, v33
	v_dot4c_i32_i8 v41, v25, v35
	v_mul_f32_e32 v33, v8, v33
	v_dot4c_i32_i8 v41, v26, v36
	s_waitcnt vmcnt(0)
	v_dot4c_i32_i8 v41, v27, v37
	v_dot4c_i32_i8 v41, v28, v38
	v_mad_u64_u32 v[37:38], null, v18, 36, v[2:3]
	v_add_nc_u32_e32 v18, 32, v18
	v_dot4c_i32_i8 v41, v29, v39
	v_dot4c_i32_i8 v41, v30, v40
	v_dot4c_i32_i8 v41, v32, v9
	v_lshrrev_b32_e32 v9, 31, v41
	v_add_nc_u32_e32 v9, v41, v9
	v_ashrrev_i32_e32 v9, 1, v9
	v_mad_u64_u32 v[34:35], null, v41, v31, v[9:10]
	v_mov_b32_e32 v41, 0
	v_lshrrev_b32_e32 v9, 31, v34
	v_add_nc_u32_e32 v9, v34, v9
	v_ashrrev_i32_e32 v9, 1, v9
	v_cvt_f32_i32_e32 v9, v9
	v_fmac_f32_e32 v16, v33, v9
	s_clause 0x2
	global_load_dwordx4 v[33:36], v[37:38], off
	global_load_dword v9, v[37:38], off offset:32
	global_load_dwordx4 v[37:40], v[37:38], off offset:16
	s_waitcnt vmcnt(2)
	v_dot4c_i32_i8 v41, v24, v34
	v_cvt_f32_f16_e32 v33, v33
	v_dot4c_i32_i8 v41, v25, v35
	v_mul_f32_e32 v33, v8, v33
	v_dot4c_i32_i8 v41, v26, v36
	s_waitcnt vmcnt(0)
	v_dot4c_i32_i8 v41, v27, v37
	v_dot4c_i32_i8 v41, v28, v38
	v_mad_u64_u32 v[37:38], null, v20, 36, v[2:3]
	v_add_nc_u32_e32 v20, 32, v20
	v_dot4c_i32_i8 v41, v29, v39
	v_dot4c_i32_i8 v41, v30, v40
	v_dot4c_i32_i8 v41, v32, v9
	v_lshrrev_b32_e32 v9, 31, v41
	v_add_nc_u32_e32 v9, v41, v9
	v_ashrrev_i32_e32 v9, 1, v9
	v_mad_u64_u32 v[34:35], null, v41, v31, v[9:10]
	v_mov_b32_e32 v41, 0
	v_lshrrev_b32_e32 v9, 31, v34
	v_add_nc_u32_e32 v9, v34, v9
	v_ashrrev_i32_e32 v9, 1, v9
	v_cvt_f32_i32_e32 v9, v9
	v_fmac_f32_e32 v14, v33, v9
	s_clause 0x2
	global_load_dwordx4 v[33:36], v[37:38], off
	global_load_dword v9, v[37:38], off offset:32
	global_load_dwordx4 v[37:40], v[37:38], off offset:16
	;; [unrolled: 28-line block ×5, first 2 shown]
	s_waitcnt vmcnt(2)
	v_dot4c_i32_i8 v41, v24, v34
	v_dot4c_i32_i8 v41, v25, v35
	;; [unrolled: 1-line block ×3, first 2 shown]
	s_waitcnt vmcnt(0)
	v_dot4c_i32_i8 v41, v27, v37
	v_dot4c_i32_i8 v41, v28, v38
	v_dot4c_i32_i8 v41, v29, v39
	v_dot4c_i32_i8 v41, v30, v40
	v_dot4c_i32_i8 v41, v32, v9
	v_lshrrev_b32_e32 v9, 31, v41
	v_add_nc_u32_e32 v9, v41, v9
	v_ashrrev_i32_e32 v9, 1, v9
	v_mad_u64_u32 v[24:25], null, v41, v31, v[9:10]
	v_lshrrev_b32_e32 v9, 31, v24
	v_add_nc_u32_e32 v9, v24, v9
	v_cvt_f32_f16_e32 v24, v33
	v_ashrrev_i32_e32 v9, 1, v9
	v_mul_f32_e32 v8, v8, v24
	v_cvt_f32_i32_e32 v9, v9
	v_fmac_f32_e32 v10, v8, v9
	s_andn2_b32 exec_lo, exec_lo, s3
	s_cbranch_execnz .LBB201_2
; %bb.3:
	s_or_b32 exec_lo, exec_lo, s3
.LBB201_4:
	s_or_b32 exec_lo, exec_lo, s9
	s_mov_b32 s1, 0
	; wave barrier
	buffer_gl0_inv
	s_mov_b32 s0, exec_lo
	v_cmpx_eq_u32_e32 0, v1
	s_cbranch_execz .LBB201_17
; %bb.5:
	v_mbcnt_lo_u32_b32 v5, -1, 0
	s_load_dwordx2 s[4:5], s[4:5], 0x38
	s_mul_i32 s0, s14, s7
	s_mul_i32 s3, s18, s8
	s_add_i32 s0, s0, s6
	v_xor_b32_e32 v1, 16, v5
	v_xor_b32_e32 v2, 8, v5
	;; [unrolled: 1-line block ×3, first 2 shown]
	s_add_i32 s0, s0, s3
	s_lshl_b64 s[0:1], s[0:1], 2
	v_cmp_gt_i32_e32 vcc_lo, 32, v1
	v_cndmask_b32_e32 v1, v5, v1, vcc_lo
	v_cmp_gt_i32_e32 vcc_lo, 32, v2
	v_lshlrev_b32_e32 v1, 2, v1
	v_cndmask_b32_e32 v2, v5, v2, vcc_lo
	s_waitcnt lgkmcnt(0)
	s_add_u32 s0, s4, s0
	s_addc_u32 s1, s5, s1
	ds_bpermute_b32 v3, v1, v16
	v_lshlrev_b32_e32 v2, 2, v2
	s_waitcnt lgkmcnt(0)
	v_add_f32_e32 v4, v16, v3
	v_xor_b32_e32 v3, 4, v5
	ds_bpermute_b32 v6, v2, v4
	v_cmp_gt_i32_e32 vcc_lo, 32, v3
	v_cndmask_b32_e32 v3, v5, v3, vcc_lo
	v_lshlrev_b32_e32 v3, 2, v3
	s_waitcnt lgkmcnt(0)
	v_add_f32_e32 v6, v4, v6
	v_xor_b32_e32 v4, 2, v5
	ds_bpermute_b32 v7, v3, v6
	v_cmp_gt_i32_e32 vcc_lo, 32, v4
	v_cndmask_b32_e32 v4, v5, v4, vcc_lo
	v_cmp_gt_i32_e32 vcc_lo, 32, v8
	v_lshlrev_b32_e32 v4, 2, v4
	v_cndmask_b32_e32 v5, v5, v8, vcc_lo
	v_cmp_eq_u32_e32 vcc_lo, 0, v0
	v_lshlrev_b32_e32 v5, 2, v5
	s_waitcnt lgkmcnt(0)
	v_add_f32_e32 v6, v6, v7
	ds_bpermute_b32 v7, v4, v6
	s_waitcnt lgkmcnt(0)
	v_add_f32_e32 v6, v6, v7
	ds_bpermute_b32 v7, v5, v6
	s_and_saveexec_b32 s3, vcc_lo
	s_cbranch_execz .LBB201_7
; %bb.6:
	s_waitcnt lgkmcnt(0)
	v_add_f32_e32 v0, v6, v7
	v_mov_b32_e32 v6, 0
	global_store_dword v6, v0, s[0:1]
.LBB201_7:
	s_or_b32 exec_lo, exec_lo, s3
	ds_bpermute_b32 v0, v1, v14
	s_waitcnt lgkmcnt(0)
	v_add_f32_e32 v0, v14, v0
	ds_bpermute_b32 v6, v2, v0
	s_waitcnt lgkmcnt(0)
	v_add_f32_e32 v0, v0, v6
	;; [unrolled: 3-line block ×4, first 2 shown]
	ds_bpermute_b32 v6, v5, v0
	s_and_saveexec_b32 s4, vcc_lo
	s_cbranch_execz .LBB201_9
; %bb.8:
	s_mov_b32 s3, 0
	s_waitcnt lgkmcnt(0)
	v_add_f32_e32 v0, v0, v6
	s_lshl_b64 s[6:7], s[2:3], 2
	v_mov_b32_e32 v6, 0
	s_add_u32 s6, s0, s6
	s_addc_u32 s7, s1, s7
	global_store_dword v6, v0, s[6:7]
.LBB201_9:
	s_or_b32 exec_lo, exec_lo, s4
	ds_bpermute_b32 v0, v1, v13
	s_waitcnt lgkmcnt(0)
	v_add_f32_e32 v0, v13, v0
	ds_bpermute_b32 v6, v2, v0
	s_waitcnt lgkmcnt(0)
	v_add_f32_e32 v0, v0, v6
	;; [unrolled: 3-line block ×4, first 2 shown]
	ds_bpermute_b32 v6, v5, v0
	s_and_saveexec_b32 s3, vcc_lo
	s_cbranch_execz .LBB201_11
; %bb.10:
	s_lshl_b32 s4, s2, 1
	s_mov_b32 s5, 0
	s_waitcnt lgkmcnt(0)
	v_add_f32_e32 v0, v0, v6
	s_lshl_b64 s[4:5], s[4:5], 2
	v_mov_b32_e32 v6, 0
	s_add_u32 s4, s0, s4
	s_addc_u32 s5, s1, s5
	global_store_dword v6, v0, s[4:5]
.LBB201_11:
	s_or_b32 exec_lo, exec_lo, s3
	ds_bpermute_b32 v0, v1, v12
	s_waitcnt lgkmcnt(0)
	v_add_f32_e32 v0, v12, v0
	ds_bpermute_b32 v6, v2, v0
	s_waitcnt lgkmcnt(0)
	v_add_f32_e32 v0, v0, v6
	;; [unrolled: 3-line block ×4, first 2 shown]
	ds_bpermute_b32 v6, v5, v0
	s_and_saveexec_b32 s3, vcc_lo
	s_cbranch_execz .LBB201_13
; %bb.12:
	s_mul_i32 s4, s2, 3
	s_mov_b32 s5, 0
	s_waitcnt lgkmcnt(0)
	v_add_f32_e32 v0, v0, v6
	s_lshl_b64 s[4:5], s[4:5], 2
	v_mov_b32_e32 v6, 0
	s_add_u32 s4, s0, s4
	s_addc_u32 s5, s1, s5
	global_store_dword v6, v0, s[4:5]
.LBB201_13:
	s_or_b32 exec_lo, exec_lo, s3
	ds_bpermute_b32 v0, v1, v11
	s_waitcnt lgkmcnt(0)
	v_add_f32_e32 v0, v11, v0
	ds_bpermute_b32 v6, v2, v0
	s_waitcnt lgkmcnt(0)
	v_add_f32_e32 v0, v0, v6
	;; [unrolled: 3-line block ×4, first 2 shown]
	ds_bpermute_b32 v6, v5, v0
	s_and_saveexec_b32 s3, vcc_lo
	s_cbranch_execz .LBB201_15
; %bb.14:
	s_lshl_b32 s4, s2, 2
	s_mov_b32 s5, 0
	s_waitcnt lgkmcnt(0)
	v_add_f32_e32 v0, v0, v6
	s_lshl_b64 s[4:5], s[4:5], 2
	v_mov_b32_e32 v6, 0
	s_add_u32 s4, s0, s4
	s_addc_u32 s5, s1, s5
	global_store_dword v6, v0, s[4:5]
.LBB201_15:
	s_or_b32 exec_lo, exec_lo, s3
	ds_bpermute_b32 v0, v1, v10
	s_waitcnt lgkmcnt(0)
	v_add_f32_e32 v0, v10, v0
	ds_bpermute_b32 v1, v2, v0
	s_waitcnt lgkmcnt(0)
	v_add_f32_e32 v0, v0, v1
	;; [unrolled: 3-line block ×4, first 2 shown]
	ds_bpermute_b32 v1, v5, v0
	s_and_b32 exec_lo, exec_lo, vcc_lo
	s_cbranch_execz .LBB201_17
; %bb.16:
	s_mul_i32 s2, s2, 5
	s_mov_b32 s3, 0
	s_waitcnt lgkmcnt(0)
	v_add_f32_e32 v0, v0, v1
	s_lshl_b64 s[2:3], s[2:3], 2
	v_mov_b32_e32 v1, 0
	s_add_u32 s0, s0, s2
	s_addc_u32 s1, s1, s3
	global_store_dword v1, v0, s[0:1]
.LBB201_17:
	s_endpgm
	.section	.rodata,"a",@progbits
	.p2align	6, 0x0
	.amdhsa_kernel _ZL13mul_mat_vec_qIL9ggml_type18ELi6ELb0ELb0EEvPKvS2_PKi31ggml_cuda_mm_fusion_args_devicePfj15HIP_vector_typeIjLj3EEjjjS8_jjjS8_jjjj
		.amdhsa_group_segment_fixed_size 0
		.amdhsa_private_segment_fixed_size 0
		.amdhsa_kernarg_size 144
		.amdhsa_user_sgpr_count 6
		.amdhsa_user_sgpr_private_segment_buffer 1
		.amdhsa_user_sgpr_dispatch_ptr 0
		.amdhsa_user_sgpr_queue_ptr 0
		.amdhsa_user_sgpr_kernarg_segment_ptr 1
		.amdhsa_user_sgpr_dispatch_id 0
		.amdhsa_user_sgpr_flat_scratch_init 0
		.amdhsa_user_sgpr_private_segment_size 0
		.amdhsa_wavefront_size32 1
		.amdhsa_uses_dynamic_stack 0
		.amdhsa_system_sgpr_private_segment_wavefront_offset 0
		.amdhsa_system_sgpr_workgroup_id_x 1
		.amdhsa_system_sgpr_workgroup_id_y 1
		.amdhsa_system_sgpr_workgroup_id_z 1
		.amdhsa_system_sgpr_workgroup_info 0
		.amdhsa_system_vgpr_workitem_id 1
		.amdhsa_next_free_vgpr 42
		.amdhsa_next_free_sgpr 28
		.amdhsa_reserve_vcc 1
		.amdhsa_reserve_flat_scratch 0
		.amdhsa_float_round_mode_32 0
		.amdhsa_float_round_mode_16_64 0
		.amdhsa_float_denorm_mode_32 3
		.amdhsa_float_denorm_mode_16_64 3
		.amdhsa_dx10_clamp 1
		.amdhsa_ieee_mode 1
		.amdhsa_fp16_overflow 0
		.amdhsa_workgroup_processor_mode 1
		.amdhsa_memory_ordered 1
		.amdhsa_forward_progress 1
		.amdhsa_shared_vgpr_count 0
		.amdhsa_exception_fp_ieee_invalid_op 0
		.amdhsa_exception_fp_denorm_src 0
		.amdhsa_exception_fp_ieee_div_zero 0
		.amdhsa_exception_fp_ieee_overflow 0
		.amdhsa_exception_fp_ieee_underflow 0
		.amdhsa_exception_fp_ieee_inexact 0
		.amdhsa_exception_int_div_zero 0
	.end_amdhsa_kernel
	.section	.text._ZL13mul_mat_vec_qIL9ggml_type18ELi6ELb0ELb0EEvPKvS2_PKi31ggml_cuda_mm_fusion_args_devicePfj15HIP_vector_typeIjLj3EEjjjS8_jjjS8_jjjj,"axG",@progbits,_ZL13mul_mat_vec_qIL9ggml_type18ELi6ELb0ELb0EEvPKvS2_PKi31ggml_cuda_mm_fusion_args_devicePfj15HIP_vector_typeIjLj3EEjjjS8_jjjS8_jjjj,comdat
.Lfunc_end201:
	.size	_ZL13mul_mat_vec_qIL9ggml_type18ELi6ELb0ELb0EEvPKvS2_PKi31ggml_cuda_mm_fusion_args_devicePfj15HIP_vector_typeIjLj3EEjjjS8_jjjS8_jjjj, .Lfunc_end201-_ZL13mul_mat_vec_qIL9ggml_type18ELi6ELb0ELb0EEvPKvS2_PKi31ggml_cuda_mm_fusion_args_devicePfj15HIP_vector_typeIjLj3EEjjjS8_jjjS8_jjjj
                                        ; -- End function
	.set _ZL13mul_mat_vec_qIL9ggml_type18ELi6ELb0ELb0EEvPKvS2_PKi31ggml_cuda_mm_fusion_args_devicePfj15HIP_vector_typeIjLj3EEjjjS8_jjjS8_jjjj.num_vgpr, 42
	.set _ZL13mul_mat_vec_qIL9ggml_type18ELi6ELb0ELb0EEvPKvS2_PKi31ggml_cuda_mm_fusion_args_devicePfj15HIP_vector_typeIjLj3EEjjjS8_jjjS8_jjjj.num_agpr, 0
	.set _ZL13mul_mat_vec_qIL9ggml_type18ELi6ELb0ELb0EEvPKvS2_PKi31ggml_cuda_mm_fusion_args_devicePfj15HIP_vector_typeIjLj3EEjjjS8_jjjS8_jjjj.numbered_sgpr, 28
	.set _ZL13mul_mat_vec_qIL9ggml_type18ELi6ELb0ELb0EEvPKvS2_PKi31ggml_cuda_mm_fusion_args_devicePfj15HIP_vector_typeIjLj3EEjjjS8_jjjS8_jjjj.num_named_barrier, 0
	.set _ZL13mul_mat_vec_qIL9ggml_type18ELi6ELb0ELb0EEvPKvS2_PKi31ggml_cuda_mm_fusion_args_devicePfj15HIP_vector_typeIjLj3EEjjjS8_jjjS8_jjjj.private_seg_size, 0
	.set _ZL13mul_mat_vec_qIL9ggml_type18ELi6ELb0ELb0EEvPKvS2_PKi31ggml_cuda_mm_fusion_args_devicePfj15HIP_vector_typeIjLj3EEjjjS8_jjjS8_jjjj.uses_vcc, 1
	.set _ZL13mul_mat_vec_qIL9ggml_type18ELi6ELb0ELb0EEvPKvS2_PKi31ggml_cuda_mm_fusion_args_devicePfj15HIP_vector_typeIjLj3EEjjjS8_jjjS8_jjjj.uses_flat_scratch, 0
	.set _ZL13mul_mat_vec_qIL9ggml_type18ELi6ELb0ELb0EEvPKvS2_PKi31ggml_cuda_mm_fusion_args_devicePfj15HIP_vector_typeIjLj3EEjjjS8_jjjS8_jjjj.has_dyn_sized_stack, 0
	.set _ZL13mul_mat_vec_qIL9ggml_type18ELi6ELb0ELb0EEvPKvS2_PKi31ggml_cuda_mm_fusion_args_devicePfj15HIP_vector_typeIjLj3EEjjjS8_jjjS8_jjjj.has_recursion, 0
	.set _ZL13mul_mat_vec_qIL9ggml_type18ELi6ELb0ELb0EEvPKvS2_PKi31ggml_cuda_mm_fusion_args_devicePfj15HIP_vector_typeIjLj3EEjjjS8_jjjS8_jjjj.has_indirect_call, 0
	.section	.AMDGPU.csdata,"",@progbits
; Kernel info:
; codeLenInByte = 4308
; TotalNumSgprs: 30
; NumVgprs: 42
; ScratchSize: 0
; MemoryBound: 0
; FloatMode: 240
; IeeeMode: 1
; LDSByteSize: 0 bytes/workgroup (compile time only)
; SGPRBlocks: 0
; VGPRBlocks: 5
; NumSGPRsForWavesPerEU: 30
; NumVGPRsForWavesPerEU: 42
; Occupancy: 16
; WaveLimiterHint : 0
; COMPUTE_PGM_RSRC2:SCRATCH_EN: 0
; COMPUTE_PGM_RSRC2:USER_SGPR: 6
; COMPUTE_PGM_RSRC2:TRAP_HANDLER: 0
; COMPUTE_PGM_RSRC2:TGID_X_EN: 1
; COMPUTE_PGM_RSRC2:TGID_Y_EN: 1
; COMPUTE_PGM_RSRC2:TGID_Z_EN: 1
; COMPUTE_PGM_RSRC2:TIDIG_COMP_CNT: 1
	.section	.text._ZL13mul_mat_vec_qIL9ggml_type18ELi7ELb0ELb0EEvPKvS2_PKi31ggml_cuda_mm_fusion_args_devicePfj15HIP_vector_typeIjLj3EEjjjS8_jjjS8_jjjj,"axG",@progbits,_ZL13mul_mat_vec_qIL9ggml_type18ELi7ELb0ELb0EEvPKvS2_PKi31ggml_cuda_mm_fusion_args_devicePfj15HIP_vector_typeIjLj3EEjjjS8_jjjS8_jjjj,comdat
	.globl	_ZL13mul_mat_vec_qIL9ggml_type18ELi7ELb0ELb0EEvPKvS2_PKi31ggml_cuda_mm_fusion_args_devicePfj15HIP_vector_typeIjLj3EEjjjS8_jjjS8_jjjj ; -- Begin function _ZL13mul_mat_vec_qIL9ggml_type18ELi7ELb0ELb0EEvPKvS2_PKi31ggml_cuda_mm_fusion_args_devicePfj15HIP_vector_typeIjLj3EEjjjS8_jjjS8_jjjj
	.p2align	8
	.type	_ZL13mul_mat_vec_qIL9ggml_type18ELi7ELb0ELb0EEvPKvS2_PKi31ggml_cuda_mm_fusion_args_devicePfj15HIP_vector_typeIjLj3EEjjjS8_jjjS8_jjjj,@function
_ZL13mul_mat_vec_qIL9ggml_type18ELi7ELb0ELb0EEvPKvS2_PKi31ggml_cuda_mm_fusion_args_devicePfj15HIP_vector_typeIjLj3EEjjjS8_jjjS8_jjjj: ; @_ZL13mul_mat_vec_qIL9ggml_type18ELi7ELb0ELb0EEvPKvS2_PKi31ggml_cuda_mm_fusion_args_devicePfj15HIP_vector_typeIjLj3EEjjjS8_jjjS8_jjjj
; %bb.0:
	s_clause 0x5
	s_load_dword s9, s[4:5], 0x40
	s_load_dwordx4 s[0:3], s[4:5], 0x50
	s_load_dword s11, s[4:5], 0x60
	s_load_dwordx4 s[12:15], s[4:5], 0x68
	;; [unrolled: 2-line block ×3, first 2 shown]
	v_lshl_or_b32 v2, v1, 5, v0
	v_mov_b32_e32 v11, 0
	v_mov_b32_e32 v12, 0
	;; [unrolled: 1-line block ×4, first 2 shown]
	v_lshrrev_b32_e32 v17, 3, v2
	v_mov_b32_e32 v15, 0
	v_mov_b32_e32 v16, 0
	;; [unrolled: 1-line block ×3, first 2 shown]
	s_waitcnt lgkmcnt(0)
	s_lshr_b32 s10, s9, 8
	s_mov_b32 s9, exec_lo
	v_cmpx_gt_u32_e64 s10, v17
	s_cbranch_execz .LBB202_4
; %bb.1:
	s_mul_i32 s13, s13, s7
	s_load_dwordx4 s[20:23], s[4:5], 0x0
	s_mul_hi_u32 s27, s13, 36
	s_mul_i32 s26, s13, 36
	v_lshlrev_b32_e32 v4, 1, v0
	v_mad_u64_u32 v[2:3], null, 0x120, v17, s[26:27]
	s_mul_i32 s17, s17, s8
	v_and_b32_e32 v6, 7, v0
	v_and_b32_e32 v11, 14, v4
	s_mul_hi_u32 s3, s3, s7
	s_mul_hi_u32 s15, s15, s8
	s_add_i32 s3, s7, s3
	v_mad_u64_u32 v[4:5], null, s17, 36, v[2:3]
	s_add_i32 s15, s8, s15
	s_mul_i32 s25, s17, 36
	s_lshr_b32 s3, s3, s11
	s_mul_hi_u32 s19, s17, 36
	s_lshr_b32 s11, s15, s24
	v_lshlrev_b32_e32 v8, 3, v17
	v_mad_u64_u32 v[9:10], null, v6, 36, v[4:5]
	s_mul_i32 s3, s3, s12
	s_waitcnt lgkmcnt(0)
	s_add_u32 s12, s22, s25
	s_addc_u32 s13, s23, s19
	s_add_u32 s12, s12, s26
	s_addc_u32 s13, s13, s27
	v_lshlrev_b32_e32 v12, 1, v11
	v_mad_u64_u32 v[4:5], null, s1, 6, v[8:9]
	v_mad_u64_u32 v[2:3], null, v6, 36, s[12:13]
	;; [unrolled: 1-line block ×4, first 2 shown]
	v_add_co_u32 v7, vcc_lo, s22, v9
	v_add_co_ci_u32_e64 v9, null, s23, v10, vcc_lo
	s_mul_i32 s0, s0, s6
	v_add_co_u32 v7, vcc_lo, v7, 16
	v_mov_b32_e32 v19, 0
	v_add_nc_u32_e32 v20, s1, v8
	v_lshl_add_u32 v21, s1, 2, v8
	v_lshl_add_u32 v22, s1, 1, v8
	v_add_co_ci_u32_e64 v8, null, 0, v9, vcc_lo
	v_lshlrev_b32_e32 v23, 1, v12
	v_lshlrev_b32_e32 v24, 1, v11
	v_mov_b32_e32 v25, 2
	v_mov_b32_e32 v11, 0
	;; [unrolled: 1-line block ×8, first 2 shown]
	s_mul_i32 s11, s11, s16
	s_add_i32 s3, s3, s0
	s_add_i32 s11, s11, s3
	s_mov_b32 s3, 0
.LBB202_2:                              ; =>This Inner Loop Header: Depth=1
	v_add_nc_u32_e32 v9, s11, v17
	s_getpc_b64 s[0:1]
	s_add_u32 s0, s0, _ZL11iq3xxs_grid@rel32@lo+4
	s_addc_u32 s1, s1, _ZL11iq3xxs_grid@rel32@hi+12
	v_mov_b32_e32 v43, 0
	v_add_nc_u32_e32 v17, 4, v17
	v_mad_i64_i32 v[9:10], null, 0x62, v9, s[20:21]
	v_add_co_u32 v26, vcc_lo, v9, v23
	v_add_co_ci_u32_e64 v27, null, 0, v10, vcc_lo
	global_load_dwordx2 v[31:32], v[26:27], off offset:2
	v_add_co_u32 v26, vcc_lo, v9, v24
	v_add_co_ci_u32_e64 v27, null, 0, v10, vcc_lo
	s_clause 0x1
	global_load_ushort v9, v[9:10], off
	global_load_dword v33, v[26:27], off offset:66
	s_waitcnt vmcnt(2)
	v_lshlrev_b32_sdwa v26, v25, v31 dst_sel:DWORD dst_unused:UNUSED_PAD src0_sel:DWORD src1_sel:BYTE_0
	v_lshlrev_b32_sdwa v27, v25, v31 dst_sel:DWORD dst_unused:UNUSED_PAD src0_sel:DWORD src1_sel:BYTE_1
	s_clause 0x1
	global_load_dword v26, v26, s[0:1]
	global_load_dword v27, v27, s[0:1]
	s_waitcnt vmcnt(3)
	v_cvt_f32_f16_e32 v9, v9
	s_waitcnt vmcnt(2)
	v_and_b32_e32 v28, 0xff, v33
	v_bcnt_u32_b32 v29, v28, 0
	v_and_b32_e32 v29, 1, v29
	v_lshlrev_b32_e32 v29, 7, v29
	v_xor_b32_e32 v28, v29, v28
	v_mul_lo_u32 v28, 0x1010101, v28
	v_and_b32_e32 v29, 0x8040201, v28
	v_lshrrev_b32_e32 v30, 18, v28
	v_cmp_ne_u16_sdwa s12, v29, v19 src0_sel:BYTE_3 src1_sel:DWORD
	v_cmp_ne_u16_sdwa s13, v29, v19 src0_sel:BYTE_1 src1_sel:DWORD
	v_bfe_i32 v29, v28, 0, 1
	v_bfe_i32 v30, v30, 0, 1
	v_cndmask_b32_e64 v36, 0, -1, s12
	v_cndmask_b32_e64 v34, 0, -1, s13
	v_lshlrev_b16 v36, 8, v36
	v_lshlrev_b16 v34, 8, v34
	v_or_b32_sdwa v37, v30, v36 dst_sel:WORD_1 dst_unused:UNUSED_PAD src0_sel:BYTE_0 src1_sel:DWORD
	v_or_b32_sdwa v35, v29, v34 dst_sel:DWORD dst_unused:UNUSED_PAD src0_sel:BYTE_0 src1_sel:DWORD
	v_lshlrev_b16 v29, 8, v29
	v_lshlrev_b16 v30, 8, v30
	v_or_b32_sdwa v35, v35, v37 dst_sel:DWORD dst_unused:UNUSED_PAD src0_sel:WORD_0 src1_sel:DWORD
	s_waitcnt vmcnt(1)
	v_xor_b32_e32 v26, v26, v35
	v_lshrrev_b32_e32 v35, 16, v26
	v_and_b32_e32 v37, 0xffffff00, v26
	v_lshlrev_b16 v26, 8, v26
	v_sub_nc_i16 v34, v37, v34 clamp
	v_sub_nc_i16 v26, v26, v29 clamp
	v_and_b32_e32 v29, 0xffffff00, v35
	v_perm_b32 v26, v26, v34, 0xc0c0105
	v_lshlrev_b16 v34, 8, v35
	v_sub_nc_i16 v29, v29, v36 clamp
	v_sub_nc_i16 v30, v34, v30 clamp
	v_perm_b32 v29, v30, v29, 0xc0c0105
	v_lshl_or_b32 v26, v29, 16, v26
	v_and_b32_e32 v29, 0x80402010, v28
	v_lshrrev_b32_e32 v28, 22, v28
	v_cmp_ne_u16_sdwa s12, v29, v19 src0_sel:BYTE_3 src1_sel:DWORD
	v_cmp_ne_u16_sdwa s13, v29, v19 src0_sel:BYTE_1 src1_sel:DWORD
	v_lshrrev_b16 v29, 4, v29
	v_bfe_i32 v28, v28, 0, 1
	v_cndmask_b32_e64 v35, 0, -1, s12
	v_cndmask_b32_e64 v30, 0, -1, s13
	v_bfe_i32 v29, v29, 0, 1
	v_lshlrev_b16 v35, 8, v35
	v_lshlrev_b16 v30, 8, v30
	v_or_b32_sdwa v36, v28, v35 dst_sel:WORD_1 dst_unused:UNUSED_PAD src0_sel:BYTE_0 src1_sel:DWORD
	v_or_b32_sdwa v34, v29, v30 dst_sel:DWORD dst_unused:UNUSED_PAD src0_sel:BYTE_0 src1_sel:DWORD
	v_lshlrev_b16 v29, 8, v29
	v_lshlrev_b16 v28, 8, v28
	v_or_b32_sdwa v34, v34, v36 dst_sel:DWORD dst_unused:UNUSED_PAD src0_sel:WORD_0 src1_sel:DWORD
	s_waitcnt vmcnt(0)
	v_xor_b32_e32 v27, v27, v34
	v_lshrrev_b32_e32 v34, 16, v27
	v_and_b32_e32 v36, 0xffffff00, v27
	v_lshlrev_b16 v27, 8, v27
	v_sub_nc_i16 v30, v36, v30 clamp
	v_sub_nc_i16 v27, v27, v29 clamp
	v_and_b32_e32 v29, 0xffffff00, v34
	v_perm_b32 v27, v27, v30, 0xc0c0105
	v_lshlrev_b16 v30, 8, v34
	v_sub_nc_i16 v29, v29, v35 clamp
	v_sub_nc_i16 v28, v30, v28 clamp
	v_bfe_u32 v30, v33, 7, 8
	v_perm_b32 v28, v28, v29, 0xc0c0105
	v_lshlrev_b32_sdwa v29, v25, v31 dst_sel:DWORD dst_unused:UNUSED_PAD src0_sel:DWORD src1_sel:BYTE_3
	v_lshl_or_b32 v27, v28, 16, v27
	v_lshlrev_b32_sdwa v28, v25, v31 dst_sel:DWORD dst_unused:UNUSED_PAD src0_sel:DWORD src1_sel:BYTE_2
	global_load_dword v29, v29, s[0:1]
	v_bcnt_u32_b32 v31, v30, 0
	global_load_dword v28, v28, s[0:1]
	v_and_b32_e32 v31, 1, v31
	v_lshlrev_b32_e32 v31, 7, v31
	v_xor_b32_e32 v30, v31, v30
	v_mul_lo_u32 v30, 0x1010101, v30
	v_and_b32_e32 v31, 0x8040201, v30
	v_lshrrev_b32_e32 v34, 18, v30
	v_cmp_ne_u16_sdwa s12, v31, v19 src0_sel:BYTE_3 src1_sel:DWORD
	v_cmp_ne_u16_sdwa s13, v31, v19 src0_sel:BYTE_1 src1_sel:DWORD
	v_bfe_i32 v31, v30, 0, 1
	v_bfe_i32 v34, v34, 0, 1
	v_cndmask_b32_e64 v37, 0, -1, s12
	v_cndmask_b32_e64 v35, 0, -1, s13
	v_lshlrev_b16 v37, 8, v37
	v_lshlrev_b16 v35, 8, v35
	v_or_b32_sdwa v38, v34, v37 dst_sel:WORD_1 dst_unused:UNUSED_PAD src0_sel:BYTE_0 src1_sel:DWORD
	v_or_b32_sdwa v36, v31, v35 dst_sel:DWORD dst_unused:UNUSED_PAD src0_sel:BYTE_0 src1_sel:DWORD
	v_lshlrev_b16 v31, 8, v31
	v_lshlrev_b16 v34, 8, v34
	v_or_b32_sdwa v36, v36, v38 dst_sel:DWORD dst_unused:UNUSED_PAD src0_sel:WORD_0 src1_sel:DWORD
	s_waitcnt vmcnt(0)
	v_xor_b32_e32 v28, v28, v36
	v_lshrrev_b32_e32 v36, 16, v28
	v_and_b32_e32 v38, 0xffffff00, v28
	v_lshlrev_b16 v28, 8, v28
	v_sub_nc_i16 v35, v38, v35 clamp
	v_sub_nc_i16 v28, v28, v31 clamp
	v_and_b32_e32 v31, 0xffffff00, v36
	v_perm_b32 v28, v28, v35, 0xc0c0105
	v_lshlrev_b16 v35, 8, v36
	v_sub_nc_i16 v31, v31, v37 clamp
	v_sub_nc_i16 v34, v35, v34 clamp
	v_perm_b32 v31, v34, v31, 0xc0c0105
	v_lshl_or_b32 v28, v31, 16, v28
	v_and_b32_e32 v31, 0x80402010, v30
	v_lshrrev_b32_e32 v30, 22, v30
	v_cmp_ne_u16_sdwa s12, v31, v19 src0_sel:BYTE_3 src1_sel:DWORD
	v_cmp_ne_u16_sdwa s13, v31, v19 src0_sel:BYTE_1 src1_sel:DWORD
	v_lshrrev_b16 v31, 4, v31
	v_bfe_i32 v30, v30, 0, 1
	v_cndmask_b32_e64 v36, 0, -1, s12
	v_cndmask_b32_e64 v34, 0, -1, s13
	v_bfe_i32 v31, v31, 0, 1
	v_lshlrev_b16 v36, 8, v36
	v_lshlrev_b16 v34, 8, v34
	v_or_b32_sdwa v37, v30, v36 dst_sel:WORD_1 dst_unused:UNUSED_PAD src0_sel:BYTE_0 src1_sel:DWORD
	v_or_b32_sdwa v35, v31, v34 dst_sel:DWORD dst_unused:UNUSED_PAD src0_sel:BYTE_0 src1_sel:DWORD
	v_lshlrev_b16 v31, 8, v31
	v_lshlrev_b16 v30, 8, v30
	v_or_b32_sdwa v35, v35, v37 dst_sel:DWORD dst_unused:UNUSED_PAD src0_sel:WORD_0 src1_sel:DWORD
	v_xor_b32_e32 v29, v29, v35
	v_lshrrev_b32_e32 v35, 16, v29
	v_and_b32_e32 v37, 0xffffff00, v29
	v_lshlrev_b16 v29, 8, v29
	v_sub_nc_i16 v34, v37, v34 clamp
	v_sub_nc_i16 v29, v29, v31 clamp
	v_and_b32_e32 v31, 0xffffff00, v35
	v_perm_b32 v29, v29, v34, 0xc0c0105
	v_lshlrev_b16 v34, 8, v35
	v_sub_nc_i16 v31, v31, v36 clamp
	v_sub_nc_i16 v30, v34, v30 clamp
	v_bfe_u32 v34, v33, 14, 8
	v_perm_b32 v30, v30, v31, 0xc0c0105
	v_lshlrev_b32_sdwa v31, v25, v32 dst_sel:DWORD dst_unused:UNUSED_PAD src0_sel:DWORD src1_sel:BYTE_1
	v_bcnt_u32_b32 v35, v34, 0
	v_lshl_or_b32 v29, v30, 16, v29
	v_lshlrev_b32_sdwa v30, v25, v32 dst_sel:DWORD dst_unused:UNUSED_PAD src0_sel:DWORD src1_sel:BYTE_0
	global_load_dword v31, v31, s[0:1]
	v_and_b32_e32 v35, 1, v35
	global_load_dword v30, v30, s[0:1]
	v_lshlrev_b32_e32 v35, 7, v35
	v_xor_b32_e32 v34, v35, v34
	v_mul_lo_u32 v34, 0x1010101, v34
	v_and_b32_e32 v35, 0x8040201, v34
	v_lshrrev_b32_e32 v36, 18, v34
	v_cmp_ne_u16_sdwa s12, v35, v19 src0_sel:BYTE_3 src1_sel:DWORD
	v_cmp_ne_u16_sdwa s13, v35, v19 src0_sel:BYTE_1 src1_sel:DWORD
	v_bfe_i32 v35, v34, 0, 1
	v_bfe_i32 v36, v36, 0, 1
	v_cndmask_b32_e64 v39, 0, -1, s12
	v_cndmask_b32_e64 v37, 0, -1, s13
	v_lshlrev_b16 v39, 8, v39
	v_lshlrev_b16 v37, 8, v37
	v_or_b32_sdwa v40, v36, v39 dst_sel:WORD_1 dst_unused:UNUSED_PAD src0_sel:BYTE_0 src1_sel:DWORD
	v_or_b32_sdwa v38, v35, v37 dst_sel:DWORD dst_unused:UNUSED_PAD src0_sel:BYTE_0 src1_sel:DWORD
	v_lshlrev_b16 v35, 8, v35
	v_lshlrev_b16 v36, 8, v36
	v_or_b32_sdwa v38, v38, v40 dst_sel:DWORD dst_unused:UNUSED_PAD src0_sel:WORD_0 src1_sel:DWORD
	s_waitcnt vmcnt(0)
	v_xor_b32_e32 v30, v30, v38
	v_lshrrev_b32_e32 v38, 16, v30
	v_and_b32_e32 v40, 0xffffff00, v30
	v_lshlrev_b16 v30, 8, v30
	v_sub_nc_i16 v37, v40, v37 clamp
	v_sub_nc_i16 v30, v30, v35 clamp
	v_and_b32_e32 v35, 0xffffff00, v38
	v_perm_b32 v30, v30, v37, 0xc0c0105
	v_lshlrev_b16 v37, 8, v38
	v_sub_nc_i16 v35, v35, v39 clamp
	v_sub_nc_i16 v36, v37, v36 clamp
	v_perm_b32 v35, v36, v35, 0xc0c0105
	v_lshl_or_b32 v30, v35, 16, v30
	v_and_b32_e32 v35, 0x80402010, v34
	v_lshrrev_b32_e32 v34, 22, v34
	v_cmp_ne_u16_sdwa s12, v35, v19 src0_sel:BYTE_3 src1_sel:DWORD
	v_cmp_ne_u16_sdwa s13, v35, v19 src0_sel:BYTE_1 src1_sel:DWORD
	v_lshrrev_b16 v35, 4, v35
	v_bfe_i32 v34, v34, 0, 1
	v_cndmask_b32_e64 v38, 0, -1, s12
	v_cndmask_b32_e64 v36, 0, -1, s13
	v_bfe_i32 v35, v35, 0, 1
	v_lshlrev_b16 v38, 8, v38
	v_lshlrev_b16 v36, 8, v36
	v_or_b32_sdwa v39, v34, v38 dst_sel:WORD_1 dst_unused:UNUSED_PAD src0_sel:BYTE_0 src1_sel:DWORD
	v_or_b32_sdwa v37, v35, v36 dst_sel:DWORD dst_unused:UNUSED_PAD src0_sel:BYTE_0 src1_sel:DWORD
	v_lshlrev_b16 v35, 8, v35
	v_lshlrev_b16 v34, 8, v34
	v_or_b32_sdwa v37, v37, v39 dst_sel:DWORD dst_unused:UNUSED_PAD src0_sel:WORD_0 src1_sel:DWORD
	v_xor_b32_e32 v31, v31, v37
	v_lshrrev_b32_e32 v37, 16, v31
	v_and_b32_e32 v39, 0xffffff00, v31
	v_lshlrev_b16 v31, 8, v31
	v_sub_nc_i16 v36, v39, v36 clamp
	v_sub_nc_i16 v31, v31, v35 clamp
	v_and_b32_e32 v35, 0xffffff00, v37
	v_perm_b32 v31, v31, v36, 0xc0c0105
	v_lshlrev_b16 v36, 8, v37
	v_sub_nc_i16 v35, v35, v38 clamp
	v_sub_nc_i16 v34, v36, v34 clamp
	v_perm_b32 v34, v34, v35, 0xc0c0105
	v_lshl_or_b32 v31, v34, 16, v31
	v_lshlrev_b32_sdwa v34, v25, v32 dst_sel:DWORD dst_unused:UNUSED_PAD src0_sel:DWORD src1_sel:BYTE_2
	v_lshlrev_b32_sdwa v32, v25, v32 dst_sel:DWORD dst_unused:UNUSED_PAD src0_sel:DWORD src1_sel:BYTE_3
	s_clause 0x1
	global_load_dword v34, v34, s[0:1]
	global_load_dword v35, v32, s[0:1]
	v_bfe_u32 v32, v33, 21, 8
	v_lshrrev_b32_e32 v33, 28, v33
	v_bcnt_u32_b32 v36, v32, 0
	v_and_b32_e32 v36, 1, v36
	v_lshlrev_b32_e32 v36, 7, v36
	v_xor_b32_e32 v32, v36, v32
	v_mul_lo_u32 v36, 0x1010101, v32
	v_and_b32_e32 v32, 0x8040201, v36
	v_lshrrev_b32_e32 v37, 18, v36
	v_cmp_ne_u16_sdwa s0, v32, v19 src0_sel:BYTE_3 src1_sel:DWORD
	v_cmp_ne_u16_sdwa s1, v32, v19 src0_sel:BYTE_1 src1_sel:DWORD
	v_bfe_i32 v32, v36, 0, 1
	v_bfe_i32 v37, v37, 0, 1
	v_cndmask_b32_e64 v40, 0, -1, s0
	v_cndmask_b32_e64 v38, 0, -1, s1
	v_lshlrev_b16 v40, 8, v40
	v_lshlrev_b16 v38, 8, v38
	v_or_b32_sdwa v41, v37, v40 dst_sel:WORD_1 dst_unused:UNUSED_PAD src0_sel:BYTE_0 src1_sel:DWORD
	v_or_b32_sdwa v39, v32, v38 dst_sel:DWORD dst_unused:UNUSED_PAD src0_sel:BYTE_0 src1_sel:DWORD
	v_lshlrev_b16 v32, 8, v32
	v_lshlrev_b16 v37, 8, v37
	v_or_b32_sdwa v39, v39, v41 dst_sel:DWORD dst_unused:UNUSED_PAD src0_sel:WORD_0 src1_sel:DWORD
	s_waitcnt vmcnt(1)
	v_xor_b32_e32 v34, v34, v39
	v_lshrrev_b32_e32 v39, 16, v34
	v_and_b32_e32 v41, 0xffffff00, v34
	v_lshlrev_b16 v34, 8, v34
	v_sub_nc_i16 v38, v41, v38 clamp
	v_sub_nc_i16 v32, v34, v32 clamp
	v_and_b32_e32 v34, 0xffffff00, v39
	v_perm_b32 v32, v32, v38, 0xc0c0105
	v_lshlrev_b16 v38, 8, v39
	v_sub_nc_i16 v34, v34, v40 clamp
	v_sub_nc_i16 v37, v38, v37 clamp
	v_perm_b32 v34, v37, v34, 0xc0c0105
	v_lshl_or_b32 v32, v34, 16, v32
	v_and_b32_e32 v34, 0x80402010, v36
	v_lshrrev_b32_e32 v36, 22, v36
	v_cmp_ne_u16_sdwa s0, v34, v19 src0_sel:BYTE_3 src1_sel:DWORD
	v_cmp_ne_u16_sdwa s1, v34, v19 src0_sel:BYTE_1 src1_sel:DWORD
	v_lshrrev_b16 v34, 4, v34
	v_bfe_i32 v36, v36, 0, 1
	v_cndmask_b32_e64 v39, 0, -1, s0
	v_cndmask_b32_e64 v37, 0, -1, s1
	v_bfe_i32 v34, v34, 0, 1
	v_lshlrev_b16 v39, 8, v39
	v_lshlrev_b16 v37, 8, v37
	v_or_b32_sdwa v40, v36, v39 dst_sel:WORD_1 dst_unused:UNUSED_PAD src0_sel:BYTE_0 src1_sel:DWORD
	v_or_b32_sdwa v38, v34, v37 dst_sel:DWORD dst_unused:UNUSED_PAD src0_sel:BYTE_0 src1_sel:DWORD
	v_lshlrev_b16 v34, 8, v34
	v_lshlrev_b16 v36, 8, v36
	v_or_b32_sdwa v38, v38, v40 dst_sel:DWORD dst_unused:UNUSED_PAD src0_sel:WORD_0 src1_sel:DWORD
	s_waitcnt vmcnt(0)
	v_xor_b32_e32 v35, v35, v38
	v_lshrrev_b32_e32 v38, 16, v35
	v_and_b32_e32 v40, 0xffffff00, v35
	v_lshlrev_b16 v35, 8, v35
	v_sub_nc_i16 v37, v40, v37 clamp
	v_sub_nc_i16 v34, v35, v34 clamp
	v_and_b32_e32 v35, 0xffffff00, v38
	v_perm_b32 v34, v34, v37, 0xc0c0105
	v_lshlrev_b16 v37, 8, v38
	v_sub_nc_i16 v35, v35, v39 clamp
	v_sub_nc_i16 v36, v37, v36 clamp
	v_perm_b32 v35, v36, v35, 0xc0c0105
	v_lshl_or_b32 v34, v35, 16, v34
	s_clause 0x2
	global_load_dwordx4 v[35:38], v[7:8], off offset:-16
	global_load_dword v10, v[7:8], off offset:16
	global_load_dwordx4 v[39:42], v[7:8], off
	v_add_co_u32 v7, vcc_lo, 0x480, v7
	v_add_co_ci_u32_e64 v8, null, 0, v8, vcc_lo
	v_cmp_le_u32_e32 vcc_lo, s10, v17
	s_or_b32 s3, vcc_lo, s3
	s_waitcnt vmcnt(2)
	v_dot4c_i32_i8 v43, v26, v36
	v_cvt_f32_f16_e32 v35, v35
	v_dot4c_i32_i8 v43, v27, v37
	v_mul_f32_e32 v35, v9, v35
	v_dot4c_i32_i8 v43, v28, v38
	s_waitcnt vmcnt(0)
	v_dot4c_i32_i8 v43, v29, v39
	v_dot4c_i32_i8 v43, v30, v40
	v_mad_u64_u32 v[39:40], null, v20, 36, v[2:3]
	v_add_nc_u32_e32 v20, 32, v20
	v_dot4c_i32_i8 v43, v31, v41
	v_dot4c_i32_i8 v43, v32, v42
	v_dot4c_i32_i8 v43, v34, v10
	v_lshrrev_b32_e32 v10, 31, v43
	v_add_nc_u32_e32 v10, v43, v10
	v_ashrrev_i32_e32 v10, 1, v10
	v_mad_u64_u32 v[36:37], null, v43, v33, v[10:11]
	v_mov_b32_e32 v43, 0
	v_lshrrev_b32_e32 v10, 31, v36
	v_add_nc_u32_e32 v10, v36, v10
	v_ashrrev_i32_e32 v10, 1, v10
	v_cvt_f32_i32_e32 v10, v10
	v_fmac_f32_e32 v18, v35, v10
	s_clause 0x2
	global_load_dwordx4 v[35:38], v[39:40], off
	global_load_dword v10, v[39:40], off offset:32
	global_load_dwordx4 v[39:42], v[39:40], off offset:16
	s_waitcnt vmcnt(2)
	v_dot4c_i32_i8 v43, v26, v36
	v_cvt_f32_f16_e32 v35, v35
	v_dot4c_i32_i8 v43, v27, v37
	v_mul_f32_e32 v35, v9, v35
	v_dot4c_i32_i8 v43, v28, v38
	s_waitcnt vmcnt(0)
	v_dot4c_i32_i8 v43, v29, v39
	v_dot4c_i32_i8 v43, v30, v40
	v_mad_u64_u32 v[39:40], null, v22, 36, v[2:3]
	v_add_nc_u32_e32 v22, 32, v22
	v_dot4c_i32_i8 v43, v31, v41
	v_dot4c_i32_i8 v43, v32, v42
	v_dot4c_i32_i8 v43, v34, v10
	v_lshrrev_b32_e32 v10, 31, v43
	v_add_nc_u32_e32 v10, v43, v10
	v_ashrrev_i32_e32 v10, 1, v10
	v_mad_u64_u32 v[36:37], null, v43, v33, v[10:11]
	v_mov_b32_e32 v43, 0
	v_lshrrev_b32_e32 v10, 31, v36
	v_add_nc_u32_e32 v10, v36, v10
	v_ashrrev_i32_e32 v10, 1, v10
	v_cvt_f32_i32_e32 v10, v10
	v_fmac_f32_e32 v16, v35, v10
	s_clause 0x2
	global_load_dwordx4 v[35:38], v[39:40], off
	global_load_dword v10, v[39:40], off offset:32
	global_load_dwordx4 v[39:42], v[39:40], off offset:16
	;; [unrolled: 28-line block ×6, first 2 shown]
	s_waitcnt vmcnt(2)
	v_dot4c_i32_i8 v43, v26, v36
	v_dot4c_i32_i8 v43, v27, v37
	;; [unrolled: 1-line block ×3, first 2 shown]
	s_waitcnt vmcnt(0)
	v_dot4c_i32_i8 v43, v29, v39
	v_dot4c_i32_i8 v43, v30, v40
	;; [unrolled: 1-line block ×5, first 2 shown]
	v_lshrrev_b32_e32 v10, 31, v43
	v_add_nc_u32_e32 v10, v43, v10
	v_ashrrev_i32_e32 v10, 1, v10
	v_mad_u64_u32 v[26:27], null, v43, v33, v[10:11]
	v_lshrrev_b32_e32 v10, 31, v26
	v_add_nc_u32_e32 v10, v26, v10
	v_cvt_f32_f16_e32 v26, v35
	v_ashrrev_i32_e32 v10, 1, v10
	v_mul_f32_e32 v9, v9, v26
	v_cvt_f32_i32_e32 v10, v10
	v_fmac_f32_e32 v11, v9, v10
	s_andn2_b32 exec_lo, exec_lo, s3
	s_cbranch_execnz .LBB202_2
; %bb.3:
	s_or_b32 exec_lo, exec_lo, s3
.LBB202_4:
	s_or_b32 exec_lo, exec_lo, s9
	s_mov_b32 s1, 0
	; wave barrier
	buffer_gl0_inv
	s_mov_b32 s0, exec_lo
	v_cmpx_eq_u32_e32 0, v1
	s_cbranch_execz .LBB202_19
; %bb.5:
	v_mbcnt_lo_u32_b32 v5, -1, 0
	s_load_dwordx2 s[4:5], s[4:5], 0x38
	s_mul_i32 s0, s14, s7
	s_mul_i32 s3, s18, s8
	s_add_i32 s0, s0, s6
	v_xor_b32_e32 v1, 16, v5
	v_xor_b32_e32 v2, 8, v5
	;; [unrolled: 1-line block ×3, first 2 shown]
	s_add_i32 s0, s0, s3
	s_lshl_b64 s[0:1], s[0:1], 2
	v_cmp_gt_i32_e32 vcc_lo, 32, v1
	v_cndmask_b32_e32 v1, v5, v1, vcc_lo
	v_cmp_gt_i32_e32 vcc_lo, 32, v2
	v_lshlrev_b32_e32 v1, 2, v1
	v_cndmask_b32_e32 v2, v5, v2, vcc_lo
	s_waitcnt lgkmcnt(0)
	s_add_u32 s0, s4, s0
	s_addc_u32 s1, s5, s1
	ds_bpermute_b32 v3, v1, v18
	v_lshlrev_b32_e32 v2, 2, v2
	s_waitcnt lgkmcnt(0)
	v_add_f32_e32 v4, v18, v3
	v_xor_b32_e32 v3, 4, v5
	ds_bpermute_b32 v6, v2, v4
	v_cmp_gt_i32_e32 vcc_lo, 32, v3
	v_cndmask_b32_e32 v3, v5, v3, vcc_lo
	v_lshlrev_b32_e32 v3, 2, v3
	s_waitcnt lgkmcnt(0)
	v_add_f32_e32 v6, v4, v6
	v_xor_b32_e32 v4, 2, v5
	ds_bpermute_b32 v7, v3, v6
	v_cmp_gt_i32_e32 vcc_lo, 32, v4
	v_cndmask_b32_e32 v4, v5, v4, vcc_lo
	v_cmp_gt_i32_e32 vcc_lo, 32, v8
	v_lshlrev_b32_e32 v4, 2, v4
	v_cndmask_b32_e32 v5, v5, v8, vcc_lo
	v_cmp_eq_u32_e32 vcc_lo, 0, v0
	v_lshlrev_b32_e32 v5, 2, v5
	s_waitcnt lgkmcnt(0)
	v_add_f32_e32 v6, v6, v7
	ds_bpermute_b32 v7, v4, v6
	s_waitcnt lgkmcnt(0)
	v_add_f32_e32 v6, v6, v7
	ds_bpermute_b32 v7, v5, v6
	s_and_saveexec_b32 s3, vcc_lo
	s_cbranch_execz .LBB202_7
; %bb.6:
	s_waitcnt lgkmcnt(0)
	v_add_f32_e32 v0, v6, v7
	v_mov_b32_e32 v6, 0
	global_store_dword v6, v0, s[0:1]
.LBB202_7:
	s_or_b32 exec_lo, exec_lo, s3
	ds_bpermute_b32 v0, v1, v16
	s_waitcnt lgkmcnt(0)
	v_add_f32_e32 v0, v16, v0
	ds_bpermute_b32 v6, v2, v0
	s_waitcnt lgkmcnt(0)
	v_add_f32_e32 v0, v0, v6
	;; [unrolled: 3-line block ×4, first 2 shown]
	ds_bpermute_b32 v6, v5, v0
	s_and_saveexec_b32 s4, vcc_lo
	s_cbranch_execz .LBB202_9
; %bb.8:
	s_mov_b32 s3, 0
	s_waitcnt lgkmcnt(0)
	v_add_f32_e32 v0, v0, v6
	s_lshl_b64 s[6:7], s[2:3], 2
	v_mov_b32_e32 v6, 0
	s_add_u32 s6, s0, s6
	s_addc_u32 s7, s1, s7
	global_store_dword v6, v0, s[6:7]
.LBB202_9:
	s_or_b32 exec_lo, exec_lo, s4
	ds_bpermute_b32 v0, v1, v15
	s_waitcnt lgkmcnt(0)
	v_add_f32_e32 v0, v15, v0
	ds_bpermute_b32 v6, v2, v0
	s_waitcnt lgkmcnt(0)
	v_add_f32_e32 v0, v0, v6
	;; [unrolled: 3-line block ×4, first 2 shown]
	ds_bpermute_b32 v6, v5, v0
	s_and_saveexec_b32 s3, vcc_lo
	s_cbranch_execz .LBB202_11
; %bb.10:
	s_lshl_b32 s4, s2, 1
	s_mov_b32 s5, 0
	s_waitcnt lgkmcnt(0)
	v_add_f32_e32 v0, v0, v6
	s_lshl_b64 s[4:5], s[4:5], 2
	v_mov_b32_e32 v6, 0
	s_add_u32 s4, s0, s4
	s_addc_u32 s5, s1, s5
	global_store_dword v6, v0, s[4:5]
.LBB202_11:
	s_or_b32 exec_lo, exec_lo, s3
	ds_bpermute_b32 v0, v1, v14
	s_waitcnt lgkmcnt(0)
	v_add_f32_e32 v0, v14, v0
	ds_bpermute_b32 v6, v2, v0
	s_waitcnt lgkmcnt(0)
	v_add_f32_e32 v0, v0, v6
	ds_bpermute_b32 v6, v3, v0
	s_waitcnt lgkmcnt(0)
	v_add_f32_e32 v0, v0, v6
	ds_bpermute_b32 v6, v4, v0
	s_waitcnt lgkmcnt(0)
	v_add_f32_e32 v0, v0, v6
	ds_bpermute_b32 v6, v5, v0
	s_and_saveexec_b32 s3, vcc_lo
	s_cbranch_execz .LBB202_13
; %bb.12:
	s_mul_i32 s4, s2, 3
	s_mov_b32 s5, 0
	s_waitcnt lgkmcnt(0)
	v_add_f32_e32 v0, v0, v6
	s_lshl_b64 s[4:5], s[4:5], 2
	v_mov_b32_e32 v6, 0
	s_add_u32 s4, s0, s4
	s_addc_u32 s5, s1, s5
	global_store_dword v6, v0, s[4:5]
.LBB202_13:
	s_or_b32 exec_lo, exec_lo, s3
	ds_bpermute_b32 v0, v1, v13
	s_waitcnt lgkmcnt(0)
	v_add_f32_e32 v0, v13, v0
	ds_bpermute_b32 v6, v2, v0
	s_waitcnt lgkmcnt(0)
	v_add_f32_e32 v0, v0, v6
	;; [unrolled: 3-line block ×4, first 2 shown]
	ds_bpermute_b32 v6, v5, v0
	s_and_saveexec_b32 s3, vcc_lo
	s_cbranch_execz .LBB202_15
; %bb.14:
	s_lshl_b32 s4, s2, 2
	s_mov_b32 s5, 0
	s_waitcnt lgkmcnt(0)
	v_add_f32_e32 v0, v0, v6
	s_lshl_b64 s[4:5], s[4:5], 2
	v_mov_b32_e32 v6, 0
	s_add_u32 s4, s0, s4
	s_addc_u32 s5, s1, s5
	global_store_dword v6, v0, s[4:5]
.LBB202_15:
	s_or_b32 exec_lo, exec_lo, s3
	ds_bpermute_b32 v0, v1, v12
	s_waitcnt lgkmcnt(0)
	v_add_f32_e32 v0, v12, v0
	ds_bpermute_b32 v6, v2, v0
	s_waitcnt lgkmcnt(0)
	v_add_f32_e32 v0, v0, v6
	;; [unrolled: 3-line block ×4, first 2 shown]
	ds_bpermute_b32 v6, v5, v0
	s_and_saveexec_b32 s3, vcc_lo
	s_cbranch_execz .LBB202_17
; %bb.16:
	s_mul_i32 s4, s2, 5
	s_mov_b32 s5, 0
	s_waitcnt lgkmcnt(0)
	v_add_f32_e32 v0, v0, v6
	s_lshl_b64 s[4:5], s[4:5], 2
	v_mov_b32_e32 v6, 0
	s_add_u32 s4, s0, s4
	s_addc_u32 s5, s1, s5
	global_store_dword v6, v0, s[4:5]
.LBB202_17:
	s_or_b32 exec_lo, exec_lo, s3
	ds_bpermute_b32 v0, v1, v11
	s_waitcnt lgkmcnt(0)
	v_add_f32_e32 v0, v11, v0
	ds_bpermute_b32 v1, v2, v0
	s_waitcnt lgkmcnt(0)
	v_add_f32_e32 v0, v0, v1
	;; [unrolled: 3-line block ×4, first 2 shown]
	ds_bpermute_b32 v1, v5, v0
	s_and_b32 exec_lo, exec_lo, vcc_lo
	s_cbranch_execz .LBB202_19
; %bb.18:
	s_mul_i32 s2, s2, 6
	s_mov_b32 s3, 0
	s_waitcnt lgkmcnt(0)
	v_add_f32_e32 v0, v0, v1
	s_lshl_b64 s[2:3], s[2:3], 2
	v_mov_b32_e32 v1, 0
	s_add_u32 s0, s0, s2
	s_addc_u32 s1, s1, s3
	global_store_dword v1, v0, s[0:1]
.LBB202_19:
	s_endpgm
	.section	.rodata,"a",@progbits
	.p2align	6, 0x0
	.amdhsa_kernel _ZL13mul_mat_vec_qIL9ggml_type18ELi7ELb0ELb0EEvPKvS2_PKi31ggml_cuda_mm_fusion_args_devicePfj15HIP_vector_typeIjLj3EEjjjS8_jjjS8_jjjj
		.amdhsa_group_segment_fixed_size 0
		.amdhsa_private_segment_fixed_size 0
		.amdhsa_kernarg_size 144
		.amdhsa_user_sgpr_count 6
		.amdhsa_user_sgpr_private_segment_buffer 1
		.amdhsa_user_sgpr_dispatch_ptr 0
		.amdhsa_user_sgpr_queue_ptr 0
		.amdhsa_user_sgpr_kernarg_segment_ptr 1
		.amdhsa_user_sgpr_dispatch_id 0
		.amdhsa_user_sgpr_flat_scratch_init 0
		.amdhsa_user_sgpr_private_segment_size 0
		.amdhsa_wavefront_size32 1
		.amdhsa_uses_dynamic_stack 0
		.amdhsa_system_sgpr_private_segment_wavefront_offset 0
		.amdhsa_system_sgpr_workgroup_id_x 1
		.amdhsa_system_sgpr_workgroup_id_y 1
		.amdhsa_system_sgpr_workgroup_id_z 1
		.amdhsa_system_sgpr_workgroup_info 0
		.amdhsa_system_vgpr_workitem_id 1
		.amdhsa_next_free_vgpr 44
		.amdhsa_next_free_sgpr 28
		.amdhsa_reserve_vcc 1
		.amdhsa_reserve_flat_scratch 0
		.amdhsa_float_round_mode_32 0
		.amdhsa_float_round_mode_16_64 0
		.amdhsa_float_denorm_mode_32 3
		.amdhsa_float_denorm_mode_16_64 3
		.amdhsa_dx10_clamp 1
		.amdhsa_ieee_mode 1
		.amdhsa_fp16_overflow 0
		.amdhsa_workgroup_processor_mode 1
		.amdhsa_memory_ordered 1
		.amdhsa_forward_progress 1
		.amdhsa_shared_vgpr_count 0
		.amdhsa_exception_fp_ieee_invalid_op 0
		.amdhsa_exception_fp_denorm_src 0
		.amdhsa_exception_fp_ieee_div_zero 0
		.amdhsa_exception_fp_ieee_overflow 0
		.amdhsa_exception_fp_ieee_underflow 0
		.amdhsa_exception_fp_ieee_inexact 0
		.amdhsa_exception_int_div_zero 0
	.end_amdhsa_kernel
	.section	.text._ZL13mul_mat_vec_qIL9ggml_type18ELi7ELb0ELb0EEvPKvS2_PKi31ggml_cuda_mm_fusion_args_devicePfj15HIP_vector_typeIjLj3EEjjjS8_jjjS8_jjjj,"axG",@progbits,_ZL13mul_mat_vec_qIL9ggml_type18ELi7ELb0ELb0EEvPKvS2_PKi31ggml_cuda_mm_fusion_args_devicePfj15HIP_vector_typeIjLj3EEjjjS8_jjjS8_jjjj,comdat
.Lfunc_end202:
	.size	_ZL13mul_mat_vec_qIL9ggml_type18ELi7ELb0ELb0EEvPKvS2_PKi31ggml_cuda_mm_fusion_args_devicePfj15HIP_vector_typeIjLj3EEjjjS8_jjjS8_jjjj, .Lfunc_end202-_ZL13mul_mat_vec_qIL9ggml_type18ELi7ELb0ELb0EEvPKvS2_PKi31ggml_cuda_mm_fusion_args_devicePfj15HIP_vector_typeIjLj3EEjjjS8_jjjS8_jjjj
                                        ; -- End function
	.set _ZL13mul_mat_vec_qIL9ggml_type18ELi7ELb0ELb0EEvPKvS2_PKi31ggml_cuda_mm_fusion_args_devicePfj15HIP_vector_typeIjLj3EEjjjS8_jjjS8_jjjj.num_vgpr, 44
	.set _ZL13mul_mat_vec_qIL9ggml_type18ELi7ELb0ELb0EEvPKvS2_PKi31ggml_cuda_mm_fusion_args_devicePfj15HIP_vector_typeIjLj3EEjjjS8_jjjS8_jjjj.num_agpr, 0
	.set _ZL13mul_mat_vec_qIL9ggml_type18ELi7ELb0ELb0EEvPKvS2_PKi31ggml_cuda_mm_fusion_args_devicePfj15HIP_vector_typeIjLj3EEjjjS8_jjjS8_jjjj.numbered_sgpr, 28
	.set _ZL13mul_mat_vec_qIL9ggml_type18ELi7ELb0ELb0EEvPKvS2_PKi31ggml_cuda_mm_fusion_args_devicePfj15HIP_vector_typeIjLj3EEjjjS8_jjjS8_jjjj.num_named_barrier, 0
	.set _ZL13mul_mat_vec_qIL9ggml_type18ELi7ELb0ELb0EEvPKvS2_PKi31ggml_cuda_mm_fusion_args_devicePfj15HIP_vector_typeIjLj3EEjjjS8_jjjS8_jjjj.private_seg_size, 0
	.set _ZL13mul_mat_vec_qIL9ggml_type18ELi7ELb0ELb0EEvPKvS2_PKi31ggml_cuda_mm_fusion_args_devicePfj15HIP_vector_typeIjLj3EEjjjS8_jjjS8_jjjj.uses_vcc, 1
	.set _ZL13mul_mat_vec_qIL9ggml_type18ELi7ELb0ELb0EEvPKvS2_PKi31ggml_cuda_mm_fusion_args_devicePfj15HIP_vector_typeIjLj3EEjjjS8_jjjS8_jjjj.uses_flat_scratch, 0
	.set _ZL13mul_mat_vec_qIL9ggml_type18ELi7ELb0ELb0EEvPKvS2_PKi31ggml_cuda_mm_fusion_args_devicePfj15HIP_vector_typeIjLj3EEjjjS8_jjjS8_jjjj.has_dyn_sized_stack, 0
	.set _ZL13mul_mat_vec_qIL9ggml_type18ELi7ELb0ELb0EEvPKvS2_PKi31ggml_cuda_mm_fusion_args_devicePfj15HIP_vector_typeIjLj3EEjjjS8_jjjS8_jjjj.has_recursion, 0
	.set _ZL13mul_mat_vec_qIL9ggml_type18ELi7ELb0ELb0EEvPKvS2_PKi31ggml_cuda_mm_fusion_args_devicePfj15HIP_vector_typeIjLj3EEjjjS8_jjjS8_jjjj.has_indirect_call, 0
	.section	.AMDGPU.csdata,"",@progbits
; Kernel info:
; codeLenInByte = 4580
; TotalNumSgprs: 30
; NumVgprs: 44
; ScratchSize: 0
; MemoryBound: 0
; FloatMode: 240
; IeeeMode: 1
; LDSByteSize: 0 bytes/workgroup (compile time only)
; SGPRBlocks: 0
; VGPRBlocks: 5
; NumSGPRsForWavesPerEU: 30
; NumVGPRsForWavesPerEU: 44
; Occupancy: 16
; WaveLimiterHint : 0
; COMPUTE_PGM_RSRC2:SCRATCH_EN: 0
; COMPUTE_PGM_RSRC2:USER_SGPR: 6
; COMPUTE_PGM_RSRC2:TRAP_HANDLER: 0
; COMPUTE_PGM_RSRC2:TGID_X_EN: 1
; COMPUTE_PGM_RSRC2:TGID_Y_EN: 1
; COMPUTE_PGM_RSRC2:TGID_Z_EN: 1
; COMPUTE_PGM_RSRC2:TIDIG_COMP_CNT: 1
	.section	.text._ZL13mul_mat_vec_qIL9ggml_type18ELi8ELb0ELb0EEvPKvS2_PKi31ggml_cuda_mm_fusion_args_devicePfj15HIP_vector_typeIjLj3EEjjjS8_jjjS8_jjjj,"axG",@progbits,_ZL13mul_mat_vec_qIL9ggml_type18ELi8ELb0ELb0EEvPKvS2_PKi31ggml_cuda_mm_fusion_args_devicePfj15HIP_vector_typeIjLj3EEjjjS8_jjjS8_jjjj,comdat
	.globl	_ZL13mul_mat_vec_qIL9ggml_type18ELi8ELb0ELb0EEvPKvS2_PKi31ggml_cuda_mm_fusion_args_devicePfj15HIP_vector_typeIjLj3EEjjjS8_jjjS8_jjjj ; -- Begin function _ZL13mul_mat_vec_qIL9ggml_type18ELi8ELb0ELb0EEvPKvS2_PKi31ggml_cuda_mm_fusion_args_devicePfj15HIP_vector_typeIjLj3EEjjjS8_jjjS8_jjjj
	.p2align	8
	.type	_ZL13mul_mat_vec_qIL9ggml_type18ELi8ELb0ELb0EEvPKvS2_PKi31ggml_cuda_mm_fusion_args_devicePfj15HIP_vector_typeIjLj3EEjjjS8_jjjS8_jjjj,@function
_ZL13mul_mat_vec_qIL9ggml_type18ELi8ELb0ELb0EEvPKvS2_PKi31ggml_cuda_mm_fusion_args_devicePfj15HIP_vector_typeIjLj3EEjjjS8_jjjS8_jjjj: ; @_ZL13mul_mat_vec_qIL9ggml_type18ELi8ELb0ELb0EEvPKvS2_PKi31ggml_cuda_mm_fusion_args_devicePfj15HIP_vector_typeIjLj3EEjjjS8_jjjS8_jjjj
; %bb.0:
	s_clause 0x5
	s_load_dword s9, s[4:5], 0x40
	s_load_dwordx4 s[0:3], s[4:5], 0x50
	s_load_dword s10, s[4:5], 0x60
	s_load_dwordx4 s[12:15], s[4:5], 0x68
	;; [unrolled: 2-line block ×3, first 2 shown]
	v_lshl_or_b32 v2, v1, 5, v0
	v_mov_b32_e32 v6, 0
	v_mov_b32_e32 v7, 0
	;; [unrolled: 1-line block ×4, first 2 shown]
	v_lshrrev_b32_e32 v13, 3, v2
	v_mov_b32_e32 v10, 0
	v_mov_b32_e32 v11, 0
	;; [unrolled: 1-line block ×4, first 2 shown]
	s_waitcnt lgkmcnt(0)
	s_lshr_b32 s19, s9, 8
	s_mov_b32 s9, exec_lo
	v_cmpx_gt_u32_e64 s19, v13
	s_cbranch_execz .LBB203_4
; %bb.1:
	s_mul_i32 s13, s13, s7
	s_load_dwordx4 s[20:23], s[4:5], 0x0
	s_mul_hi_u32 s25, s13, 36
	s_mul_i32 s24, s13, 36
	s_mul_i32 s17, s17, s8
	v_mad_u64_u32 v[2:3], null, 0x120, v13, s[24:25]
	v_lshlrev_b32_e32 v4, 1, v0
	v_and_b32_e32 v7, 7, v0
	s_mul_hi_u32 s3, s3, s7
	s_mul_hi_u32 s15, s15, s8
	s_add_i32 s3, s7, s3
	v_and_b32_e32 v6, 14, v4
	v_mad_u64_u32 v[2:3], null, s17, 36, v[2:3]
	s_add_i32 s15, s8, s15
	s_mul_i32 s27, s17, 36
	s_lshr_b32 s3, s3, s10
	s_lshr_b32 s10, s15, s11
	s_mul_hi_u32 s26, s17, 36
	s_mul_i32 s3, s3, s12
	v_mad_u64_u32 v[4:5], null, v7, 36, v[2:3]
	s_mul_i32 s12, s10, s16
	s_waitcnt lgkmcnt(0)
	s_add_u32 s10, s22, s27
	s_addc_u32 s11, s23, s26
	s_add_u32 s10, s10, s24
	s_addc_u32 s11, s11, s25
	v_lshlrev_b32_e32 v8, 1, v6
	v_add_co_u32 v4, vcc_lo, s22, v4
	v_add_co_ci_u32_e64 v5, null, s23, v5, vcc_lo
	v_mad_u64_u32 v[2:3], null, v7, 36, s[10:11]
	v_add_co_u32 v4, vcc_lo, v4, 16
	s_mul_i32 s0, s0, s6
	v_mov_b32_e32 v15, 0
	v_lshlrev_b32_e32 v16, 3, v13
	v_add_co_ci_u32_e64 v5, null, 0, v5, vcc_lo
	v_lshlrev_b32_e32 v17, 1, v8
	v_lshlrev_b32_e32 v18, 1, v6
	v_mov_b32_e32 v19, 2
	v_mov_b32_e32 v6, 0
	;; [unrolled: 1-line block ×9, first 2 shown]
	s_add_i32 s3, s3, s0
	s_mul_i32 s13, s1, 5
	s_add_i32 s0, s12, s3
	s_mul_i32 s3, s1, 7
	s_mul_i32 s12, s1, 6
	s_lshl_b32 s15, s1, 2
	s_mul_i32 s16, s1, 3
	s_lshl_b32 s22, s1, 1
	s_mov_b32 s17, 0
.LBB203_2:                              ; =>This Inner Loop Header: Depth=1
	v_add_nc_u32_e32 v20, s0, v13
	s_getpc_b64 s[10:11]
	s_add_u32 s10, s10, _ZL11iq3xxs_grid@rel32@lo+4
	s_addc_u32 s11, s11, _ZL11iq3xxs_grid@rel32@hi+12
	v_mov_b32_e32 v39, 0
	v_add_nc_u32_e32 v13, 4, v13
	v_mad_i64_i32 v[30:31], null, 0x62, v20, s[20:21]
	v_add_co_u32 v20, vcc_lo, v30, v17
	v_add_co_ci_u32_e64 v21, null, 0, v31, vcc_lo
	global_load_dwordx2 v[25:26], v[20:21], off offset:2
	v_add_co_u32 v20, vcc_lo, v30, v18
	v_add_co_ci_u32_e64 v21, null, 0, v31, vcc_lo
	global_load_dword v28, v[20:21], off offset:66
	s_waitcnt vmcnt(1)
	v_lshlrev_b32_sdwa v20, v19, v25 dst_sel:DWORD dst_unused:UNUSED_PAD src0_sel:DWORD src1_sel:BYTE_0
	v_lshlrev_b32_sdwa v21, v19, v25 dst_sel:DWORD dst_unused:UNUSED_PAD src0_sel:DWORD src1_sel:BYTE_1
	s_clause 0x1
	global_load_dword v20, v20, s[10:11]
	global_load_dword v21, v21, s[10:11]
	s_waitcnt vmcnt(2)
	v_and_b32_e32 v22, 0xff, v28
	v_bcnt_u32_b32 v23, v22, 0
	v_and_b32_e32 v23, 1, v23
	v_lshlrev_b32_e32 v23, 7, v23
	v_xor_b32_e32 v22, v23, v22
	v_mul_lo_u32 v22, 0x1010101, v22
	v_and_b32_e32 v23, 0x8040201, v22
	v_lshrrev_b32_e32 v24, 18, v22
	v_cmp_ne_u16_sdwa s23, v23, v15 src0_sel:BYTE_3 src1_sel:DWORD
	v_cmp_ne_u16_sdwa s24, v23, v15 src0_sel:BYTE_1 src1_sel:DWORD
	v_bfe_i32 v23, v22, 0, 1
	v_bfe_i32 v24, v24, 0, 1
	v_cndmask_b32_e64 v32, 0, -1, s23
	v_cndmask_b32_e64 v27, 0, -1, s24
	v_lshlrev_b16 v32, 8, v32
	v_lshlrev_b16 v27, 8, v27
	v_or_b32_sdwa v33, v24, v32 dst_sel:WORD_1 dst_unused:UNUSED_PAD src0_sel:BYTE_0 src1_sel:DWORD
	v_or_b32_sdwa v29, v23, v27 dst_sel:DWORD dst_unused:UNUSED_PAD src0_sel:BYTE_0 src1_sel:DWORD
	v_lshlrev_b16 v23, 8, v23
	v_lshlrev_b16 v24, 8, v24
	v_or_b32_sdwa v29, v29, v33 dst_sel:DWORD dst_unused:UNUSED_PAD src0_sel:WORD_0 src1_sel:DWORD
	s_waitcnt vmcnt(1)
	v_xor_b32_e32 v20, v20, v29
	v_lshrrev_b32_e32 v29, 16, v20
	v_and_b32_e32 v33, 0xffffff00, v20
	v_lshlrev_b16 v20, 8, v20
	v_sub_nc_i16 v27, v33, v27 clamp
	v_sub_nc_i16 v20, v20, v23 clamp
	v_and_b32_e32 v23, 0xffffff00, v29
	v_perm_b32 v20, v20, v27, 0xc0c0105
	v_lshlrev_b16 v27, 8, v29
	v_sub_nc_i16 v23, v23, v32 clamp
	v_sub_nc_i16 v24, v27, v24 clamp
	v_perm_b32 v23, v24, v23, 0xc0c0105
	v_lshl_or_b32 v20, v23, 16, v20
	v_and_b32_e32 v23, 0x80402010, v22
	v_lshrrev_b32_e32 v22, 22, v22
	v_cmp_ne_u16_sdwa s23, v23, v15 src0_sel:BYTE_3 src1_sel:DWORD
	v_cmp_ne_u16_sdwa s24, v23, v15 src0_sel:BYTE_1 src1_sel:DWORD
	v_lshrrev_b16 v23, 4, v23
	v_bfe_i32 v22, v22, 0, 1
	v_cndmask_b32_e64 v29, 0, -1, s23
	v_cndmask_b32_e64 v24, 0, -1, s24
	v_bfe_i32 v23, v23, 0, 1
	v_lshlrev_b16 v29, 8, v29
	v_lshlrev_b16 v24, 8, v24
	v_or_b32_sdwa v32, v22, v29 dst_sel:WORD_1 dst_unused:UNUSED_PAD src0_sel:BYTE_0 src1_sel:DWORD
	v_or_b32_sdwa v27, v23, v24 dst_sel:DWORD dst_unused:UNUSED_PAD src0_sel:BYTE_0 src1_sel:DWORD
	v_lshlrev_b16 v23, 8, v23
	v_lshlrev_b16 v22, 8, v22
	v_or_b32_sdwa v27, v27, v32 dst_sel:DWORD dst_unused:UNUSED_PAD src0_sel:WORD_0 src1_sel:DWORD
	s_waitcnt vmcnt(0)
	v_xor_b32_e32 v21, v21, v27
	v_lshrrev_b32_e32 v27, 16, v21
	v_and_b32_e32 v32, 0xffffff00, v21
	v_lshlrev_b16 v21, 8, v21
	v_sub_nc_i16 v24, v32, v24 clamp
	v_sub_nc_i16 v21, v21, v23 clamp
	v_and_b32_e32 v23, 0xffffff00, v27
	v_perm_b32 v21, v21, v24, 0xc0c0105
	v_lshlrev_b16 v24, 8, v27
	v_sub_nc_i16 v23, v23, v29 clamp
	v_sub_nc_i16 v22, v24, v22 clamp
	v_bfe_u32 v24, v28, 7, 8
	v_perm_b32 v22, v22, v23, 0xc0c0105
	v_lshlrev_b32_sdwa v23, v19, v25 dst_sel:DWORD dst_unused:UNUSED_PAD src0_sel:DWORD src1_sel:BYTE_3
	v_lshl_or_b32 v21, v22, 16, v21
	v_lshlrev_b32_sdwa v22, v19, v25 dst_sel:DWORD dst_unused:UNUSED_PAD src0_sel:DWORD src1_sel:BYTE_2
	global_load_dword v23, v23, s[10:11]
	v_bcnt_u32_b32 v25, v24, 0
	global_load_dword v22, v22, s[10:11]
	v_and_b32_e32 v25, 1, v25
	v_lshlrev_b32_e32 v25, 7, v25
	v_xor_b32_e32 v24, v25, v24
	v_mul_lo_u32 v24, 0x1010101, v24
	v_and_b32_e32 v25, 0x8040201, v24
	v_lshrrev_b32_e32 v27, 18, v24
	v_cmp_ne_u16_sdwa s23, v25, v15 src0_sel:BYTE_3 src1_sel:DWORD
	v_cmp_ne_u16_sdwa s24, v25, v15 src0_sel:BYTE_1 src1_sel:DWORD
	v_bfe_i32 v25, v24, 0, 1
	v_bfe_i32 v27, v27, 0, 1
	v_cndmask_b32_e64 v33, 0, -1, s23
	v_cndmask_b32_e64 v29, 0, -1, s24
	v_lshlrev_b16 v33, 8, v33
	v_lshlrev_b16 v29, 8, v29
	v_or_b32_sdwa v34, v27, v33 dst_sel:WORD_1 dst_unused:UNUSED_PAD src0_sel:BYTE_0 src1_sel:DWORD
	v_or_b32_sdwa v32, v25, v29 dst_sel:DWORD dst_unused:UNUSED_PAD src0_sel:BYTE_0 src1_sel:DWORD
	v_lshlrev_b16 v25, 8, v25
	v_lshlrev_b16 v27, 8, v27
	v_or_b32_sdwa v32, v32, v34 dst_sel:DWORD dst_unused:UNUSED_PAD src0_sel:WORD_0 src1_sel:DWORD
	s_waitcnt vmcnt(0)
	v_xor_b32_e32 v22, v22, v32
	v_lshrrev_b32_e32 v32, 16, v22
	v_and_b32_e32 v34, 0xffffff00, v22
	v_lshlrev_b16 v22, 8, v22
	v_sub_nc_i16 v29, v34, v29 clamp
	v_sub_nc_i16 v22, v22, v25 clamp
	v_and_b32_e32 v25, 0xffffff00, v32
	v_perm_b32 v22, v22, v29, 0xc0c0105
	v_lshlrev_b16 v29, 8, v32
	v_sub_nc_i16 v25, v25, v33 clamp
	v_sub_nc_i16 v27, v29, v27 clamp
	v_perm_b32 v25, v27, v25, 0xc0c0105
	v_lshl_or_b32 v22, v25, 16, v22
	v_and_b32_e32 v25, 0x80402010, v24
	v_lshrrev_b32_e32 v24, 22, v24
	v_cmp_ne_u16_sdwa s23, v25, v15 src0_sel:BYTE_3 src1_sel:DWORD
	v_cmp_ne_u16_sdwa s24, v25, v15 src0_sel:BYTE_1 src1_sel:DWORD
	v_lshrrev_b16 v25, 4, v25
	v_bfe_i32 v24, v24, 0, 1
	v_cndmask_b32_e64 v32, 0, -1, s23
	v_cndmask_b32_e64 v27, 0, -1, s24
	v_bfe_i32 v25, v25, 0, 1
	v_lshlrev_b16 v32, 8, v32
	v_lshlrev_b16 v27, 8, v27
	v_or_b32_sdwa v33, v24, v32 dst_sel:WORD_1 dst_unused:UNUSED_PAD src0_sel:BYTE_0 src1_sel:DWORD
	v_or_b32_sdwa v29, v25, v27 dst_sel:DWORD dst_unused:UNUSED_PAD src0_sel:BYTE_0 src1_sel:DWORD
	v_lshlrev_b16 v25, 8, v25
	v_lshlrev_b16 v24, 8, v24
	v_or_b32_sdwa v29, v29, v33 dst_sel:DWORD dst_unused:UNUSED_PAD src0_sel:WORD_0 src1_sel:DWORD
	v_xor_b32_e32 v23, v23, v29
	v_lshrrev_b32_e32 v29, 16, v23
	v_and_b32_e32 v33, 0xffffff00, v23
	v_lshlrev_b16 v23, 8, v23
	v_sub_nc_i16 v27, v33, v27 clamp
	v_sub_nc_i16 v23, v23, v25 clamp
	v_and_b32_e32 v25, 0xffffff00, v29
	v_perm_b32 v23, v23, v27, 0xc0c0105
	v_lshlrev_b16 v27, 8, v29
	v_sub_nc_i16 v25, v25, v32 clamp
	v_sub_nc_i16 v24, v27, v24 clamp
	v_bfe_u32 v27, v28, 14, 8
	v_perm_b32 v24, v24, v25, 0xc0c0105
	v_lshlrev_b32_sdwa v25, v19, v26 dst_sel:DWORD dst_unused:UNUSED_PAD src0_sel:DWORD src1_sel:BYTE_1
	v_bcnt_u32_b32 v29, v27, 0
	v_lshl_or_b32 v23, v24, 16, v23
	v_lshlrev_b32_sdwa v24, v19, v26 dst_sel:DWORD dst_unused:UNUSED_PAD src0_sel:DWORD src1_sel:BYTE_0
	global_load_dword v25, v25, s[10:11]
	v_and_b32_e32 v29, 1, v29
	global_load_dword v24, v24, s[10:11]
	v_lshlrev_b32_e32 v29, 7, v29
	v_xor_b32_e32 v27, v29, v27
	v_mul_lo_u32 v27, 0x1010101, v27
	v_and_b32_e32 v29, 0x8040201, v27
	v_lshrrev_b32_e32 v32, 18, v27
	v_cmp_ne_u16_sdwa s23, v29, v15 src0_sel:BYTE_3 src1_sel:DWORD
	v_cmp_ne_u16_sdwa s24, v29, v15 src0_sel:BYTE_1 src1_sel:DWORD
	v_bfe_i32 v29, v27, 0, 1
	v_bfe_i32 v32, v32, 0, 1
	v_cndmask_b32_e64 v35, 0, -1, s23
	v_cndmask_b32_e64 v33, 0, -1, s24
	v_lshlrev_b16 v35, 8, v35
	v_lshlrev_b16 v33, 8, v33
	v_or_b32_sdwa v36, v32, v35 dst_sel:WORD_1 dst_unused:UNUSED_PAD src0_sel:BYTE_0 src1_sel:DWORD
	v_or_b32_sdwa v34, v29, v33 dst_sel:DWORD dst_unused:UNUSED_PAD src0_sel:BYTE_0 src1_sel:DWORD
	v_lshlrev_b16 v29, 8, v29
	v_lshlrev_b16 v32, 8, v32
	v_or_b32_sdwa v34, v34, v36 dst_sel:DWORD dst_unused:UNUSED_PAD src0_sel:WORD_0 src1_sel:DWORD
	s_waitcnt vmcnt(0)
	v_xor_b32_e32 v24, v24, v34
	v_lshrrev_b32_e32 v34, 16, v24
	v_and_b32_e32 v36, 0xffffff00, v24
	v_lshlrev_b16 v24, 8, v24
	v_sub_nc_i16 v33, v36, v33 clamp
	v_sub_nc_i16 v24, v24, v29 clamp
	v_and_b32_e32 v29, 0xffffff00, v34
	v_perm_b32 v24, v24, v33, 0xc0c0105
	v_lshlrev_b16 v33, 8, v34
	v_sub_nc_i16 v29, v29, v35 clamp
	v_sub_nc_i16 v32, v33, v32 clamp
	v_perm_b32 v29, v32, v29, 0xc0c0105
	v_lshl_or_b32 v24, v29, 16, v24
	v_and_b32_e32 v29, 0x80402010, v27
	v_lshrrev_b32_e32 v27, 22, v27
	v_cmp_ne_u16_sdwa s23, v29, v15 src0_sel:BYTE_3 src1_sel:DWORD
	v_cmp_ne_u16_sdwa s24, v29, v15 src0_sel:BYTE_1 src1_sel:DWORD
	v_lshrrev_b16 v29, 4, v29
	v_bfe_i32 v27, v27, 0, 1
	v_cndmask_b32_e64 v34, 0, -1, s23
	v_cndmask_b32_e64 v32, 0, -1, s24
	v_bfe_i32 v29, v29, 0, 1
	v_lshlrev_b16 v34, 8, v34
	v_lshlrev_b16 v32, 8, v32
	v_or_b32_sdwa v35, v27, v34 dst_sel:WORD_1 dst_unused:UNUSED_PAD src0_sel:BYTE_0 src1_sel:DWORD
	v_or_b32_sdwa v33, v29, v32 dst_sel:DWORD dst_unused:UNUSED_PAD src0_sel:BYTE_0 src1_sel:DWORD
	v_lshlrev_b16 v29, 8, v29
	v_lshlrev_b16 v27, 8, v27
	v_or_b32_sdwa v33, v33, v35 dst_sel:DWORD dst_unused:UNUSED_PAD src0_sel:WORD_0 src1_sel:DWORD
	v_xor_b32_e32 v25, v25, v33
	v_lshrrev_b32_e32 v33, 16, v25
	v_and_b32_e32 v35, 0xffffff00, v25
	v_lshlrev_b16 v25, 8, v25
	v_sub_nc_i16 v32, v35, v32 clamp
	v_sub_nc_i16 v25, v25, v29 clamp
	v_and_b32_e32 v29, 0xffffff00, v33
	v_perm_b32 v25, v25, v32, 0xc0c0105
	v_lshlrev_b16 v32, 8, v33
	v_sub_nc_i16 v29, v29, v34 clamp
	v_sub_nc_i16 v27, v32, v27 clamp
	v_perm_b32 v27, v27, v29, 0xc0c0105
	v_bfe_u32 v29, v28, 21, 8
	v_lshrrev_b32_e32 v28, 28, v28
	v_lshl_or_b32 v25, v27, 16, v25
	v_lshlrev_b32_sdwa v27, v19, v26 dst_sel:DWORD dst_unused:UNUSED_PAD src0_sel:DWORD src1_sel:BYTE_2
	v_lshlrev_b32_sdwa v26, v19, v26 dst_sel:DWORD dst_unused:UNUSED_PAD src0_sel:DWORD src1_sel:BYTE_3
	v_bcnt_u32_b32 v32, v29, 0
	s_clause 0x1
	global_load_dword v27, v27, s[10:11]
	global_load_dword v26, v26, s[10:11]
	v_and_b32_e32 v32, 1, v32
	v_lshlrev_b32_e32 v32, 7, v32
	v_xor_b32_e32 v29, v32, v29
	v_mul_lo_u32 v29, 0x1010101, v29
	v_and_b32_e32 v32, 0x8040201, v29
	v_lshrrev_b32_e32 v33, 18, v29
	v_cmp_ne_u16_sdwa s10, v32, v15 src0_sel:BYTE_3 src1_sel:DWORD
	v_cmp_ne_u16_sdwa s11, v32, v15 src0_sel:BYTE_1 src1_sel:DWORD
	v_bfe_i32 v32, v29, 0, 1
	v_bfe_i32 v33, v33, 0, 1
	v_cndmask_b32_e64 v36, 0, -1, s10
	v_cndmask_b32_e64 v34, 0, -1, s11
	v_lshlrev_b16 v36, 8, v36
	v_lshlrev_b16 v34, 8, v34
	v_or_b32_sdwa v37, v33, v36 dst_sel:WORD_1 dst_unused:UNUSED_PAD src0_sel:BYTE_0 src1_sel:DWORD
	v_or_b32_sdwa v35, v32, v34 dst_sel:DWORD dst_unused:UNUSED_PAD src0_sel:BYTE_0 src1_sel:DWORD
	v_lshlrev_b16 v32, 8, v32
	v_lshlrev_b16 v33, 8, v33
	v_or_b32_sdwa v35, v35, v37 dst_sel:DWORD dst_unused:UNUSED_PAD src0_sel:WORD_0 src1_sel:DWORD
	s_waitcnt vmcnt(1)
	v_xor_b32_e32 v27, v27, v35
	v_lshrrev_b32_e32 v35, 16, v27
	v_and_b32_e32 v37, 0xffffff00, v27
	v_lshlrev_b16 v27, 8, v27
	v_sub_nc_i16 v34, v37, v34 clamp
	v_sub_nc_i16 v27, v27, v32 clamp
	v_and_b32_e32 v32, 0xffffff00, v35
	v_perm_b32 v27, v27, v34, 0xc0c0105
	v_lshlrev_b16 v34, 8, v35
	v_sub_nc_i16 v32, v32, v36 clamp
	v_sub_nc_i16 v33, v34, v33 clamp
	v_perm_b32 v32, v33, v32, 0xc0c0105
	v_lshl_or_b32 v27, v32, 16, v27
	v_and_b32_e32 v32, 0x80402010, v29
	v_lshrrev_b32_e32 v29, 22, v29
	v_cmp_ne_u16_sdwa s10, v32, v15 src0_sel:BYTE_3 src1_sel:DWORD
	v_cmp_ne_u16_sdwa s11, v32, v15 src0_sel:BYTE_1 src1_sel:DWORD
	v_lshrrev_b16 v32, 4, v32
	v_bfe_i32 v29, v29, 0, 1
	v_cndmask_b32_e64 v35, 0, -1, s10
	v_cndmask_b32_e64 v33, 0, -1, s11
	v_bfe_i32 v32, v32, 0, 1
	v_lshlrev_b16 v35, 8, v35
	v_lshlrev_b16 v33, 8, v33
	v_or_b32_sdwa v36, v29, v35 dst_sel:WORD_1 dst_unused:UNUSED_PAD src0_sel:BYTE_0 src1_sel:DWORD
	v_or_b32_sdwa v34, v32, v33 dst_sel:DWORD dst_unused:UNUSED_PAD src0_sel:BYTE_0 src1_sel:DWORD
	v_lshlrev_b16 v32, 8, v32
	v_lshlrev_b16 v29, 8, v29
	v_or_b32_sdwa v34, v34, v36 dst_sel:DWORD dst_unused:UNUSED_PAD src0_sel:WORD_0 src1_sel:DWORD
	s_waitcnt vmcnt(0)
	v_xor_b32_e32 v26, v26, v34
	v_lshrrev_b32_e32 v34, 16, v26
	v_and_b32_e32 v36, 0xffffff00, v26
	v_lshlrev_b16 v26, 8, v26
	v_sub_nc_i16 v33, v36, v33 clamp
	v_sub_nc_i16 v26, v26, v32 clamp
	v_and_b32_e32 v32, 0xffffff00, v34
	v_perm_b32 v26, v26, v33, 0xc0c0105
	v_lshlrev_b16 v33, 8, v34
	v_sub_nc_i16 v32, v32, v35 clamp
	v_sub_nc_i16 v29, v33, v29 clamp
	v_perm_b32 v29, v29, v32, 0xc0c0105
	v_lshl_or_b32 v29, v29, 16, v26
	global_load_ushort v26, v[30:31], off
	s_clause 0x2
	global_load_dwordx4 v[30:33], v[4:5], off offset:-16
	global_load_dword v38, v[4:5], off offset:16
	global_load_dwordx4 v[34:37], v[4:5], off
	v_add_co_u32 v4, vcc_lo, 0x480, v4
	v_add_co_ci_u32_e64 v5, null, 0, v5, vcc_lo
	v_cmp_le_u32_e32 vcc_lo, s19, v13
	s_or_b32 s17, vcc_lo, s17
	s_waitcnt vmcnt(2)
	v_dot4c_i32_i8 v39, v20, v31
	v_cvt_f32_f16_e32 v26, v26
	v_cvt_f32_f16_e32 v30, v30
	v_dot4c_i32_i8 v39, v21, v32
	v_mul_f32_e32 v30, v26, v30
	v_dot4c_i32_i8 v39, v22, v33
	s_waitcnt vmcnt(0)
	v_dot4c_i32_i8 v39, v23, v34
	v_dot4c_i32_i8 v39, v24, v35
	v_dot4c_i32_i8 v39, v25, v36
	v_dot4c_i32_i8 v39, v27, v37
	v_dot4c_i32_i8 v39, v29, v38
	v_lshrrev_b32_e32 v31, 31, v39
	v_add_nc_u32_e32 v31, v39, v31
	v_ashrrev_i32_e32 v31, 1, v31
	v_mad_u64_u32 v[31:32], null, v39, v28, v[31:32]
	v_mov_b32_e32 v39, 0
	v_lshrrev_b32_e32 v32, 31, v31
	v_add_nc_u32_e32 v31, v31, v32
	v_ashrrev_i32_e32 v31, 1, v31
	v_cvt_f32_i32_e32 v31, v31
	v_fmac_f32_e32 v14, v30, v31
	v_add_nc_u32_e32 v30, s1, v16
	v_mad_u64_u32 v[34:35], null, v30, 36, v[2:3]
	s_clause 0x2
	global_load_dwordx4 v[30:33], v[34:35], off
	global_load_dword v38, v[34:35], off offset:32
	global_load_dwordx4 v[34:37], v[34:35], off offset:16
	s_waitcnt vmcnt(2)
	v_dot4c_i32_i8 v39, v20, v31
	v_cvt_f32_f16_e32 v30, v30
	v_dot4c_i32_i8 v39, v21, v32
	v_mul_f32_e32 v30, v26, v30
	v_dot4c_i32_i8 v39, v22, v33
	s_waitcnt vmcnt(0)
	v_dot4c_i32_i8 v39, v23, v34
	v_dot4c_i32_i8 v39, v24, v35
	v_dot4c_i32_i8 v39, v25, v36
	v_dot4c_i32_i8 v39, v27, v37
	v_dot4c_i32_i8 v39, v29, v38
	v_lshrrev_b32_e32 v31, 31, v39
	v_add_nc_u32_e32 v31, v39, v31
	v_ashrrev_i32_e32 v31, 1, v31
	v_mad_u64_u32 v[31:32], null, v39, v28, v[31:32]
	v_mov_b32_e32 v39, 0
	v_lshrrev_b32_e32 v32, 31, v31
	v_add_nc_u32_e32 v31, v31, v32
	v_ashrrev_i32_e32 v31, 1, v31
	v_cvt_f32_i32_e32 v31, v31
	v_fmac_f32_e32 v12, v30, v31
	v_add_nc_u32_e32 v30, s22, v16
	v_mad_u64_u32 v[34:35], null, v30, 36, v[2:3]
	s_clause 0x2
	global_load_dwordx4 v[30:33], v[34:35], off
	global_load_dword v38, v[34:35], off offset:32
	global_load_dwordx4 v[34:37], v[34:35], off offset:16
	s_waitcnt vmcnt(2)
	v_dot4c_i32_i8 v39, v20, v31
	v_cvt_f32_f16_e32 v30, v30
	v_dot4c_i32_i8 v39, v21, v32
	v_mul_f32_e32 v30, v26, v30
	v_dot4c_i32_i8 v39, v22, v33
	s_waitcnt vmcnt(0)
	v_dot4c_i32_i8 v39, v23, v34
	v_dot4c_i32_i8 v39, v24, v35
	v_dot4c_i32_i8 v39, v25, v36
	v_dot4c_i32_i8 v39, v27, v37
	v_dot4c_i32_i8 v39, v29, v38
	v_lshrrev_b32_e32 v31, 31, v39
	v_add_nc_u32_e32 v31, v39, v31
	v_ashrrev_i32_e32 v31, 1, v31
	v_mad_u64_u32 v[31:32], null, v39, v28, v[31:32]
	v_mov_b32_e32 v39, 0
	v_lshrrev_b32_e32 v32, 31, v31
	v_add_nc_u32_e32 v31, v31, v32
	v_ashrrev_i32_e32 v31, 1, v31
	v_cvt_f32_i32_e32 v31, v31
	v_fmac_f32_e32 v11, v30, v31
	v_add_nc_u32_e32 v30, s16, v16
	v_mad_u64_u32 v[34:35], null, v30, 36, v[2:3]
	s_clause 0x2
	global_load_dwordx4 v[30:33], v[34:35], off
	global_load_dword v38, v[34:35], off offset:32
	global_load_dwordx4 v[34:37], v[34:35], off offset:16
	s_waitcnt vmcnt(2)
	v_dot4c_i32_i8 v39, v20, v31
	v_cvt_f32_f16_e32 v30, v30
	v_dot4c_i32_i8 v39, v21, v32
	v_mul_f32_e32 v30, v26, v30
	v_dot4c_i32_i8 v39, v22, v33
	s_waitcnt vmcnt(0)
	v_dot4c_i32_i8 v39, v23, v34
	v_dot4c_i32_i8 v39, v24, v35
	v_dot4c_i32_i8 v39, v25, v36
	v_dot4c_i32_i8 v39, v27, v37
	v_dot4c_i32_i8 v39, v29, v38
	v_lshrrev_b32_e32 v31, 31, v39
	v_add_nc_u32_e32 v31, v39, v31
	v_ashrrev_i32_e32 v31, 1, v31
	v_mad_u64_u32 v[31:32], null, v39, v28, v[31:32]
	v_mov_b32_e32 v39, 0
	v_lshrrev_b32_e32 v32, 31, v31
	v_add_nc_u32_e32 v31, v31, v32
	v_ashrrev_i32_e32 v31, 1, v31
	v_cvt_f32_i32_e32 v31, v31
	v_fmac_f32_e32 v10, v30, v31
	v_add_nc_u32_e32 v30, s15, v16
	v_mad_u64_u32 v[34:35], null, v30, 36, v[2:3]
	s_clause 0x2
	global_load_dwordx4 v[30:33], v[34:35], off
	global_load_dword v38, v[34:35], off offset:32
	global_load_dwordx4 v[34:37], v[34:35], off offset:16
	s_waitcnt vmcnt(2)
	v_dot4c_i32_i8 v39, v20, v31
	v_cvt_f32_f16_e32 v30, v30
	v_dot4c_i32_i8 v39, v21, v32
	v_mul_f32_e32 v30, v26, v30
	v_dot4c_i32_i8 v39, v22, v33
	s_waitcnt vmcnt(0)
	v_dot4c_i32_i8 v39, v23, v34
	v_dot4c_i32_i8 v39, v24, v35
	v_dot4c_i32_i8 v39, v25, v36
	v_dot4c_i32_i8 v39, v27, v37
	v_dot4c_i32_i8 v39, v29, v38
	v_lshrrev_b32_e32 v31, 31, v39
	v_add_nc_u32_e32 v31, v39, v31
	v_ashrrev_i32_e32 v31, 1, v31
	v_mad_u64_u32 v[31:32], null, v39, v28, v[31:32]
	v_mov_b32_e32 v39, 0
	v_lshrrev_b32_e32 v32, 31, v31
	v_add_nc_u32_e32 v31, v31, v32
	v_ashrrev_i32_e32 v31, 1, v31
	v_cvt_f32_i32_e32 v31, v31
	v_fmac_f32_e32 v9, v30, v31
	v_add_nc_u32_e32 v30, s13, v16
	v_mad_u64_u32 v[34:35], null, v30, 36, v[2:3]
	s_clause 0x2
	global_load_dwordx4 v[30:33], v[34:35], off
	global_load_dword v38, v[34:35], off offset:32
	global_load_dwordx4 v[34:37], v[34:35], off offset:16
	s_waitcnt vmcnt(2)
	v_dot4c_i32_i8 v39, v20, v31
	v_cvt_f32_f16_e32 v30, v30
	v_dot4c_i32_i8 v39, v21, v32
	v_mul_f32_e32 v30, v26, v30
	v_dot4c_i32_i8 v39, v22, v33
	s_waitcnt vmcnt(0)
	v_dot4c_i32_i8 v39, v23, v34
	v_dot4c_i32_i8 v39, v24, v35
	v_dot4c_i32_i8 v39, v25, v36
	v_dot4c_i32_i8 v39, v27, v37
	v_dot4c_i32_i8 v39, v29, v38
	v_lshrrev_b32_e32 v31, 31, v39
	v_add_nc_u32_e32 v31, v39, v31
	v_ashrrev_i32_e32 v31, 1, v31
	v_mad_u64_u32 v[31:32], null, v39, v28, v[31:32]
	v_mov_b32_e32 v39, 0
	v_lshrrev_b32_e32 v32, 31, v31
	v_add_nc_u32_e32 v31, v31, v32
	v_ashrrev_i32_e32 v31, 1, v31
	v_cvt_f32_i32_e32 v31, v31
	v_fmac_f32_e32 v8, v30, v31
	v_add_nc_u32_e32 v30, s12, v16
	v_mad_u64_u32 v[34:35], null, v30, 36, v[2:3]
	s_clause 0x2
	global_load_dwordx4 v[30:33], v[34:35], off
	global_load_dword v38, v[34:35], off offset:32
	global_load_dwordx4 v[34:37], v[34:35], off offset:16
	s_waitcnt vmcnt(2)
	v_dot4c_i32_i8 v39, v20, v31
	v_cvt_f32_f16_e32 v30, v30
	v_dot4c_i32_i8 v39, v21, v32
	v_mul_f32_e32 v30, v26, v30
	v_dot4c_i32_i8 v39, v22, v33
	s_waitcnt vmcnt(0)
	v_dot4c_i32_i8 v39, v23, v34
	v_dot4c_i32_i8 v39, v24, v35
	;; [unrolled: 1-line block ×5, first 2 shown]
	v_lshrrev_b32_e32 v31, 31, v39
	v_add_nc_u32_e32 v31, v39, v31
	v_ashrrev_i32_e32 v31, 1, v31
	v_mad_u64_u32 v[31:32], null, v39, v28, v[31:32]
	v_mov_b32_e32 v39, 0
	v_lshrrev_b32_e32 v32, 31, v31
	v_add_nc_u32_e32 v31, v31, v32
	v_ashrrev_i32_e32 v31, 1, v31
	v_cvt_f32_i32_e32 v31, v31
	v_fmac_f32_e32 v7, v30, v31
	v_add_nc_u32_e32 v30, s3, v16
	v_add_nc_u32_e32 v16, 32, v16
	v_mad_u64_u32 v[34:35], null, v30, 36, v[2:3]
	s_clause 0x2
	global_load_dwordx4 v[30:33], v[34:35], off
	global_load_dword v38, v[34:35], off offset:32
	global_load_dwordx4 v[34:37], v[34:35], off offset:16
	s_waitcnt vmcnt(2)
	v_dot4c_i32_i8 v39, v20, v31
	v_dot4c_i32_i8 v39, v21, v32
	;; [unrolled: 1-line block ×3, first 2 shown]
	s_waitcnt vmcnt(0)
	v_dot4c_i32_i8 v39, v23, v34
	v_dot4c_i32_i8 v39, v24, v35
	;; [unrolled: 1-line block ×5, first 2 shown]
	v_lshrrev_b32_e32 v20, 31, v39
	v_add_nc_u32_e32 v20, v39, v20
	v_ashrrev_i32_e32 v20, 1, v20
	v_mad_u64_u32 v[20:21], null, v39, v28, v[20:21]
	v_lshrrev_b32_e32 v21, 31, v20
	v_add_nc_u32_e32 v20, v20, v21
	v_cvt_f32_f16_e32 v21, v30
	v_ashrrev_i32_e32 v20, 1, v20
	v_mul_f32_e32 v21, v26, v21
	v_cvt_f32_i32_e32 v20, v20
	v_fmac_f32_e32 v6, v21, v20
	s_andn2_b32 exec_lo, exec_lo, s17
	s_cbranch_execnz .LBB203_2
; %bb.3:
	s_or_b32 exec_lo, exec_lo, s17
.LBB203_4:
	s_or_b32 exec_lo, exec_lo, s9
	s_mov_b32 s1, 0
	; wave barrier
	buffer_gl0_inv
	s_mov_b32 s0, exec_lo
	v_cmpx_eq_u32_e32 0, v1
	s_cbranch_execz .LBB203_21
; %bb.5:
	v_mbcnt_lo_u32_b32 v5, -1, 0
	s_load_dwordx2 s[4:5], s[4:5], 0x38
	s_mul_i32 s0, s14, s7
	s_mul_i32 s3, s18, s8
	s_add_i32 s0, s0, s6
	v_xor_b32_e32 v1, 16, v5
	v_xor_b32_e32 v2, 8, v5
	;; [unrolled: 1-line block ×3, first 2 shown]
	s_add_i32 s0, s0, s3
	s_lshl_b64 s[0:1], s[0:1], 2
	v_cmp_gt_i32_e32 vcc_lo, 32, v1
	v_cndmask_b32_e32 v1, v5, v1, vcc_lo
	v_cmp_gt_i32_e32 vcc_lo, 32, v2
	v_lshlrev_b32_e32 v1, 2, v1
	v_cndmask_b32_e32 v2, v5, v2, vcc_lo
	s_waitcnt lgkmcnt(0)
	s_add_u32 s0, s4, s0
	s_addc_u32 s1, s5, s1
	ds_bpermute_b32 v3, v1, v14
	v_lshlrev_b32_e32 v2, 2, v2
	s_waitcnt lgkmcnt(0)
	v_add_f32_e32 v4, v14, v3
	v_xor_b32_e32 v3, 4, v5
	ds_bpermute_b32 v13, v2, v4
	v_cmp_gt_i32_e32 vcc_lo, 32, v3
	v_cndmask_b32_e32 v3, v5, v3, vcc_lo
	v_lshlrev_b32_e32 v3, 2, v3
	s_waitcnt lgkmcnt(0)
	v_add_f32_e32 v13, v4, v13
	v_xor_b32_e32 v4, 2, v5
	ds_bpermute_b32 v14, v3, v13
	v_cmp_gt_i32_e32 vcc_lo, 32, v4
	v_cndmask_b32_e32 v4, v5, v4, vcc_lo
	v_cmp_gt_i32_e32 vcc_lo, 32, v15
	v_lshlrev_b32_e32 v4, 2, v4
	v_cndmask_b32_e32 v5, v5, v15, vcc_lo
	v_cmp_eq_u32_e32 vcc_lo, 0, v0
	v_lshlrev_b32_e32 v5, 2, v5
	s_waitcnt lgkmcnt(0)
	v_add_f32_e32 v13, v13, v14
	ds_bpermute_b32 v14, v4, v13
	s_waitcnt lgkmcnt(0)
	v_add_f32_e32 v13, v13, v14
	ds_bpermute_b32 v14, v5, v13
	s_and_saveexec_b32 s3, vcc_lo
	s_cbranch_execz .LBB203_7
; %bb.6:
	s_waitcnt lgkmcnt(0)
	v_add_f32_e32 v0, v13, v14
	v_mov_b32_e32 v13, 0
	global_store_dword v13, v0, s[0:1]
.LBB203_7:
	s_or_b32 exec_lo, exec_lo, s3
	ds_bpermute_b32 v0, v1, v12
	s_waitcnt lgkmcnt(0)
	v_add_f32_e32 v0, v12, v0
	ds_bpermute_b32 v12, v2, v0
	s_waitcnt lgkmcnt(0)
	v_add_f32_e32 v0, v0, v12
	;; [unrolled: 3-line block ×4, first 2 shown]
	ds_bpermute_b32 v12, v5, v0
	s_and_saveexec_b32 s4, vcc_lo
	s_cbranch_execz .LBB203_9
; %bb.8:
	s_mov_b32 s3, 0
	s_waitcnt lgkmcnt(0)
	v_add_f32_e32 v0, v0, v12
	s_lshl_b64 s[6:7], s[2:3], 2
	v_mov_b32_e32 v12, 0
	s_add_u32 s6, s0, s6
	s_addc_u32 s7, s1, s7
	global_store_dword v12, v0, s[6:7]
.LBB203_9:
	s_or_b32 exec_lo, exec_lo, s4
	ds_bpermute_b32 v0, v1, v11
	s_waitcnt lgkmcnt(0)
	v_add_f32_e32 v0, v11, v0
	ds_bpermute_b32 v11, v2, v0
	s_waitcnt lgkmcnt(0)
	v_add_f32_e32 v0, v0, v11
	;; [unrolled: 3-line block ×4, first 2 shown]
	ds_bpermute_b32 v11, v5, v0
	s_and_saveexec_b32 s3, vcc_lo
	s_cbranch_execz .LBB203_11
; %bb.10:
	s_lshl_b32 s4, s2, 1
	s_mov_b32 s5, 0
	s_waitcnt lgkmcnt(0)
	v_add_f32_e32 v0, v0, v11
	s_lshl_b64 s[4:5], s[4:5], 2
	v_mov_b32_e32 v11, 0
	s_add_u32 s4, s0, s4
	s_addc_u32 s5, s1, s5
	global_store_dword v11, v0, s[4:5]
.LBB203_11:
	s_or_b32 exec_lo, exec_lo, s3
	ds_bpermute_b32 v0, v1, v10
	s_waitcnt lgkmcnt(0)
	v_add_f32_e32 v0, v10, v0
	ds_bpermute_b32 v10, v2, v0
	s_waitcnt lgkmcnt(0)
	v_add_f32_e32 v0, v0, v10
	;; [unrolled: 3-line block ×4, first 2 shown]
	ds_bpermute_b32 v10, v5, v0
	s_and_saveexec_b32 s3, vcc_lo
	s_cbranch_execz .LBB203_13
; %bb.12:
	s_mul_i32 s4, s2, 3
	s_mov_b32 s5, 0
	s_waitcnt lgkmcnt(0)
	v_add_f32_e32 v0, v0, v10
	s_lshl_b64 s[4:5], s[4:5], 2
	v_mov_b32_e32 v10, 0
	s_add_u32 s4, s0, s4
	s_addc_u32 s5, s1, s5
	global_store_dword v10, v0, s[4:5]
.LBB203_13:
	s_or_b32 exec_lo, exec_lo, s3
	ds_bpermute_b32 v0, v1, v9
	s_waitcnt lgkmcnt(0)
	v_add_f32_e32 v0, v9, v0
	ds_bpermute_b32 v9, v2, v0
	s_waitcnt lgkmcnt(0)
	v_add_f32_e32 v0, v0, v9
	;; [unrolled: 3-line block ×4, first 2 shown]
	ds_bpermute_b32 v9, v5, v0
	s_and_saveexec_b32 s3, vcc_lo
	s_cbranch_execz .LBB203_15
; %bb.14:
	s_lshl_b32 s4, s2, 2
	s_mov_b32 s5, 0
	s_waitcnt lgkmcnt(0)
	v_add_f32_e32 v0, v0, v9
	s_lshl_b64 s[4:5], s[4:5], 2
	v_mov_b32_e32 v9, 0
	s_add_u32 s4, s0, s4
	s_addc_u32 s5, s1, s5
	global_store_dword v9, v0, s[4:5]
.LBB203_15:
	s_or_b32 exec_lo, exec_lo, s3
	ds_bpermute_b32 v0, v1, v8
	s_waitcnt lgkmcnt(0)
	v_add_f32_e32 v0, v8, v0
	ds_bpermute_b32 v8, v2, v0
	s_waitcnt lgkmcnt(0)
	v_add_f32_e32 v0, v0, v8
	;; [unrolled: 3-line block ×4, first 2 shown]
	ds_bpermute_b32 v8, v5, v0
	s_and_saveexec_b32 s3, vcc_lo
	s_cbranch_execz .LBB203_17
; %bb.16:
	s_mul_i32 s4, s2, 5
	s_mov_b32 s5, 0
	s_waitcnt lgkmcnt(0)
	v_add_f32_e32 v0, v0, v8
	s_lshl_b64 s[4:5], s[4:5], 2
	v_mov_b32_e32 v8, 0
	s_add_u32 s4, s0, s4
	s_addc_u32 s5, s1, s5
	global_store_dword v8, v0, s[4:5]
.LBB203_17:
	s_or_b32 exec_lo, exec_lo, s3
	ds_bpermute_b32 v0, v1, v7
	s_waitcnt lgkmcnt(0)
	v_add_f32_e32 v0, v7, v0
	ds_bpermute_b32 v7, v2, v0
	s_waitcnt lgkmcnt(0)
	v_add_f32_e32 v0, v0, v7
	;; [unrolled: 3-line block ×4, first 2 shown]
	ds_bpermute_b32 v7, v5, v0
	s_and_saveexec_b32 s3, vcc_lo
	s_cbranch_execz .LBB203_19
; %bb.18:
	s_mul_i32 s4, s2, 6
	s_mov_b32 s5, 0
	s_waitcnt lgkmcnt(0)
	v_add_f32_e32 v0, v0, v7
	s_lshl_b64 s[4:5], s[4:5], 2
	v_mov_b32_e32 v7, 0
	s_add_u32 s4, s0, s4
	s_addc_u32 s5, s1, s5
	global_store_dword v7, v0, s[4:5]
.LBB203_19:
	s_or_b32 exec_lo, exec_lo, s3
	ds_bpermute_b32 v0, v1, v6
	s_waitcnt lgkmcnt(0)
	v_add_f32_e32 v0, v6, v0
	ds_bpermute_b32 v1, v2, v0
	s_waitcnt lgkmcnt(0)
	v_add_f32_e32 v0, v0, v1
	;; [unrolled: 3-line block ×4, first 2 shown]
	ds_bpermute_b32 v1, v5, v0
	s_and_b32 exec_lo, exec_lo, vcc_lo
	s_cbranch_execz .LBB203_21
; %bb.20:
	s_mul_i32 s2, s2, 7
	s_mov_b32 s3, 0
	s_waitcnt lgkmcnt(0)
	v_add_f32_e32 v0, v0, v1
	s_lshl_b64 s[2:3], s[2:3], 2
	v_mov_b32_e32 v1, 0
	s_add_u32 s0, s0, s2
	s_addc_u32 s1, s1, s3
	global_store_dword v1, v0, s[0:1]
.LBB203_21:
	s_endpgm
	.section	.rodata,"a",@progbits
	.p2align	6, 0x0
	.amdhsa_kernel _ZL13mul_mat_vec_qIL9ggml_type18ELi8ELb0ELb0EEvPKvS2_PKi31ggml_cuda_mm_fusion_args_devicePfj15HIP_vector_typeIjLj3EEjjjS8_jjjS8_jjjj
		.amdhsa_group_segment_fixed_size 0
		.amdhsa_private_segment_fixed_size 0
		.amdhsa_kernarg_size 144
		.amdhsa_user_sgpr_count 6
		.amdhsa_user_sgpr_private_segment_buffer 1
		.amdhsa_user_sgpr_dispatch_ptr 0
		.amdhsa_user_sgpr_queue_ptr 0
		.amdhsa_user_sgpr_kernarg_segment_ptr 1
		.amdhsa_user_sgpr_dispatch_id 0
		.amdhsa_user_sgpr_flat_scratch_init 0
		.amdhsa_user_sgpr_private_segment_size 0
		.amdhsa_wavefront_size32 1
		.amdhsa_uses_dynamic_stack 0
		.amdhsa_system_sgpr_private_segment_wavefront_offset 0
		.amdhsa_system_sgpr_workgroup_id_x 1
		.amdhsa_system_sgpr_workgroup_id_y 1
		.amdhsa_system_sgpr_workgroup_id_z 1
		.amdhsa_system_sgpr_workgroup_info 0
		.amdhsa_system_vgpr_workitem_id 1
		.amdhsa_next_free_vgpr 40
		.amdhsa_next_free_sgpr 28
		.amdhsa_reserve_vcc 1
		.amdhsa_reserve_flat_scratch 0
		.amdhsa_float_round_mode_32 0
		.amdhsa_float_round_mode_16_64 0
		.amdhsa_float_denorm_mode_32 3
		.amdhsa_float_denorm_mode_16_64 3
		.amdhsa_dx10_clamp 1
		.amdhsa_ieee_mode 1
		.amdhsa_fp16_overflow 0
		.amdhsa_workgroup_processor_mode 1
		.amdhsa_memory_ordered 1
		.amdhsa_forward_progress 1
		.amdhsa_shared_vgpr_count 0
		.amdhsa_exception_fp_ieee_invalid_op 0
		.amdhsa_exception_fp_denorm_src 0
		.amdhsa_exception_fp_ieee_div_zero 0
		.amdhsa_exception_fp_ieee_overflow 0
		.amdhsa_exception_fp_ieee_underflow 0
		.amdhsa_exception_fp_ieee_inexact 0
		.amdhsa_exception_int_div_zero 0
	.end_amdhsa_kernel
	.section	.text._ZL13mul_mat_vec_qIL9ggml_type18ELi8ELb0ELb0EEvPKvS2_PKi31ggml_cuda_mm_fusion_args_devicePfj15HIP_vector_typeIjLj3EEjjjS8_jjjS8_jjjj,"axG",@progbits,_ZL13mul_mat_vec_qIL9ggml_type18ELi8ELb0ELb0EEvPKvS2_PKi31ggml_cuda_mm_fusion_args_devicePfj15HIP_vector_typeIjLj3EEjjjS8_jjjS8_jjjj,comdat
.Lfunc_end203:
	.size	_ZL13mul_mat_vec_qIL9ggml_type18ELi8ELb0ELb0EEvPKvS2_PKi31ggml_cuda_mm_fusion_args_devicePfj15HIP_vector_typeIjLj3EEjjjS8_jjjS8_jjjj, .Lfunc_end203-_ZL13mul_mat_vec_qIL9ggml_type18ELi8ELb0ELb0EEvPKvS2_PKi31ggml_cuda_mm_fusion_args_devicePfj15HIP_vector_typeIjLj3EEjjjS8_jjjS8_jjjj
                                        ; -- End function
	.set _ZL13mul_mat_vec_qIL9ggml_type18ELi8ELb0ELb0EEvPKvS2_PKi31ggml_cuda_mm_fusion_args_devicePfj15HIP_vector_typeIjLj3EEjjjS8_jjjS8_jjjj.num_vgpr, 40
	.set _ZL13mul_mat_vec_qIL9ggml_type18ELi8ELb0ELb0EEvPKvS2_PKi31ggml_cuda_mm_fusion_args_devicePfj15HIP_vector_typeIjLj3EEjjjS8_jjjS8_jjjj.num_agpr, 0
	.set _ZL13mul_mat_vec_qIL9ggml_type18ELi8ELb0ELb0EEvPKvS2_PKi31ggml_cuda_mm_fusion_args_devicePfj15HIP_vector_typeIjLj3EEjjjS8_jjjS8_jjjj.numbered_sgpr, 28
	.set _ZL13mul_mat_vec_qIL9ggml_type18ELi8ELb0ELb0EEvPKvS2_PKi31ggml_cuda_mm_fusion_args_devicePfj15HIP_vector_typeIjLj3EEjjjS8_jjjS8_jjjj.num_named_barrier, 0
	.set _ZL13mul_mat_vec_qIL9ggml_type18ELi8ELb0ELb0EEvPKvS2_PKi31ggml_cuda_mm_fusion_args_devicePfj15HIP_vector_typeIjLj3EEjjjS8_jjjS8_jjjj.private_seg_size, 0
	.set _ZL13mul_mat_vec_qIL9ggml_type18ELi8ELb0ELb0EEvPKvS2_PKi31ggml_cuda_mm_fusion_args_devicePfj15HIP_vector_typeIjLj3EEjjjS8_jjjS8_jjjj.uses_vcc, 1
	.set _ZL13mul_mat_vec_qIL9ggml_type18ELi8ELb0ELb0EEvPKvS2_PKi31ggml_cuda_mm_fusion_args_devicePfj15HIP_vector_typeIjLj3EEjjjS8_jjjS8_jjjj.uses_flat_scratch, 0
	.set _ZL13mul_mat_vec_qIL9ggml_type18ELi8ELb0ELb0EEvPKvS2_PKi31ggml_cuda_mm_fusion_args_devicePfj15HIP_vector_typeIjLj3EEjjjS8_jjjS8_jjjj.has_dyn_sized_stack, 0
	.set _ZL13mul_mat_vec_qIL9ggml_type18ELi8ELb0ELb0EEvPKvS2_PKi31ggml_cuda_mm_fusion_args_devicePfj15HIP_vector_typeIjLj3EEjjjS8_jjjS8_jjjj.has_recursion, 0
	.set _ZL13mul_mat_vec_qIL9ggml_type18ELi8ELb0ELb0EEvPKvS2_PKi31ggml_cuda_mm_fusion_args_devicePfj15HIP_vector_typeIjLj3EEjjjS8_jjjS8_jjjj.has_indirect_call, 0
	.section	.AMDGPU.csdata,"",@progbits
; Kernel info:
; codeLenInByte = 4820
; TotalNumSgprs: 30
; NumVgprs: 40
; ScratchSize: 0
; MemoryBound: 0
; FloatMode: 240
; IeeeMode: 1
; LDSByteSize: 0 bytes/workgroup (compile time only)
; SGPRBlocks: 0
; VGPRBlocks: 4
; NumSGPRsForWavesPerEU: 30
; NumVGPRsForWavesPerEU: 40
; Occupancy: 16
; WaveLimiterHint : 0
; COMPUTE_PGM_RSRC2:SCRATCH_EN: 0
; COMPUTE_PGM_RSRC2:USER_SGPR: 6
; COMPUTE_PGM_RSRC2:TRAP_HANDLER: 0
; COMPUTE_PGM_RSRC2:TGID_X_EN: 1
; COMPUTE_PGM_RSRC2:TGID_Y_EN: 1
; COMPUTE_PGM_RSRC2:TGID_Z_EN: 1
; COMPUTE_PGM_RSRC2:TIDIG_COMP_CNT: 1
	.section	.text._ZL17mul_mat_vec_q_moeIL9ggml_type19ELi2EEvPKvS2_PKiPfj15HIP_vector_typeIjLj3EEjjjjjjjjj,"axG",@progbits,_ZL17mul_mat_vec_q_moeIL9ggml_type19ELi2EEvPKvS2_PKiPfj15HIP_vector_typeIjLj3EEjjjjjjjjj,comdat
	.globl	_ZL17mul_mat_vec_q_moeIL9ggml_type19ELi2EEvPKvS2_PKiPfj15HIP_vector_typeIjLj3EEjjjjjjjjj ; -- Begin function _ZL17mul_mat_vec_q_moeIL9ggml_type19ELi2EEvPKvS2_PKiPfj15HIP_vector_typeIjLj3EEjjjjjjjjj
	.p2align	8
	.type	_ZL17mul_mat_vec_q_moeIL9ggml_type19ELi2EEvPKvS2_PKiPfj15HIP_vector_typeIjLj3EEjjjjjjjjj,@function
_ZL17mul_mat_vec_q_moeIL9ggml_type19ELi2EEvPKvS2_PKiPfj15HIP_vector_typeIjLj3EEjjjjjjjjj: ; @_ZL17mul_mat_vec_q_moeIL9ggml_type19ELi2EEvPKvS2_PKiPfj15HIP_vector_typeIjLj3EEjjjjjjjjj
; %bb.0:
	s_load_dwordx8 s[16:23], s[4:5], 0x30
	s_mov_b32 s0, exec_lo
	s_waitcnt lgkmcnt(0)
	v_cmpx_gt_u32_e64 s23, v1
	s_cbranch_execz .LBB204_7
; %bb.1:
	s_clause 0x2
	s_load_dword s1, s[4:5], 0x20
	s_load_dword s0, s[4:5], 0x50
	s_load_dwordx8 s[8:15], s[4:5], 0x0
	v_lshrrev_b32_e32 v8, 3, v0
	v_mov_b32_e32 v2, 0
	v_mov_b32_e32 v3, 0
	s_mov_b32 s2, s7
	s_waitcnt lgkmcnt(0)
	s_lshr_b32 s3, s1, 8
	s_lshl_b32 s1, s6, 1
	s_mov_b32 s6, exec_lo
	v_cmpx_gt_u32_e64 s3, v8
	s_cbranch_execz .LBB204_5
; %bb.2:
	v_mad_u64_u32 v[2:3], null, s0, v1, s[2:3]
	v_mov_b32_e32 v3, 0
	s_load_dwordx4 s[24:27], s[4:5], 0x24
	v_lshrrev_b32_e32 v6, 3, v0
	v_and_b32_e32 v10, 7, v0
	s_mov_b32 s4, 0
	s_mov_b32 s5, 0xb7000000
	v_lshlrev_b64 v[4:5], 2, v[2:3]
	v_lshlrev_b32_e32 v9, 1, v10
	v_add_co_u32 v4, vcc_lo, s12, v4
	v_add_co_ci_u32_e64 v5, null, s13, v5, vcc_lo
	v_lshlrev_b32_e32 v9, 1, v9
	global_load_dword v2, v[4:5], off
	v_mul_lo_u32 v4, s18, v1
	s_waitcnt lgkmcnt(0)
	s_mul_hi_u32 s0, s24, s2
	s_add_i32 s0, s2, s0
	s_lshr_b32 s0, s0, s25
	s_mul_i32 s0, s0, s26
	v_mad_u64_u32 v[4:5], null, v4, 36, 0
	s_sub_i32 s0, s2, s0
	s_mul_i32 s0, s0, s21
	v_mad_u64_u32 v[4:5], null, 0x120, v6, v[4:5]
	v_mad_u64_u32 v[4:5], null, s0, 36, v[4:5]
	s_add_i32 s0, s1, 1
	v_mad_u64_u32 v[4:5], null, v10, 36, v[4:5]
	v_lshlrev_b32_e32 v10, 1, v10
	v_add_co_u32 v7, vcc_lo, s10, v4
	v_add_co_ci_u32_e64 v11, null, s11, v5, vcc_lo
	s_waitcnt vmcnt(0)
	v_mul_lo_u32 v2, v2, s20
	v_mad_u64_u32 v[4:5], null, s1, s17, v[2:3]
	v_mad_u64_u32 v[5:6], null, s17, s0, v[2:3]
	v_add_co_u32 v6, vcc_lo, v7, 32
	v_add_co_ci_u32_e64 v7, null, 0, v11, vcc_lo
	v_mov_b32_e32 v2, v3
.LBB204_3:                              ; =>This Inner Loop Header: Depth=1
	v_add_nc_u32_e32 v11, v4, v8
	v_add_nc_u32_e32 v12, v5, v8
	s_getpc_b64 s[10:11]
	s_add_u32 s10, s10, _ZL13iq1s_grid_gpu@rel32@lo+4
	s_addc_u32 s11, s11, _ZL13iq1s_grid_gpu@rel32@hi+12
	v_add_nc_u32_e32 v8, 4, v8
	v_mad_i64_i32 v[19:20], null, v11, 50, s[8:9]
	v_mad_i64_i32 v[21:22], null, v12, 50, s[8:9]
	v_cmp_le_u32_e64 s0, s3, v8
	v_add_co_u32 v11, vcc_lo, v19, v9
	v_add_co_ci_u32_e64 v12, null, 0, v20, vcc_lo
	v_add_co_u32 v13, vcc_lo, v19, v10
	v_add_co_ci_u32_e64 v14, null, 0, v20, vcc_lo
	;; [unrolled: 2-line block ×4, first 2 shown]
	s_clause 0x3
	global_load_dword v23, v[11:12], off offset:2
	global_load_ushort v24, v[13:14], off offset:34
	global_load_dword v25, v[15:16], off offset:2
	global_load_ushort v26, v[17:18], off offset:34
	s_clause 0x1
	global_load_dwordx4 v[11:14], v[6:7], off offset:-16
	global_load_dwordx4 v[15:18], v[6:7], off offset:-32
	s_clause 0x1
	global_load_ushort v21, v[21:22], off
	global_load_ushort v19, v[19:20], off
	s_or_b32 s4, s0, s4
	s_waitcnt vmcnt(7)
	v_and_b32_e32 v22, 0xff, v23
	s_waitcnt vmcnt(6)
	v_lshlrev_b32_e32 v27, 8, v24
	v_bfe_u32 v28, v23, 8, 8
	v_lshlrev_b32_e32 v29, 5, v24
	v_lshrrev_b32_e32 v20, 24, v23
	v_bfe_u32 v23, v23, 16, 8
	v_lshlrev_b32_e32 v30, 2, v24
	s_waitcnt vmcnt(5)
	v_and_b32_e32 v33, 0xff, v25
	s_waitcnt vmcnt(4)
	v_lshlrev_b32_e32 v34, 8, v26
	v_lshrrev_b32_e32 v31, 1, v24
	v_lshrrev_b32_e32 v32, 24, v25
	v_bfe_u32 v35, v25, 8, 8
	v_lshlrev_b32_e32 v36, 5, v26
	v_bfe_u32 v25, v25, 16, 8
	v_lshlrev_b32_e32 v37, 2, v26
	v_lshrrev_b32_e32 v38, 1, v26
	v_and_or_b32 v22, 0x700, v27, v22
	v_and_or_b32 v27, 0x700, v29, v28
	;; [unrolled: 1-line block ×8, first 2 shown]
	v_lshlrev_b32_e32 v22, 2, v22
	v_lshlrev_b32_e32 v27, 2, v27
	;; [unrolled: 1-line block ×8, first 2 shown]
	s_clause 0x7
	global_load_dword v22, v22, s[10:11]
	global_load_dword v27, v27, s[10:11]
	;; [unrolled: 1-line block ×8, first 2 shown]
	global_load_dword v31, v[6:7], off
	v_mov_b32_e32 v32, 0
	v_mov_b32_e32 v33, 0
	v_lshrrev_b32_e32 v35, 11, v24
	v_and_b32_e32 v24, 0x8000, v24
	v_lshrrev_b32_e32 v36, 11, v26
	v_and_b32_e32 v26, 0x8000, v26
	s_waitcnt vmcnt(11)
	v_cvt_f32_f16_sdwa v34, v15 dst_sel:DWORD dst_unused:UNUSED_PAD src0_sel:WORD_1
	v_and_or_b32 v35, v35, 14, 1
	v_cvt_f32_u32_e32 v24, v24
	v_and_or_b32 v36, v36, 14, 1
	v_cvt_f32_u32_e32 v26, v26
	s_waitcnt vmcnt(9)
	v_cvt_f32_f16_e32 v19, v19
	v_cvt_f32_f16_e32 v21, v21
	v_fmaak_f32 v24, s5, v24, 0xbf600000
	v_cvt_f32_ubyte0_e32 v35, v35
	v_add_co_u32 v6, vcc_lo, 0x480, v6
	v_add_co_ci_u32_e64 v7, null, 0, v7, vcc_lo
	s_waitcnt vmcnt(8)
	v_and_b32_e32 v37, 0xf0f0f0f, v22
	v_lshrrev_b32_e32 v22, 4, v22
	s_waitcnt vmcnt(7)
	v_and_b32_e32 v38, 0xf0f0f0f, v27
	s_waitcnt vmcnt(5)
	v_lshrrev_b32_e32 v41, 4, v28
	v_and_b32_e32 v28, 0xf0f0f0f, v28
	v_dot4c_i32_i8 v32, v37, v16
	v_and_b32_e32 v22, 0xf0f0f0f, v22
	v_lshrrev_b32_e32 v27, 4, v27
	v_and_b32_e32 v37, 0xf0f0f0f, v41
	v_dot4c_i32_i8 v33, v28, v16
	s_waitcnt vmcnt(4)
	v_and_b32_e32 v16, 0xf0f0f0f, v29
	v_lshrrev_b32_e32 v28, 4, v29
	v_dot4c_i32_i8 v32, v22, v17
	v_and_b32_e32 v39, 0xf0f0f0f, v23
	v_dot4c_i32_i8 v33, v37, v17
	v_and_b32_e32 v17, 0xf0f0f0f, v27
	v_and_b32_e32 v22, 0xf0f0f0f, v28
	v_dot4c_i32_i8 v32, v38, v18
	v_lshrrev_b32_e32 v23, 4, v23
	v_dot4c_i32_i8 v33, v16, v18
	s_waitcnt vmcnt(3)
	v_and_b32_e32 v16, 0xf0f0f0f, v25
	v_lshrrev_b32_e32 v18, 4, v25
	v_dot4c_i32_i8 v32, v17, v11
	s_waitcnt vmcnt(2)
	v_and_b32_e32 v40, 0xf0f0f0f, v20
	v_dot4c_i32_i8 v33, v22, v11
	v_and_b32_e32 v11, 0xf0f0f0f, v23
	v_and_b32_e32 v17, 0xf0f0f0f, v18
	v_dot4c_i32_i8 v32, v39, v12
	v_lshrrev_b32_e32 v20, 4, v20
	v_dot4c_i32_i8 v33, v16, v12
	s_waitcnt vmcnt(1)
	v_and_b32_e32 v12, 0xf0f0f0f, v30
	v_lshrrev_b32_e32 v16, 4, v30
	v_dot4c_i32_i8 v32, v11, v13
	v_and_b32_e32 v11, 0xf0f0f0f, v20
	v_dot4c_i32_i8 v33, v17, v13
	v_mul_f32_e32 v17, v35, v19
	v_and_b32_e32 v13, 0xf0f0f0f, v16
	v_dot4c_i32_i8 v32, v40, v14
	v_dot4c_i32_i8 v33, v12, v14
	v_fmaak_f32 v14, s5, v26, 0xbf600000
	v_cvt_f32_ubyte0_e32 v12, v36
	s_waitcnt vmcnt(0)
	v_dot4c_i32_i8 v32, v11, v31
	v_mul_f32_e32 v11, v24, v34
	v_dot4c_i32_i8 v33, v13, v31
	v_mul_f32_e32 v13, v14, v34
	v_mul_f32_e32 v12, v12, v21
	v_cvt_f32_i32_e32 v14, v32
	v_cvt_f32_i32_e32 v16, v33
	v_fma_mix_f32 v11, v14, v15, v11 op_sel_hi:[0,1,0]
	v_fma_mix_f32 v13, v16, v15, v13 op_sel_hi:[0,1,0]
	v_fmac_f32_e32 v3, v17, v11
	v_fmac_f32_e32 v2, v12, v13
	s_andn2_b32 exec_lo, exec_lo, s4
	s_cbranch_execnz .LBB204_3
; %bb.4:
	s_or_b32 exec_lo, exec_lo, s4
.LBB204_5:
	s_or_b32 exec_lo, exec_lo, s6
	v_mbcnt_lo_u32_b32 v4, -1, 0
	v_xor_b32_e32 v5, 16, v4
	v_xor_b32_e32 v7, 8, v4
	v_cmp_gt_i32_e32 vcc_lo, 32, v5
	v_cndmask_b32_e32 v5, v4, v5, vcc_lo
	v_cmp_gt_i32_e32 vcc_lo, 32, v7
	v_lshlrev_b32_e32 v5, 2, v5
	v_cndmask_b32_e32 v7, v4, v7, vcc_lo
	ds_bpermute_b32 v6, v5, v3
	ds_bpermute_b32 v5, v5, v2
	v_lshlrev_b32_e32 v7, 2, v7
	s_waitcnt lgkmcnt(1)
	v_add_f32_e32 v3, v3, v6
	s_waitcnt lgkmcnt(0)
	v_add_f32_e32 v2, v2, v5
	ds_bpermute_b32 v5, v7, v3
	ds_bpermute_b32 v6, v7, v2
	v_xor_b32_e32 v7, 4, v4
	v_cmp_gt_i32_e32 vcc_lo, 32, v7
	v_cndmask_b32_e32 v7, v4, v7, vcc_lo
	v_lshlrev_b32_e32 v7, 2, v7
	s_waitcnt lgkmcnt(1)
	v_add_f32_e32 v3, v3, v5
	s_waitcnt lgkmcnt(0)
	v_add_f32_e32 v2, v2, v6
	ds_bpermute_b32 v5, v7, v3
	ds_bpermute_b32 v6, v7, v2
	v_xor_b32_e32 v7, 2, v4
	v_cmp_gt_i32_e32 vcc_lo, 32, v7
	v_cndmask_b32_e32 v7, v4, v7, vcc_lo
	;; [unrolled: 10-line block ×3, first 2 shown]
	v_cmp_gt_u32_e32 vcc_lo, 2, v0
	v_lshlrev_b32_e32 v7, 2, v4
	s_waitcnt lgkmcnt(1)
	v_add_f32_e32 v2, v3, v2
	s_waitcnt lgkmcnt(0)
	v_add_f32_e32 v3, v5, v6
	v_add_nc_u32_e32 v6, s1, v0
	ds_bpermute_b32 v4, v7, v2
	ds_bpermute_b32 v5, v7, v3
	v_cmp_gt_u32_e64 s0, s16, v6
	s_and_b32 s0, vcc_lo, s0
	s_and_b32 exec_lo, exec_lo, s0
	s_cbranch_execz .LBB204_7
; %bb.6:
	v_mul_lo_u32 v1, s19, v1
	v_or_b32_e32 v6, s1, v0
	s_mul_i32 s0, s22, s2
	v_mov_b32_e32 v7, 0
	s_waitcnt lgkmcnt(1)
	v_add_f32_e32 v4, v2, v4
	s_waitcnt lgkmcnt(0)
	v_add_f32_e32 v3, v3, v5
	v_cmp_eq_u32_e32 vcc_lo, 1, v0
	v_add3_u32 v6, v6, v1, s0
	v_cndmask_b32_e32 v3, v4, v3, vcc_lo
	v_lshlrev_b64 v[1:2], 2, v[6:7]
	v_add_co_u32 v0, vcc_lo, s14, v1
	v_add_co_ci_u32_e64 v1, null, s15, v2, vcc_lo
	global_store_dword v[0:1], v3, off
.LBB204_7:
	s_endpgm
	.section	.rodata,"a",@progbits
	.p2align	6, 0x0
	.amdhsa_kernel _ZL17mul_mat_vec_q_moeIL9ggml_type19ELi2EEvPKvS2_PKiPfj15HIP_vector_typeIjLj3EEjjjjjjjjj
		.amdhsa_group_segment_fixed_size 0
		.amdhsa_private_segment_fixed_size 0
		.amdhsa_kernarg_size 84
		.amdhsa_user_sgpr_count 6
		.amdhsa_user_sgpr_private_segment_buffer 1
		.amdhsa_user_sgpr_dispatch_ptr 0
		.amdhsa_user_sgpr_queue_ptr 0
		.amdhsa_user_sgpr_kernarg_segment_ptr 1
		.amdhsa_user_sgpr_dispatch_id 0
		.amdhsa_user_sgpr_flat_scratch_init 0
		.amdhsa_user_sgpr_private_segment_size 0
		.amdhsa_wavefront_size32 1
		.amdhsa_uses_dynamic_stack 0
		.amdhsa_system_sgpr_private_segment_wavefront_offset 0
		.amdhsa_system_sgpr_workgroup_id_x 1
		.amdhsa_system_sgpr_workgroup_id_y 1
		.amdhsa_system_sgpr_workgroup_id_z 0
		.amdhsa_system_sgpr_workgroup_info 0
		.amdhsa_system_vgpr_workitem_id 1
		.amdhsa_next_free_vgpr 42
		.amdhsa_next_free_sgpr 28
		.amdhsa_reserve_vcc 1
		.amdhsa_reserve_flat_scratch 0
		.amdhsa_float_round_mode_32 0
		.amdhsa_float_round_mode_16_64 0
		.amdhsa_float_denorm_mode_32 3
		.amdhsa_float_denorm_mode_16_64 3
		.amdhsa_dx10_clamp 1
		.amdhsa_ieee_mode 1
		.amdhsa_fp16_overflow 0
		.amdhsa_workgroup_processor_mode 1
		.amdhsa_memory_ordered 1
		.amdhsa_forward_progress 1
		.amdhsa_shared_vgpr_count 0
		.amdhsa_exception_fp_ieee_invalid_op 0
		.amdhsa_exception_fp_denorm_src 0
		.amdhsa_exception_fp_ieee_div_zero 0
		.amdhsa_exception_fp_ieee_overflow 0
		.amdhsa_exception_fp_ieee_underflow 0
		.amdhsa_exception_fp_ieee_inexact 0
		.amdhsa_exception_int_div_zero 0
	.end_amdhsa_kernel
	.section	.text._ZL17mul_mat_vec_q_moeIL9ggml_type19ELi2EEvPKvS2_PKiPfj15HIP_vector_typeIjLj3EEjjjjjjjjj,"axG",@progbits,_ZL17mul_mat_vec_q_moeIL9ggml_type19ELi2EEvPKvS2_PKiPfj15HIP_vector_typeIjLj3EEjjjjjjjjj,comdat
.Lfunc_end204:
	.size	_ZL17mul_mat_vec_q_moeIL9ggml_type19ELi2EEvPKvS2_PKiPfj15HIP_vector_typeIjLj3EEjjjjjjjjj, .Lfunc_end204-_ZL17mul_mat_vec_q_moeIL9ggml_type19ELi2EEvPKvS2_PKiPfj15HIP_vector_typeIjLj3EEjjjjjjjjj
                                        ; -- End function
	.set _ZL17mul_mat_vec_q_moeIL9ggml_type19ELi2EEvPKvS2_PKiPfj15HIP_vector_typeIjLj3EEjjjjjjjjj.num_vgpr, 42
	.set _ZL17mul_mat_vec_q_moeIL9ggml_type19ELi2EEvPKvS2_PKiPfj15HIP_vector_typeIjLj3EEjjjjjjjjj.num_agpr, 0
	.set _ZL17mul_mat_vec_q_moeIL9ggml_type19ELi2EEvPKvS2_PKiPfj15HIP_vector_typeIjLj3EEjjjjjjjjj.numbered_sgpr, 28
	.set _ZL17mul_mat_vec_q_moeIL9ggml_type19ELi2EEvPKvS2_PKiPfj15HIP_vector_typeIjLj3EEjjjjjjjjj.num_named_barrier, 0
	.set _ZL17mul_mat_vec_q_moeIL9ggml_type19ELi2EEvPKvS2_PKiPfj15HIP_vector_typeIjLj3EEjjjjjjjjj.private_seg_size, 0
	.set _ZL17mul_mat_vec_q_moeIL9ggml_type19ELi2EEvPKvS2_PKiPfj15HIP_vector_typeIjLj3EEjjjjjjjjj.uses_vcc, 1
	.set _ZL17mul_mat_vec_q_moeIL9ggml_type19ELi2EEvPKvS2_PKiPfj15HIP_vector_typeIjLj3EEjjjjjjjjj.uses_flat_scratch, 0
	.set _ZL17mul_mat_vec_q_moeIL9ggml_type19ELi2EEvPKvS2_PKiPfj15HIP_vector_typeIjLj3EEjjjjjjjjj.has_dyn_sized_stack, 0
	.set _ZL17mul_mat_vec_q_moeIL9ggml_type19ELi2EEvPKvS2_PKiPfj15HIP_vector_typeIjLj3EEjjjjjjjjj.has_recursion, 0
	.set _ZL17mul_mat_vec_q_moeIL9ggml_type19ELi2EEvPKvS2_PKiPfj15HIP_vector_typeIjLj3EEjjjjjjjjj.has_indirect_call, 0
	.section	.AMDGPU.csdata,"",@progbits
; Kernel info:
; codeLenInByte = 1624
; TotalNumSgprs: 30
; NumVgprs: 42
; ScratchSize: 0
; MemoryBound: 0
; FloatMode: 240
; IeeeMode: 1
; LDSByteSize: 0 bytes/workgroup (compile time only)
; SGPRBlocks: 0
; VGPRBlocks: 5
; NumSGPRsForWavesPerEU: 30
; NumVGPRsForWavesPerEU: 42
; Occupancy: 16
; WaveLimiterHint : 1
; COMPUTE_PGM_RSRC2:SCRATCH_EN: 0
; COMPUTE_PGM_RSRC2:USER_SGPR: 6
; COMPUTE_PGM_RSRC2:TRAP_HANDLER: 0
; COMPUTE_PGM_RSRC2:TGID_X_EN: 1
; COMPUTE_PGM_RSRC2:TGID_Y_EN: 1
; COMPUTE_PGM_RSRC2:TGID_Z_EN: 0
; COMPUTE_PGM_RSRC2:TIDIG_COMP_CNT: 1
	.section	.text._ZL13mul_mat_vec_qIL9ggml_type19ELi1ELb1ELb1EEvPKvS2_PKi31ggml_cuda_mm_fusion_args_devicePfj15HIP_vector_typeIjLj3EEjjjS8_jjjS8_jjjj,"axG",@progbits,_ZL13mul_mat_vec_qIL9ggml_type19ELi1ELb1ELb1EEvPKvS2_PKi31ggml_cuda_mm_fusion_args_devicePfj15HIP_vector_typeIjLj3EEjjjS8_jjjS8_jjjj,comdat
	.globl	_ZL13mul_mat_vec_qIL9ggml_type19ELi1ELb1ELb1EEvPKvS2_PKi31ggml_cuda_mm_fusion_args_devicePfj15HIP_vector_typeIjLj3EEjjjS8_jjjS8_jjjj ; -- Begin function _ZL13mul_mat_vec_qIL9ggml_type19ELi1ELb1ELb1EEvPKvS2_PKi31ggml_cuda_mm_fusion_args_devicePfj15HIP_vector_typeIjLj3EEjjjS8_jjjS8_jjjj
	.p2align	8
	.type	_ZL13mul_mat_vec_qIL9ggml_type19ELi1ELb1ELb1EEvPKvS2_PKi31ggml_cuda_mm_fusion_args_devicePfj15HIP_vector_typeIjLj3EEjjjS8_jjjS8_jjjj,@function
_ZL13mul_mat_vec_qIL9ggml_type19ELi1ELb1ELb1EEvPKvS2_PKi31ggml_cuda_mm_fusion_args_devicePfj15HIP_vector_typeIjLj3EEjjjS8_jjjS8_jjjj: ; @_ZL13mul_mat_vec_qIL9ggml_type19ELi1ELb1ELb1EEvPKvS2_PKi31ggml_cuda_mm_fusion_args_devicePfj15HIP_vector_typeIjLj3EEjjjS8_jjjS8_jjjj
; %bb.0:
	s_clause 0x3
	s_load_dwordx8 s[12:19], s[4:5], 0x0
	s_load_dwordx4 s[28:31], s[4:5], 0x20
	s_load_dwordx4 s[36:39], s[4:5], 0x40
	;; [unrolled: 1-line block ×3, first 2 shown]
	s_mov_b32 s10, s7
	s_waitcnt lgkmcnt(0)
	s_cmp_lg_u64 s[16:17], 0
	s_cselect_b32 s0, -1, 0
	s_cmp_eq_u64 s[16:17], 0
	s_cbranch_scc1 .LBB205_5
; %bb.1:
	s_mov_b32 s11, 0
	s_lshl_b64 s[2:3], s[10:11], 2
	s_add_u32 s2, s16, s2
	s_addc_u32 s3, s17, s3
	s_load_dword s33, s[2:3], 0x0
	s_clause 0x1
	s_load_dword s35, s[4:5], 0x50
	s_load_dword s34, s[4:5], 0x78
	s_cbranch_execnz .LBB205_3
.LBB205_2:
	s_load_dwordx2 s[2:3], s[4:5], 0x5c
	s_waitcnt lgkmcnt(0)
	s_mul_hi_u32 s1, s2, s10
	s_add_i32 s1, s10, s1
	s_lshr_b32 s33, s1, s3
.LBB205_3:
	s_andn2_b32 vcc_lo, exec_lo, s0
	s_cbranch_vccnz .LBB205_6
; %bb.4:
	s_mul_hi_u32 s0, s37, s10
	s_waitcnt lgkmcnt(0)
	s_mov_b32 s1, s33
	s_add_i32 s0, s10, s0
	s_lshr_b32 s0, s0, s38
	s_mul_i32 s0, s0, s39
	s_sub_i32 s37, s10, s0
	s_branch .LBB205_7
.LBB205_5:
                                        ; implicit-def: $sgpr33
	s_clause 0x1
	s_load_dword s35, s[4:5], 0x50
	s_load_dword s34, s[4:5], 0x78
	s_branch .LBB205_2
.LBB205_6:
	s_mov_b32 s1, s10
	s_mov_b32 s37, s10
.LBB205_7:
	s_load_dwordx4 s[24:27], s[4:5], 0x80
	v_or_b32_e32 v2, v0, v1
	s_cmp_lg_u64 s[18:19], 0
	v_mov_b32_e32 v12, 0
	v_mov_b32_e32 v13, 0
	s_cselect_b32 s0, -1, 0
	v_cmp_eq_u32_e32 vcc_lo, 0, v2
	s_mov_b32 s17, 0
	s_mul_i32 s2, s1, s22
	s_and_b32 s3, s0, vcc_lo
	s_and_saveexec_b32 s1, s3
	s_cbranch_execz .LBB205_9
; %bb.8:
	s_waitcnt lgkmcnt(0)
	s_mul_i32 s16, s26, s8
	s_mov_b32 s3, s17
	s_lshl_b64 s[38:39], s[16:17], 2
	v_lshlrev_b32_e32 v2, 2, v0
	s_add_u32 s7, s18, s38
	s_addc_u32 s9, s19, s39
	s_lshl_b64 s[16:17], s[2:3], 2
	s_add_u32 s3, s7, s16
	s_addc_u32 s9, s9, s17
	s_ashr_i32 s7, s6, 31
	s_lshl_b64 s[16:17], s[6:7], 2
	s_add_u32 s16, s3, s16
	s_addc_u32 s17, s9, s17
	global_load_dword v13, v2, s[16:17]
.LBB205_9:
	s_or_b32 exec_lo, exec_lo, s1
	s_cmp_lg_u64 s[28:29], 0
	s_cselect_b32 s9, -1, 0
	s_cmp_lg_u64 s[30:31], 0
	s_cselect_b32 s1, -1, 0
	s_and_b32 s3, s1, s9
	s_and_b32 s3, s3, vcc_lo
	s_and_saveexec_b32 s11, s3
	s_cbranch_execz .LBB205_11
; %bb.10:
	s_waitcnt lgkmcnt(0)
	s_mul_i32 s16, s26, s8
	s_mov_b32 s17, 0
	v_lshlrev_b32_e32 v2, 2, v0
	s_lshl_b64 s[18:19], s[16:17], 2
	s_mov_b32 s3, s17
	s_add_u32 s7, s30, s18
	s_addc_u32 s16, s31, s19
	s_lshl_b64 s[2:3], s[2:3], 2
	s_add_u32 s17, s7, s2
	s_addc_u32 s16, s16, s3
	s_ashr_i32 s7, s6, 31
	s_lshl_b64 s[2:3], s[6:7], 2
	s_add_u32 s2, s17, s2
	s_addc_u32 s3, s16, s3
	global_load_dword v12, v2, s[2:3]
.LBB205_11:
	s_or_b32 exec_lo, exec_lo, s11
	v_lshl_or_b32 v2, v1, 5, v0
	v_mov_b32_e32 v16, 0
	v_cndmask_b32_e64 v14, 0, 1, s9
	v_mov_b32_e32 v15, 0
	s_lshr_b32 s7, s36, 8
	v_lshrrev_b32_e32 v17, 3, v2
	s_mov_b32 s11, exec_lo
	v_cmpx_gt_u32_e64 s7, v17
	s_cbranch_execz .LBB205_17
; %bb.12:
	v_lshrrev_b32_e32 v2, 3, v2
	s_mul_i32 s2, s37, s21
	v_and_b32_e32 v4, 7, v0
	s_mul_hi_u32 s3, s2, 36
	s_mul_i32 s2, s2, 36
	s_waitcnt lgkmcnt(0)
	s_mul_i32 s35, s35, s6
	v_mad_u64_u32 v[2:3], null, 0x120, v2, s[2:3]
	s_mul_i32 s2, s25, s8
	v_lshlrev_b32_e32 v5, 1, v4
	v_mov_b32_e32 v16, 0
	v_lshlrev_b32_e32 v18, 1, v4
	v_mov_b32_e32 v15, 0
	s_mul_i32 s3, s33, s20
	v_mad_u64_u32 v[2:3], null, s2, 36, v[2:3]
	s_mul_hi_u32 s2, s23, s8
	v_lshlrev_b32_e32 v19, 1, v5
	s_add_i32 s2, s8, s2
	s_mov_b32 s16, 0xb7000000
	s_lshr_b32 s2, s2, s34
	v_mad_u64_u32 v[2:3], null, v4, 36, v[2:3]
	s_mul_i32 s2, s2, s24
	s_add_i32 s2, s2, s35
	v_add_co_u32 v2, vcc_lo, s14, v2
	v_add_co_ci_u32_e64 v3, null, s15, v3, vcc_lo
	s_add_i32 s15, s3, s2
	v_add_co_u32 v10, vcc_lo, v2, 32
	v_add_co_ci_u32_e64 v11, null, 0, v3, vcc_lo
	s_mov_b32 s14, 0
	s_branch .LBB205_14
.LBB205_13:                             ;   in Loop: Header=BB205_14 Depth=1
	s_waitcnt vmcnt(3)
	v_and_b32_e32 v28, 0xf0f0f0f, v27
	v_lshrrev_b32_e32 v27, 4, v27
	v_mov_b32_e32 v29, 0
	v_add_nc_u32_e32 v17, 4, v17
	v_add_co_u32 v10, s2, 0x480, v10
	v_and_b32_e32 v27, 0xf0f0f0f, v27
	v_dot4c_i32_i8 v29, v28, v7
	s_waitcnt vmcnt(2)
	v_and_b32_e32 v7, 0xf0f0f0f, v26
	v_lshrrev_b32_e32 v26, 4, v26
	v_cmp_le_u32_e32 vcc_lo, s7, v17
	v_add_co_ci_u32_e64 v11, null, 0, v11, s2
	v_dot4c_i32_i8 v29, v27, v8
	v_and_b32_e32 v8, 0xf0f0f0f, v26
	s_or_b32 s14, vcc_lo, s14
	v_dot4c_i32_i8 v29, v7, v9
	s_waitcnt vmcnt(1)
	v_and_b32_e32 v7, 0xf0f0f0f, v25
	v_lshrrev_b32_e32 v9, 4, v25
	v_dot4c_i32_i8 v29, v8, v2
	v_and_b32_e32 v8, 0x8000, v20
	v_and_b32_e32 v2, 0xf0f0f0f, v9
	v_dot4c_i32_i8 v29, v7, v3
	s_waitcnt vmcnt(0)
	v_and_b32_e32 v3, 0xf0f0f0f, v24
	v_lshrrev_b32_e32 v7, 4, v24
	v_dot4c_i32_i8 v29, v2, v4
	v_lshrrev_b32_e32 v2, 11, v20
	v_and_b32_e32 v4, 0xf0f0f0f, v7
	v_cvt_f32_u32_e32 v7, v8
	v_dot4c_i32_i8 v29, v3, v5
	v_and_or_b32 v2, v2, 14, 1
	v_fmaak_f32 v3, s16, v7, 0xbf600000
	v_dot4c_i32_i8 v29, v4, v23
	v_cvt_f32_f16_e32 v4, v21
	v_cvt_f32_ubyte0_e32 v2, v2
	v_mul_f32_e32 v3, v3, v6
	v_cvt_f32_i32_e32 v5, v29
	v_mul_f32_e32 v2, v2, v4
	v_fmac_f32_e32 v3, v5, v22
	v_fmac_f32_e32 v16, v2, v3
	s_andn2_b32 exec_lo, exec_lo, s14
	s_cbranch_execz .LBB205_16
.LBB205_14:                             ; =>This Inner Loop Header: Depth=1
	v_add_nc_u32_e32 v28, s15, v17
	s_getpc_b64 s[2:3]
	s_add_u32 s2, s2, _ZL13iq1s_grid_gpu@rel32@lo+4
	s_addc_u32 s3, s3, _ZL13iq1s_grid_gpu@rel32@hi+12
	v_mad_i64_i32 v[2:3], null, v28, 50, s[12:13]
	v_add_co_u32 v4, vcc_lo, v2, v19
	v_add_co_ci_u32_e64 v5, null, 0, v3, vcc_lo
	v_add_co_u32 v6, vcc_lo, v2, v18
	v_add_co_ci_u32_e64 v7, null, 0, v3, vcc_lo
	s_clause 0x2
	global_load_dword v4, v[4:5], off offset:2
	global_load_ushort v20, v[6:7], off offset:34
	global_load_ushort v21, v[2:3], off
	s_andn2_b32 vcc_lo, exec_lo, s9
	s_waitcnt vmcnt(2)
	v_and_b32_e32 v3, 0xff, v4
	s_waitcnt vmcnt(1)
	v_lshlrev_b32_e32 v5, 8, v20
	v_bfe_u32 v6, v4, 8, 8
	v_lshlrev_b32_e32 v7, 5, v20
	v_lshrrev_b32_e32 v2, 24, v4
	v_bfe_u32 v4, v4, 16, 8
	v_lshlrev_b32_e32 v8, 2, v20
	v_lshrrev_b32_e32 v9, 1, v20
	v_and_or_b32 v22, 0x700, v5, v3
	v_and_or_b32 v23, 0x700, v7, v6
	;; [unrolled: 1-line block ×4, first 2 shown]
	v_lshlrev_b32_e32 v22, 2, v22
	v_lshlrev_b32_e32 v26, 2, v23
	s_clause 0x1
	global_load_dwordx4 v[6:9], v[10:11], off offset:-32
	global_load_dwordx4 v[2:5], v[10:11], off offset:-16
	v_lshlrev_b32_e32 v24, 2, v24
	v_lshlrev_b32_e32 v29, 2, v25
	global_load_dword v23, v[10:11], off
	s_clause 0x3
	global_load_dword v27, v22, s[2:3]
	global_load_dword v26, v26, s[2:3]
	;; [unrolled: 1-line block ×4, first 2 shown]
	s_waitcnt vmcnt(6)
	v_cvt_f32_f16_e32 v22, v6
	v_cvt_f32_f16_sdwa v6, v6 dst_sel:DWORD dst_unused:UNUSED_PAD src0_sel:WORD_1
	s_cbranch_vccnz .LBB205_13
; %bb.15:                               ;   in Loop: Header=BB205_14 Depth=1
	v_mad_i64_i32 v[28:29], null, v28, 50, s[28:29]
	v_add_co_u32 v30, vcc_lo, v28, v19
	v_add_co_ci_u32_e64 v31, null, 0, v29, vcc_lo
	v_add_co_u32 v32, vcc_lo, v28, v18
	v_add_co_ci_u32_e64 v33, null, 0, v29, vcc_lo
	s_clause 0x2
	global_load_dword v30, v[30:31], off offset:2
	global_load_ushort v31, v[32:33], off offset:34
	global_load_ushort v28, v[28:29], off
	s_waitcnt vmcnt(2)
	v_and_b32_e32 v29, 0xff, v30
	s_waitcnt vmcnt(1)
	v_lshlrev_b32_e32 v32, 8, v31
	v_lshlrev_b32_e32 v33, 5, v31
	v_lshlrev_b32_e32 v34, 2, v31
	s_waitcnt vmcnt(0)
	v_cvt_f32_f16_e32 v28, v28
	v_and_or_b32 v29, 0x700, v32, v29
	v_bfe_u32 v32, v30, 8, 8
	v_lshlrev_b32_e32 v29, 2, v29
	v_and_or_b32 v32, 0x700, v33, v32
	v_bfe_u32 v33, v30, 16, 8
	v_lshrrev_b32_e32 v30, 24, v30
	global_load_dword v29, v29, s[2:3]
	v_lshlrev_b32_e32 v32, 2, v32
	v_and_or_b32 v33, 0x700, v34, v33
	v_lshrrev_b32_e32 v34, 1, v31
	global_load_dword v32, v32, s[2:3]
	v_lshlrev_b32_e32 v33, 2, v33
	v_and_or_b32 v30, 0x700, v34, v30
	v_mov_b32_e32 v34, 0
	global_load_dword v33, v33, s[2:3]
	v_lshlrev_b32_e32 v30, 2, v30
	global_load_dword v30, v30, s[2:3]
	s_waitcnt vmcnt(3)
	v_lshrrev_b32_e32 v35, 4, v29
	v_and_b32_e32 v29, 0xf0f0f0f, v29
	v_and_b32_e32 v35, 0xf0f0f0f, v35
	v_dot4c_i32_i8 v34, v29, v7
	s_waitcnt vmcnt(2)
	v_and_b32_e32 v29, 0xf0f0f0f, v32
	v_lshrrev_b32_e32 v32, 4, v32
	v_dot4c_i32_i8 v34, v35, v8
	v_and_b32_e32 v32, 0xf0f0f0f, v32
	v_dot4c_i32_i8 v34, v29, v9
	s_waitcnt vmcnt(1)
	v_and_b32_e32 v29, 0xf0f0f0f, v33
	v_lshrrev_b32_e32 v33, 4, v33
	v_dot4c_i32_i8 v34, v32, v2
	v_and_b32_e32 v32, 0xf0f0f0f, v33
	v_dot4c_i32_i8 v34, v29, v3
	s_waitcnt vmcnt(0)
	v_lshrrev_b32_e32 v29, 4, v30
	v_and_b32_e32 v30, 0xf0f0f0f, v30
	v_dot4c_i32_i8 v34, v32, v4
	v_and_b32_e32 v29, 0xf0f0f0f, v29
	v_dot4c_i32_i8 v34, v30, v5
	v_lshrrev_b32_e32 v30, 11, v31
	v_and_b32_e32 v31, 0x8000, v31
	v_dot4c_i32_i8 v34, v29, v23
	v_and_or_b32 v29, v30, 14, 1
	v_cvt_f32_u32_e32 v30, v31
	v_cvt_f32_i32_e32 v31, v34
	v_cvt_f32_ubyte0_e32 v29, v29
	v_fmaak_f32 v30, s16, v30, 0xbf600000
	v_mul_f32_e32 v31, v22, v31
	v_mul_f32_e32 v28, v29, v28
	v_fmac_f32_e32 v31, v30, v6
	v_fmac_f32_e32 v15, v28, v31
	s_branch .LBB205_13
.LBB205_16:
	s_or_b32 exec_lo, exec_lo, s14
.LBB205_17:
	s_or_b32 exec_lo, exec_lo, s11
	s_load_dword s2, s[4:5], 0x30
	s_waitcnt vmcnt(0) lgkmcnt(0)
	; wave barrier
	buffer_gl0_inv
	s_mov_b32 s3, exec_lo
	v_cmpx_eq_u32_e32 0, v1
	s_cbranch_execz .LBB205_44
; %bb.18:
	v_mbcnt_lo_u32_b32 v2, -1, 0
	v_xor_b32_e32 v1, 16, v2
	v_xor_b32_e32 v4, 8, v2
	;; [unrolled: 1-line block ×3, first 2 shown]
	v_cmp_gt_i32_e32 vcc_lo, 32, v1
	v_cndmask_b32_e32 v1, v2, v1, vcc_lo
	v_cmp_gt_i32_e32 vcc_lo, 32, v4
	v_lshlrev_b32_e32 v1, 2, v1
	v_cndmask_b32_e32 v4, v2, v4, vcc_lo
	v_cmp_gt_i32_e32 vcc_lo, 32, v5
	ds_bpermute_b32 v3, v1, v16
	v_lshlrev_b32_e32 v4, 2, v4
	v_cndmask_b32_e32 v5, v2, v5, vcc_lo
	v_lshlrev_b32_e32 v5, 2, v5
	s_waitcnt lgkmcnt(0)
	v_add_f32_e32 v3, v16, v3
	ds_bpermute_b32 v6, v4, v3
	s_waitcnt lgkmcnt(0)
	v_add_f32_e32 v3, v3, v6
	v_xor_b32_e32 v6, 2, v2
	ds_bpermute_b32 v7, v5, v3
	v_cmp_gt_i32_e32 vcc_lo, 32, v6
	v_cndmask_b32_e32 v6, v2, v6, vcc_lo
	v_lshlrev_b32_e32 v6, 2, v6
	s_waitcnt lgkmcnt(0)
	v_add_f32_e32 v3, v3, v7
	v_xor_b32_e32 v7, 1, v2
	ds_bpermute_b32 v8, v6, v3
	v_cmp_gt_i32_e32 vcc_lo, 32, v7
	v_cndmask_b32_e32 v2, v2, v7, vcc_lo
	v_cmp_ne_u32_e32 vcc_lo, 1, v14
	v_lshlrev_b32_e32 v7, 2, v2
	s_waitcnt lgkmcnt(0)
	v_add_f32_e32 v2, v3, v8
	ds_bpermute_b32 v3, v7, v2
	s_cbranch_vccnz .LBB205_20
; %bb.19:
	ds_bpermute_b32 v1, v1, v15
	s_waitcnt lgkmcnt(0)
	v_add_f32_e32 v1, v15, v1
	ds_bpermute_b32 v4, v4, v1
	s_waitcnt lgkmcnt(0)
	v_add_f32_e32 v1, v1, v4
	;; [unrolled: 3-line block ×5, first 2 shown]
.LBB205_20:
	v_cmp_eq_u32_e32 vcc_lo, 0, v0
	s_and_b32 exec_lo, exec_lo, vcc_lo
	s_cbranch_execz .LBB205_44
; %bb.21:
	s_waitcnt lgkmcnt(0)
	v_add_f32_e32 v1, v2, v3
	v_cmp_ne_u32_e32 vcc_lo, 1, v14
	v_add_f32_e32 v2, v13, v1
	v_cndmask_b32_e64 v1, v1, v2, s0
	s_cbranch_vccnz .LBB205_43
; %bb.22:
	v_add_f32_e32 v2, v12, v15
	s_cmp_lt_i32 s2, 2
	s_mov_b32 s0, 0
	v_cndmask_b32_e64 v2, v15, v2, s1
	s_cbranch_scc1 .LBB205_26
; %bb.23:
	s_cmp_gt_i32 s2, 2
	s_cbranch_scc0 .LBB205_27
; %bb.24:
	s_cmp_eq_u32 s2, 3
	s_cbranch_scc0 .LBB205_28
; %bb.25:
	v_max_f32_e32 v3, v2, v2
	s_mov_b32 s1, 0
	v_min_f32_e32 v3, 0x40e00000, v3
	v_mul_f32_e32 v4, 0xbfd9db23, v3
	v_mul_f32_e32 v5, 0x3fb8aa3b, v4
	v_cmp_ngt_f32_e32 vcc_lo, 0xc2ce8ed0, v4
	v_fma_f32 v6, 0x3fb8aa3b, v4, -v5
	v_rndne_f32_e32 v7, v5
	v_fmamk_f32 v6, v4, 0x32a5705f, v6
	v_sub_f32_e32 v5, v5, v7
	v_add_f32_e32 v5, v5, v6
	v_cvt_i32_f32_e32 v6, v7
	v_exp_f32_e32 v5, v5
	v_ldexp_f32 v5, v5, v6
	v_cndmask_b32_e32 v5, 0, v5, vcc_lo
	v_cmp_nlt_f32_e32 vcc_lo, 0x42b17218, v4
	v_cndmask_b32_e32 v4, 0x7f800000, v5, vcc_lo
	v_add_f32_e32 v4, 1.0, v4
	v_div_scale_f32 v5, null, v4, v4, v3
	v_div_scale_f32 v8, vcc_lo, v3, v4, v3
	v_rcp_f32_e32 v6, v5
	v_fma_f32 v7, -v5, v6, 1.0
	v_fmac_f32_e32 v6, v7, v6
	v_mul_f32_e32 v7, v8, v6
	v_fma_f32 v9, -v5, v7, v8
	v_fmac_f32_e32 v7, v9, v6
	v_max_f32_e32 v9, v1, v1
	v_fma_f32 v5, -v5, v7, v8
	v_min_f32_e32 v8, 0x40e00000, v9
	v_div_fmas_f32 v5, v5, v6, v7
	v_max_f32_e32 v6, 0xc0e00000, v8
	v_div_fixup_f32 v3, v5, v4, v3
	v_add_f32_e32 v4, 1.0, v6
	v_mul_f32_e32 v3, v4, v3
	s_branch .LBB205_29
.LBB205_26:
	s_mov_b32 s1, 0
                                        ; implicit-def: $vgpr3
	s_cbranch_execnz .LBB205_33
	s_branch .LBB205_34
.LBB205_27:
	s_mov_b32 s3, -1
	s_mov_b32 s1, 0
                                        ; implicit-def: $vgpr3
	s_branch .LBB205_30
.LBB205_28:
	s_mov_b32 s1, -1
                                        ; implicit-def: $vgpr3
.LBB205_29:
	s_mov_b32 s3, 0
.LBB205_30:
	s_and_b32 vcc_lo, exec_lo, s3
	s_cbranch_vccz .LBB205_32
; %bb.31:
	v_mul_f32_e32 v3, 0xbfb8aa3b, v2
	v_cmp_nlt_f32_e32 vcc_lo, 0x42ce8ed0, v2
	v_rndne_f32_e32 v4, v3
	v_fma_f32 v5, 0xbfb8aa3b, v2, -v3
	v_sub_f32_e32 v3, v3, v4
	v_fmamk_f32 v5, v2, 0xb2a5705f, v5
	v_cvt_i32_f32_e32 v4, v4
	v_add_f32_e32 v3, v3, v5
	v_exp_f32_e32 v3, v3
	v_ldexp_f32 v3, v3, v4
	v_cndmask_b32_e32 v3, 0, v3, vcc_lo
	v_cmp_ngt_f32_e32 vcc_lo, 0xc2b17218, v2
	v_cndmask_b32_e32 v3, 0x7f800000, v3, vcc_lo
	v_add_f32_e32 v3, 1.0, v3
	v_div_scale_f32 v4, null, v3, v3, v2
	v_rcp_f32_e32 v5, v4
	v_fma_f32 v6, -v4, v5, 1.0
	v_fmac_f32_e32 v5, v6, v5
	v_div_scale_f32 v6, vcc_lo, v2, v3, v2
	v_mul_f32_e32 v7, v6, v5
	v_fma_f32 v8, -v4, v7, v6
	v_fmac_f32_e32 v7, v8, v5
	v_fma_f32 v4, -v4, v7, v6
	v_div_fmas_f32 v4, v4, v5, v7
	v_div_fixup_f32 v3, v4, v3, v2
	v_mul_f32_e32 v3, v1, v3
.LBB205_32:
	s_branch .LBB205_34
.LBB205_33:
	s_cmp_lg_u32 s2, 1
	s_mov_b32 s0, -1
	s_cselect_b32 s1, -1, 0
.LBB205_34:
	s_andn2_b32 vcc_lo, exec_lo, s1
	s_cbranch_vccz .LBB205_36
; %bb.35:
	s_andn2_b32 vcc_lo, exec_lo, s0
	s_cbranch_vccz .LBB205_37
	s_branch .LBB205_42
.LBB205_36:
	v_mul_f32_e32 v3, v2, v1
	s_cbranch_execnz .LBB205_42
.LBB205_37:
	v_mul_f32_e32 v3, 0x3d372713, v2
	v_mul_f32_e32 v4, 0x3f4c422a, v2
	v_fma_f32 v3, v2, v3, 1.0
	v_mul_f32_e32 v3, v4, v3
                                        ; implicit-def: $vgpr4
	v_cmp_ngt_f32_e64 s0, 0x3f200000, |v3|
	s_and_saveexec_b32 s1, s0
	s_xor_b32 s0, exec_lo, s1
	s_cbranch_execz .LBB205_39
; %bb.38:
	v_add_f32_e64 v4, |v3|, |v3|
	v_mul_f32_e32 v5, 0x3fb8aa3b, v4
	v_cmp_ngt_f32_e32 vcc_lo, 0xc2ce8ed0, v4
	v_rndne_f32_e32 v6, v5
	v_fma_f32 v7, 0x3fb8aa3b, v4, -v5
	v_sub_f32_e32 v5, v5, v6
	v_fmamk_f32 v7, v4, 0x32a5705f, v7
	v_cvt_i32_f32_e32 v6, v6
	v_add_f32_e32 v5, v5, v7
	v_exp_f32_e32 v5, v5
	v_ldexp_f32 v5, v5, v6
	v_cndmask_b32_e32 v5, 0, v5, vcc_lo
	v_cmp_nlt_f32_e32 vcc_lo, 0x42b17218, v4
	v_cndmask_b32_e32 v4, 0x7f800000, v5, vcc_lo
	v_add_f32_e32 v4, 1.0, v4
	v_rcp_f32_e32 v4, v4
	v_fma_f32 v4, v4, -2.0, 1.0
.LBB205_39:
	s_andn2_saveexec_b32 s0, s0
	s_cbranch_execz .LBB205_41
; %bb.40:
	v_mul_f32_e32 v4, v3, v3
	s_mov_b32 s1, 0xbbbac73d
	v_fmaak_f32 v5, s1, v4, 0x3ca908c9
	v_fmaak_f32 v5, v4, v5, 0xbd5c1c4e
	;; [unrolled: 1-line block ×4, first 2 shown]
	v_mul_f32_e64 v5, |v3|, v5
	v_fma_f32 v4, v4, v5, |v3|
.LBB205_41:
	s_or_b32 exec_lo, exec_lo, s0
	v_bfi_b32 v3, 0x7fffffff, v4, v3
	v_mul_f32_e32 v2, 0.5, v2
	v_add_f32_e32 v3, 1.0, v3
	v_mul_f32_e32 v2, v2, v3
	v_mul_f32_e32 v3, v1, v2
.LBB205_42:
	v_mov_b32_e32 v1, v3
.LBB205_43:
	s_load_dwordx2 s[0:1], s[4:5], 0x38
	s_mul_i32 s2, s22, s10
	s_mul_i32 s3, s26, s8
	s_add_i32 s2, s2, s6
	v_lshlrev_b32_e32 v0, 2, v0
	s_add_i32 s2, s2, s3
	s_mov_b32 s3, 0
	s_lshl_b64 s[2:3], s[2:3], 2
	s_waitcnt lgkmcnt(0)
	s_add_u32 s0, s0, s2
	s_addc_u32 s1, s1, s3
	global_store_dword v0, v1, s[0:1]
.LBB205_44:
	s_endpgm
	.section	.rodata,"a",@progbits
	.p2align	6, 0x0
	.amdhsa_kernel _ZL13mul_mat_vec_qIL9ggml_type19ELi1ELb1ELb1EEvPKvS2_PKi31ggml_cuda_mm_fusion_args_devicePfj15HIP_vector_typeIjLj3EEjjjS8_jjjS8_jjjj
		.amdhsa_group_segment_fixed_size 0
		.amdhsa_private_segment_fixed_size 0
		.amdhsa_kernarg_size 144
		.amdhsa_user_sgpr_count 6
		.amdhsa_user_sgpr_private_segment_buffer 1
		.amdhsa_user_sgpr_dispatch_ptr 0
		.amdhsa_user_sgpr_queue_ptr 0
		.amdhsa_user_sgpr_kernarg_segment_ptr 1
		.amdhsa_user_sgpr_dispatch_id 0
		.amdhsa_user_sgpr_flat_scratch_init 0
		.amdhsa_user_sgpr_private_segment_size 0
		.amdhsa_wavefront_size32 1
		.amdhsa_uses_dynamic_stack 0
		.amdhsa_system_sgpr_private_segment_wavefront_offset 0
		.amdhsa_system_sgpr_workgroup_id_x 1
		.amdhsa_system_sgpr_workgroup_id_y 1
		.amdhsa_system_sgpr_workgroup_id_z 1
		.amdhsa_system_sgpr_workgroup_info 0
		.amdhsa_system_vgpr_workitem_id 1
		.amdhsa_next_free_vgpr 36
		.amdhsa_next_free_sgpr 40
		.amdhsa_reserve_vcc 1
		.amdhsa_reserve_flat_scratch 0
		.amdhsa_float_round_mode_32 0
		.amdhsa_float_round_mode_16_64 0
		.amdhsa_float_denorm_mode_32 3
		.amdhsa_float_denorm_mode_16_64 3
		.amdhsa_dx10_clamp 1
		.amdhsa_ieee_mode 1
		.amdhsa_fp16_overflow 0
		.amdhsa_workgroup_processor_mode 1
		.amdhsa_memory_ordered 1
		.amdhsa_forward_progress 1
		.amdhsa_shared_vgpr_count 0
		.amdhsa_exception_fp_ieee_invalid_op 0
		.amdhsa_exception_fp_denorm_src 0
		.amdhsa_exception_fp_ieee_div_zero 0
		.amdhsa_exception_fp_ieee_overflow 0
		.amdhsa_exception_fp_ieee_underflow 0
		.amdhsa_exception_fp_ieee_inexact 0
		.amdhsa_exception_int_div_zero 0
	.end_amdhsa_kernel
	.section	.text._ZL13mul_mat_vec_qIL9ggml_type19ELi1ELb1ELb1EEvPKvS2_PKi31ggml_cuda_mm_fusion_args_devicePfj15HIP_vector_typeIjLj3EEjjjS8_jjjS8_jjjj,"axG",@progbits,_ZL13mul_mat_vec_qIL9ggml_type19ELi1ELb1ELb1EEvPKvS2_PKi31ggml_cuda_mm_fusion_args_devicePfj15HIP_vector_typeIjLj3EEjjjS8_jjjS8_jjjj,comdat
.Lfunc_end205:
	.size	_ZL13mul_mat_vec_qIL9ggml_type19ELi1ELb1ELb1EEvPKvS2_PKi31ggml_cuda_mm_fusion_args_devicePfj15HIP_vector_typeIjLj3EEjjjS8_jjjS8_jjjj, .Lfunc_end205-_ZL13mul_mat_vec_qIL9ggml_type19ELi1ELb1ELb1EEvPKvS2_PKi31ggml_cuda_mm_fusion_args_devicePfj15HIP_vector_typeIjLj3EEjjjS8_jjjS8_jjjj
                                        ; -- End function
	.set _ZL13mul_mat_vec_qIL9ggml_type19ELi1ELb1ELb1EEvPKvS2_PKi31ggml_cuda_mm_fusion_args_devicePfj15HIP_vector_typeIjLj3EEjjjS8_jjjS8_jjjj.num_vgpr, 36
	.set _ZL13mul_mat_vec_qIL9ggml_type19ELi1ELb1ELb1EEvPKvS2_PKi31ggml_cuda_mm_fusion_args_devicePfj15HIP_vector_typeIjLj3EEjjjS8_jjjS8_jjjj.num_agpr, 0
	.set _ZL13mul_mat_vec_qIL9ggml_type19ELi1ELb1ELb1EEvPKvS2_PKi31ggml_cuda_mm_fusion_args_devicePfj15HIP_vector_typeIjLj3EEjjjS8_jjjS8_jjjj.numbered_sgpr, 40
	.set _ZL13mul_mat_vec_qIL9ggml_type19ELi1ELb1ELb1EEvPKvS2_PKi31ggml_cuda_mm_fusion_args_devicePfj15HIP_vector_typeIjLj3EEjjjS8_jjjS8_jjjj.num_named_barrier, 0
	.set _ZL13mul_mat_vec_qIL9ggml_type19ELi1ELb1ELb1EEvPKvS2_PKi31ggml_cuda_mm_fusion_args_devicePfj15HIP_vector_typeIjLj3EEjjjS8_jjjS8_jjjj.private_seg_size, 0
	.set _ZL13mul_mat_vec_qIL9ggml_type19ELi1ELb1ELb1EEvPKvS2_PKi31ggml_cuda_mm_fusion_args_devicePfj15HIP_vector_typeIjLj3EEjjjS8_jjjS8_jjjj.uses_vcc, 1
	.set _ZL13mul_mat_vec_qIL9ggml_type19ELi1ELb1ELb1EEvPKvS2_PKi31ggml_cuda_mm_fusion_args_devicePfj15HIP_vector_typeIjLj3EEjjjS8_jjjS8_jjjj.uses_flat_scratch, 0
	.set _ZL13mul_mat_vec_qIL9ggml_type19ELi1ELb1ELb1EEvPKvS2_PKi31ggml_cuda_mm_fusion_args_devicePfj15HIP_vector_typeIjLj3EEjjjS8_jjjS8_jjjj.has_dyn_sized_stack, 0
	.set _ZL13mul_mat_vec_qIL9ggml_type19ELi1ELb1ELb1EEvPKvS2_PKi31ggml_cuda_mm_fusion_args_devicePfj15HIP_vector_typeIjLj3EEjjjS8_jjjS8_jjjj.has_recursion, 0
	.set _ZL13mul_mat_vec_qIL9ggml_type19ELi1ELb1ELb1EEvPKvS2_PKi31ggml_cuda_mm_fusion_args_devicePfj15HIP_vector_typeIjLj3EEjjjS8_jjjS8_jjjj.has_indirect_call, 0
	.section	.AMDGPU.csdata,"",@progbits
; Kernel info:
; codeLenInByte = 2732
; TotalNumSgprs: 42
; NumVgprs: 36
; ScratchSize: 0
; MemoryBound: 0
; FloatMode: 240
; IeeeMode: 1
; LDSByteSize: 0 bytes/workgroup (compile time only)
; SGPRBlocks: 0
; VGPRBlocks: 4
; NumSGPRsForWavesPerEU: 42
; NumVGPRsForWavesPerEU: 36
; Occupancy: 16
; WaveLimiterHint : 0
; COMPUTE_PGM_RSRC2:SCRATCH_EN: 0
; COMPUTE_PGM_RSRC2:USER_SGPR: 6
; COMPUTE_PGM_RSRC2:TRAP_HANDLER: 0
; COMPUTE_PGM_RSRC2:TGID_X_EN: 1
; COMPUTE_PGM_RSRC2:TGID_Y_EN: 1
; COMPUTE_PGM_RSRC2:TGID_Z_EN: 1
; COMPUTE_PGM_RSRC2:TIDIG_COMP_CNT: 1
	.section	.text._ZL13mul_mat_vec_qIL9ggml_type19ELi1ELb0ELb1EEvPKvS2_PKi31ggml_cuda_mm_fusion_args_devicePfj15HIP_vector_typeIjLj3EEjjjS8_jjjS8_jjjj,"axG",@progbits,_ZL13mul_mat_vec_qIL9ggml_type19ELi1ELb0ELb1EEvPKvS2_PKi31ggml_cuda_mm_fusion_args_devicePfj15HIP_vector_typeIjLj3EEjjjS8_jjjS8_jjjj,comdat
	.globl	_ZL13mul_mat_vec_qIL9ggml_type19ELi1ELb0ELb1EEvPKvS2_PKi31ggml_cuda_mm_fusion_args_devicePfj15HIP_vector_typeIjLj3EEjjjS8_jjjS8_jjjj ; -- Begin function _ZL13mul_mat_vec_qIL9ggml_type19ELi1ELb0ELb1EEvPKvS2_PKi31ggml_cuda_mm_fusion_args_devicePfj15HIP_vector_typeIjLj3EEjjjS8_jjjS8_jjjj
	.p2align	8
	.type	_ZL13mul_mat_vec_qIL9ggml_type19ELi1ELb0ELb1EEvPKvS2_PKi31ggml_cuda_mm_fusion_args_devicePfj15HIP_vector_typeIjLj3EEjjjS8_jjjS8_jjjj,@function
_ZL13mul_mat_vec_qIL9ggml_type19ELi1ELb0ELb1EEvPKvS2_PKi31ggml_cuda_mm_fusion_args_devicePfj15HIP_vector_typeIjLj3EEjjjS8_jjjS8_jjjj: ; @_ZL13mul_mat_vec_qIL9ggml_type19ELi1ELb0ELb1EEvPKvS2_PKi31ggml_cuda_mm_fusion_args_devicePfj15HIP_vector_typeIjLj3EEjjjS8_jjjS8_jjjj
; %bb.0:
	s_clause 0x1
	s_load_dwordx2 s[0:1], s[4:5], 0x10
	s_load_dwordx4 s[16:19], s[4:5], 0x40
	s_mov_b32 s10, s7
	s_waitcnt lgkmcnt(0)
	s_cmp_lg_u64 s[0:1], 0
	s_cselect_b32 s7, -1, 0
	s_cmp_eq_u64 s[0:1], 0
	s_cbranch_scc1 .LBB206_5
; %bb.1:
	s_mov_b32 s11, 0
	s_lshl_b64 s[2:3], s[10:11], 2
	s_add_u32 s0, s0, s2
	s_addc_u32 s1, s1, s3
	s_load_dword s20, s[0:1], 0x0
	s_clause 0x1
	s_load_dwordx4 s[0:3], s[4:5], 0x68
	s_load_dword s21, s[4:5], 0x50
	s_cbranch_execnz .LBB206_3
.LBB206_2:
	s_load_dwordx2 s[12:13], s[4:5], 0x5c
	s_waitcnt lgkmcnt(0)
	s_mul_hi_u32 s9, s12, s10
	s_add_i32 s9, s10, s9
	s_lshr_b32 s20, s9, s13
.LBB206_3:
	s_load_dword s11, s[4:5], 0x78
	s_andn2_b32 vcc_lo, exec_lo, s7
	s_cbranch_vccnz .LBB206_6
; %bb.4:
	s_mul_hi_u32 s7, s17, s10
	s_add_i32 s7, s10, s7
	s_lshr_b32 s7, s7, s18
	s_mul_i32 s7, s7, s19
	s_sub_i32 s17, s10, s7
	s_branch .LBB206_7
.LBB206_5:
                                        ; implicit-def: $sgpr20
	s_clause 0x1
	s_load_dwordx4 s[0:3], s[4:5], 0x68
	s_load_dword s21, s[4:5], 0x50
	s_branch .LBB206_2
.LBB206_6:
	s_mov_b32 s17, s10
.LBB206_7:
	s_load_dwordx4 s[12:15], s[4:5], 0x80
	v_lshl_or_b32 v2, v1, 5, v0
	v_mov_b32_e32 v4, 0
	s_lshr_b32 s9, s16, 8
	s_mov_b32 s7, exec_lo
	v_lshrrev_b32_e32 v5, 3, v2
	v_cmpx_gt_u32_e64 s9, v5
	s_cbranch_execz .LBB206_11
; %bb.8:
	v_lshrrev_b32_e32 v2, 3, v2
	s_waitcnt lgkmcnt(0)
	s_mul_i32 s1, s17, s1
	v_and_b32_e32 v7, 7, v0
	s_mul_hi_u32 s17, s1, 36
	s_mul_i32 s16, s1, 36
	s_mul_i32 s1, s13, s8
	v_mad_u64_u32 v[2:3], null, 0x120, v2, s[16:17]
	s_load_dwordx4 s[16:19], s[4:5], 0x0
	v_lshlrev_b32_e32 v6, 1, v7
	s_mul_i32 s21, s21, s6
	v_mov_b32_e32 v4, 0
	v_lshlrev_b32_e32 v6, 1, v6
	v_mad_u64_u32 v[2:3], null, s1, 36, v[2:3]
	s_mul_hi_u32 s1, s3, s8
	s_mul_i32 s3, s20, s0
	s_add_i32 s1, s8, s1
	s_lshr_b32 s0, s1, s11
	s_mov_b32 s1, 0
	v_mad_u64_u32 v[2:3], null, v7, 36, v[2:3]
	s_mul_i32 s0, s0, s12
	v_lshlrev_b32_e32 v7, 1, v7
	s_add_i32 s0, s0, s21
	s_mov_b32 s11, 0xb7000000
	s_add_i32 s3, s3, s0
	s_waitcnt lgkmcnt(0)
	v_add_co_u32 v2, vcc_lo, s18, v2
	v_add_co_ci_u32_e64 v3, null, s19, v3, vcc_lo
	v_add_co_u32 v2, vcc_lo, v2, 32
	v_add_co_ci_u32_e64 v3, null, 0, v3, vcc_lo
.LBB206_9:                              ; =>This Inner Loop Header: Depth=1
	v_add_nc_u32_e32 v8, s3, v5
	s_getpc_b64 s[12:13]
	s_add_u32 s12, s12, _ZL13iq1s_grid_gpu@rel32@lo+4
	s_addc_u32 s13, s13, _ZL13iq1s_grid_gpu@rel32@hi+12
	v_mov_b32_e32 v23, 0
	v_add_nc_u32_e32 v5, 4, v5
	v_mad_i64_i32 v[12:13], null, v8, 50, s[16:17]
	v_cmp_le_u32_e64 s0, s9, v5
	s_or_b32 s1, s0, s1
	v_add_co_u32 v8, vcc_lo, v12, v6
	v_add_co_ci_u32_e64 v9, null, 0, v13, vcc_lo
	v_add_co_u32 v10, vcc_lo, v12, v7
	v_add_co_ci_u32_e64 v11, null, 0, v13, vcc_lo
	s_clause 0x1
	global_load_dword v16, v[8:9], off offset:2
	global_load_ushort v17, v[10:11], off offset:34
	global_load_dwordx4 v[8:11], v[2:3], off offset:-32
	global_load_ushort v18, v[12:13], off
	global_load_dwordx4 v[12:15], v[2:3], off offset:-16
	s_waitcnt vmcnt(4)
	v_and_b32_e32 v19, 0xff, v16
	s_waitcnt vmcnt(3)
	v_lshlrev_b32_e32 v20, 8, v17
	v_lshlrev_b32_e32 v22, 5, v17
	v_lshrrev_b32_e32 v21, 24, v16
	v_and_or_b32 v19, 0x700, v20, v19
	v_bfe_u32 v20, v16, 8, 8
	v_bfe_u32 v16, v16, 16, 8
	v_lshlrev_b32_e32 v19, 2, v19
	v_and_or_b32 v20, 0x700, v22, v20
	v_lshlrev_b32_e32 v22, 2, v17
	global_load_dword v19, v19, s[12:13]
	v_lshlrev_b32_e32 v20, 2, v20
	v_and_or_b32 v16, 0x700, v22, v16
	v_lshrrev_b32_e32 v22, 1, v17
	global_load_dword v20, v20, s[12:13]
	v_lshlrev_b32_e32 v16, 2, v16
	v_and_or_b32 v21, 0x700, v22, v21
	global_load_dword v16, v16, s[12:13]
	v_lshlrev_b32_e32 v21, 2, v21
	global_load_dword v21, v21, s[12:13]
	global_load_dword v22, v[2:3], off
	v_add_co_u32 v2, vcc_lo, 0x480, v2
	v_add_co_ci_u32_e64 v3, null, 0, v3, vcc_lo
	s_waitcnt vmcnt(4)
	v_lshrrev_b32_e32 v24, 4, v19
	v_and_b32_e32 v19, 0xf0f0f0f, v19
	v_and_b32_e32 v24, 0xf0f0f0f, v24
	v_dot4c_i32_i8 v23, v19, v9
	s_waitcnt vmcnt(3)
	v_and_b32_e32 v9, 0xf0f0f0f, v20
	v_lshrrev_b32_e32 v19, 4, v20
	v_dot4c_i32_i8 v23, v24, v10
	v_and_b32_e32 v10, 0xf0f0f0f, v19
	v_dot4c_i32_i8 v23, v9, v11
	s_waitcnt vmcnt(2)
	v_and_b32_e32 v9, 0xf0f0f0f, v16
	v_lshrrev_b32_e32 v11, 4, v16
	v_dot4c_i32_i8 v23, v10, v12
	s_waitcnt vmcnt(1)
	v_lshrrev_b32_e32 v12, 4, v21
	v_and_b32_e32 v10, 0xf0f0f0f, v11
	v_and_b32_e32 v11, 0xf0f0f0f, v21
	v_dot4c_i32_i8 v23, v9, v13
	v_and_b32_e32 v9, 0x8000, v17
	v_and_b32_e32 v12, 0xf0f0f0f, v12
	v_dot4c_i32_i8 v23, v10, v14
	v_lshrrev_b32_e32 v10, 11, v17
	v_cvt_f32_u32_e32 v9, v9
	v_dot4c_i32_i8 v23, v11, v15
	v_cvt_f32_f16_sdwa v11, v8 dst_sel:DWORD dst_unused:UNUSED_PAD src0_sel:WORD_1
	v_and_or_b32 v10, v10, 14, 1
	v_fmaak_f32 v9, s11, v9, 0xbf600000
	s_waitcnt vmcnt(0)
	v_dot4c_i32_i8 v23, v12, v22
	v_cvt_f32_f16_e32 v12, v18
	v_cvt_f32_ubyte0_e32 v10, v10
	v_mul_f32_e32 v9, v9, v11
	v_cvt_f32_i32_e32 v11, v23
	v_mul_f32_e32 v10, v10, v12
	v_fma_mix_f32 v8, v11, v8, v9 op_sel_hi:[0,1,0]
	v_fmac_f32_e32 v4, v10, v8
	s_andn2_b32 exec_lo, exec_lo, s1
	s_cbranch_execnz .LBB206_9
; %bb.10:
	s_or_b32 exec_lo, exec_lo, s1
.LBB206_11:
	s_or_b32 exec_lo, exec_lo, s7
	s_waitcnt lgkmcnt(0)
	; wave barrier
	buffer_gl0_inv
	s_mov_b32 s0, exec_lo
	v_cmpx_eq_u32_e32 0, v1
	s_cbranch_execz .LBB206_14
; %bb.12:
	v_mbcnt_lo_u32_b32 v1, -1, 0
	v_xor_b32_e32 v2, 16, v1
	v_xor_b32_e32 v3, 8, v1
	v_cmp_gt_i32_e32 vcc_lo, 32, v2
	v_cndmask_b32_e32 v2, v1, v2, vcc_lo
	v_cmp_gt_i32_e32 vcc_lo, 32, v3
	v_lshlrev_b32_e32 v2, 2, v2
	v_cndmask_b32_e32 v3, v1, v3, vcc_lo
	ds_bpermute_b32 v2, v2, v4
	v_lshlrev_b32_e32 v3, 2, v3
	s_waitcnt lgkmcnt(0)
	v_add_f32_e32 v2, v4, v2
	v_xor_b32_e32 v4, 4, v1
	ds_bpermute_b32 v3, v3, v2
	v_cmp_gt_i32_e32 vcc_lo, 32, v4
	v_cndmask_b32_e32 v4, v1, v4, vcc_lo
	v_lshlrev_b32_e32 v4, 2, v4
	s_waitcnt lgkmcnt(0)
	v_add_f32_e32 v2, v2, v3
	ds_bpermute_b32 v3, v4, v2
	v_xor_b32_e32 v4, 2, v1
	v_cmp_gt_i32_e32 vcc_lo, 32, v4
	v_cndmask_b32_e32 v4, v1, v4, vcc_lo
	v_lshlrev_b32_e32 v4, 2, v4
	s_waitcnt lgkmcnt(0)
	v_add_f32_e32 v2, v2, v3
	ds_bpermute_b32 v3, v4, v2
	v_xor_b32_e32 v4, 1, v1
	v_cmp_gt_i32_e32 vcc_lo, 32, v4
	v_cndmask_b32_e32 v1, v1, v4, vcc_lo
	v_cmp_eq_u32_e32 vcc_lo, 0, v0
	v_lshlrev_b32_e32 v4, 2, v1
	s_waitcnt lgkmcnt(0)
	v_add_f32_e32 v1, v2, v3
	ds_bpermute_b32 v2, v4, v1
	s_and_b32 exec_lo, exec_lo, vcc_lo
	s_cbranch_execz .LBB206_14
; %bb.13:
	s_load_dwordx2 s[0:1], s[4:5], 0x38
	s_mul_i32 s2, s2, s10
	s_mul_i32 s3, s14, s8
	s_add_i32 s2, s2, s6
	s_waitcnt lgkmcnt(0)
	v_add_f32_e32 v0, v1, v2
	s_add_i32 s2, s2, s3
	s_mov_b32 s3, 0
	v_mov_b32_e32 v1, 0
	s_lshl_b64 s[2:3], s[2:3], 2
	s_add_u32 s0, s0, s2
	s_addc_u32 s1, s1, s3
	global_store_dword v1, v0, s[0:1]
.LBB206_14:
	s_endpgm
	.section	.rodata,"a",@progbits
	.p2align	6, 0x0
	.amdhsa_kernel _ZL13mul_mat_vec_qIL9ggml_type19ELi1ELb0ELb1EEvPKvS2_PKi31ggml_cuda_mm_fusion_args_devicePfj15HIP_vector_typeIjLj3EEjjjS8_jjjS8_jjjj
		.amdhsa_group_segment_fixed_size 0
		.amdhsa_private_segment_fixed_size 0
		.amdhsa_kernarg_size 144
		.amdhsa_user_sgpr_count 6
		.amdhsa_user_sgpr_private_segment_buffer 1
		.amdhsa_user_sgpr_dispatch_ptr 0
		.amdhsa_user_sgpr_queue_ptr 0
		.amdhsa_user_sgpr_kernarg_segment_ptr 1
		.amdhsa_user_sgpr_dispatch_id 0
		.amdhsa_user_sgpr_flat_scratch_init 0
		.amdhsa_user_sgpr_private_segment_size 0
		.amdhsa_wavefront_size32 1
		.amdhsa_uses_dynamic_stack 0
		.amdhsa_system_sgpr_private_segment_wavefront_offset 0
		.amdhsa_system_sgpr_workgroup_id_x 1
		.amdhsa_system_sgpr_workgroup_id_y 1
		.amdhsa_system_sgpr_workgroup_id_z 1
		.amdhsa_system_sgpr_workgroup_info 0
		.amdhsa_system_vgpr_workitem_id 1
		.amdhsa_next_free_vgpr 25
		.amdhsa_next_free_sgpr 22
		.amdhsa_reserve_vcc 1
		.amdhsa_reserve_flat_scratch 0
		.amdhsa_float_round_mode_32 0
		.amdhsa_float_round_mode_16_64 0
		.amdhsa_float_denorm_mode_32 3
		.amdhsa_float_denorm_mode_16_64 3
		.amdhsa_dx10_clamp 1
		.amdhsa_ieee_mode 1
		.amdhsa_fp16_overflow 0
		.amdhsa_workgroup_processor_mode 1
		.amdhsa_memory_ordered 1
		.amdhsa_forward_progress 1
		.amdhsa_shared_vgpr_count 0
		.amdhsa_exception_fp_ieee_invalid_op 0
		.amdhsa_exception_fp_denorm_src 0
		.amdhsa_exception_fp_ieee_div_zero 0
		.amdhsa_exception_fp_ieee_overflow 0
		.amdhsa_exception_fp_ieee_underflow 0
		.amdhsa_exception_fp_ieee_inexact 0
		.amdhsa_exception_int_div_zero 0
	.end_amdhsa_kernel
	.section	.text._ZL13mul_mat_vec_qIL9ggml_type19ELi1ELb0ELb1EEvPKvS2_PKi31ggml_cuda_mm_fusion_args_devicePfj15HIP_vector_typeIjLj3EEjjjS8_jjjS8_jjjj,"axG",@progbits,_ZL13mul_mat_vec_qIL9ggml_type19ELi1ELb0ELb1EEvPKvS2_PKi31ggml_cuda_mm_fusion_args_devicePfj15HIP_vector_typeIjLj3EEjjjS8_jjjS8_jjjj,comdat
.Lfunc_end206:
	.size	_ZL13mul_mat_vec_qIL9ggml_type19ELi1ELb0ELb1EEvPKvS2_PKi31ggml_cuda_mm_fusion_args_devicePfj15HIP_vector_typeIjLj3EEjjjS8_jjjS8_jjjj, .Lfunc_end206-_ZL13mul_mat_vec_qIL9ggml_type19ELi1ELb0ELb1EEvPKvS2_PKi31ggml_cuda_mm_fusion_args_devicePfj15HIP_vector_typeIjLj3EEjjjS8_jjjS8_jjjj
                                        ; -- End function
	.set _ZL13mul_mat_vec_qIL9ggml_type19ELi1ELb0ELb1EEvPKvS2_PKi31ggml_cuda_mm_fusion_args_devicePfj15HIP_vector_typeIjLj3EEjjjS8_jjjS8_jjjj.num_vgpr, 25
	.set _ZL13mul_mat_vec_qIL9ggml_type19ELi1ELb0ELb1EEvPKvS2_PKi31ggml_cuda_mm_fusion_args_devicePfj15HIP_vector_typeIjLj3EEjjjS8_jjjS8_jjjj.num_agpr, 0
	.set _ZL13mul_mat_vec_qIL9ggml_type19ELi1ELb0ELb1EEvPKvS2_PKi31ggml_cuda_mm_fusion_args_devicePfj15HIP_vector_typeIjLj3EEjjjS8_jjjS8_jjjj.numbered_sgpr, 22
	.set _ZL13mul_mat_vec_qIL9ggml_type19ELi1ELb0ELb1EEvPKvS2_PKi31ggml_cuda_mm_fusion_args_devicePfj15HIP_vector_typeIjLj3EEjjjS8_jjjS8_jjjj.num_named_barrier, 0
	.set _ZL13mul_mat_vec_qIL9ggml_type19ELi1ELb0ELb1EEvPKvS2_PKi31ggml_cuda_mm_fusion_args_devicePfj15HIP_vector_typeIjLj3EEjjjS8_jjjS8_jjjj.private_seg_size, 0
	.set _ZL13mul_mat_vec_qIL9ggml_type19ELi1ELb0ELb1EEvPKvS2_PKi31ggml_cuda_mm_fusion_args_devicePfj15HIP_vector_typeIjLj3EEjjjS8_jjjS8_jjjj.uses_vcc, 1
	.set _ZL13mul_mat_vec_qIL9ggml_type19ELi1ELb0ELb1EEvPKvS2_PKi31ggml_cuda_mm_fusion_args_devicePfj15HIP_vector_typeIjLj3EEjjjS8_jjjS8_jjjj.uses_flat_scratch, 0
	.set _ZL13mul_mat_vec_qIL9ggml_type19ELi1ELb0ELb1EEvPKvS2_PKi31ggml_cuda_mm_fusion_args_devicePfj15HIP_vector_typeIjLj3EEjjjS8_jjjS8_jjjj.has_dyn_sized_stack, 0
	.set _ZL13mul_mat_vec_qIL9ggml_type19ELi1ELb0ELb1EEvPKvS2_PKi31ggml_cuda_mm_fusion_args_devicePfj15HIP_vector_typeIjLj3EEjjjS8_jjjS8_jjjj.has_recursion, 0
	.set _ZL13mul_mat_vec_qIL9ggml_type19ELi1ELb0ELb1EEvPKvS2_PKi31ggml_cuda_mm_fusion_args_devicePfj15HIP_vector_typeIjLj3EEjjjS8_jjjS8_jjjj.has_indirect_call, 0
	.section	.AMDGPU.csdata,"",@progbits
; Kernel info:
; codeLenInByte = 1172
; TotalNumSgprs: 24
; NumVgprs: 25
; ScratchSize: 0
; MemoryBound: 0
; FloatMode: 240
; IeeeMode: 1
; LDSByteSize: 0 bytes/workgroup (compile time only)
; SGPRBlocks: 0
; VGPRBlocks: 3
; NumSGPRsForWavesPerEU: 24
; NumVGPRsForWavesPerEU: 25
; Occupancy: 16
; WaveLimiterHint : 0
; COMPUTE_PGM_RSRC2:SCRATCH_EN: 0
; COMPUTE_PGM_RSRC2:USER_SGPR: 6
; COMPUTE_PGM_RSRC2:TRAP_HANDLER: 0
; COMPUTE_PGM_RSRC2:TGID_X_EN: 1
; COMPUTE_PGM_RSRC2:TGID_Y_EN: 1
; COMPUTE_PGM_RSRC2:TGID_Z_EN: 1
; COMPUTE_PGM_RSRC2:TIDIG_COMP_CNT: 1
	.section	.text._ZL13mul_mat_vec_qIL9ggml_type19ELi1ELb1ELb0EEvPKvS2_PKi31ggml_cuda_mm_fusion_args_devicePfj15HIP_vector_typeIjLj3EEjjjS8_jjjS8_jjjj,"axG",@progbits,_ZL13mul_mat_vec_qIL9ggml_type19ELi1ELb1ELb0EEvPKvS2_PKi31ggml_cuda_mm_fusion_args_devicePfj15HIP_vector_typeIjLj3EEjjjS8_jjjS8_jjjj,comdat
	.globl	_ZL13mul_mat_vec_qIL9ggml_type19ELi1ELb1ELb0EEvPKvS2_PKi31ggml_cuda_mm_fusion_args_devicePfj15HIP_vector_typeIjLj3EEjjjS8_jjjS8_jjjj ; -- Begin function _ZL13mul_mat_vec_qIL9ggml_type19ELi1ELb1ELb0EEvPKvS2_PKi31ggml_cuda_mm_fusion_args_devicePfj15HIP_vector_typeIjLj3EEjjjS8_jjjS8_jjjj
	.p2align	8
	.type	_ZL13mul_mat_vec_qIL9ggml_type19ELi1ELb1ELb0EEvPKvS2_PKi31ggml_cuda_mm_fusion_args_devicePfj15HIP_vector_typeIjLj3EEjjjS8_jjjS8_jjjj,@function
_ZL13mul_mat_vec_qIL9ggml_type19ELi1ELb1ELb0EEvPKvS2_PKi31ggml_cuda_mm_fusion_args_devicePfj15HIP_vector_typeIjLj3EEjjjS8_jjjS8_jjjj: ; @_ZL13mul_mat_vec_qIL9ggml_type19ELi1ELb1ELb0EEvPKvS2_PKi31ggml_cuda_mm_fusion_args_devicePfj15HIP_vector_typeIjLj3EEjjjS8_jjjS8_jjjj
; %bb.0:
	s_clause 0x3
	s_load_dwordx8 s[12:19], s[4:5], 0x0
	s_load_dwordx4 s[28:31], s[4:5], 0x20
	s_load_dwordx4 s[36:39], s[4:5], 0x40
	;; [unrolled: 1-line block ×3, first 2 shown]
	s_mov_b32 s10, s7
	s_waitcnt lgkmcnt(0)
	s_cmp_lg_u64 s[16:17], 0
	s_cselect_b32 s0, -1, 0
	s_cmp_eq_u64 s[16:17], 0
	s_cbranch_scc1 .LBB207_5
; %bb.1:
	s_mov_b32 s11, 0
	s_lshl_b64 s[2:3], s[10:11], 2
	s_add_u32 s2, s16, s2
	s_addc_u32 s3, s17, s3
	s_load_dword s33, s[2:3], 0x0
	s_clause 0x1
	s_load_dword s35, s[4:5], 0x50
	s_load_dword s34, s[4:5], 0x78
	s_cbranch_execnz .LBB207_3
.LBB207_2:
	s_load_dwordx2 s[2:3], s[4:5], 0x5c
	s_waitcnt lgkmcnt(0)
	s_mul_hi_u32 s1, s2, s10
	s_add_i32 s1, s10, s1
	s_lshr_b32 s33, s1, s3
.LBB207_3:
	s_andn2_b32 vcc_lo, exec_lo, s0
	s_cbranch_vccnz .LBB207_6
; %bb.4:
	s_mul_hi_u32 s0, s37, s10
	s_waitcnt lgkmcnt(0)
	s_mov_b32 s1, s33
	s_add_i32 s0, s10, s0
	s_lshr_b32 s0, s0, s38
	s_mul_i32 s0, s0, s39
	s_sub_i32 s37, s10, s0
	s_branch .LBB207_7
.LBB207_5:
                                        ; implicit-def: $sgpr33
	s_clause 0x1
	s_load_dword s35, s[4:5], 0x50
	s_load_dword s34, s[4:5], 0x78
	s_branch .LBB207_2
.LBB207_6:
	s_mov_b32 s1, s10
	s_mov_b32 s37, s10
.LBB207_7:
	s_load_dwordx4 s[24:27], s[4:5], 0x80
	v_or_b32_e32 v2, v0, v1
	s_cmp_lg_u64 s[18:19], 0
	v_mov_b32_e32 v12, 0
	v_mov_b32_e32 v13, 0
	s_cselect_b32 s0, -1, 0
	v_cmp_eq_u32_e32 vcc_lo, 0, v2
	s_mov_b32 s17, 0
	s_mul_i32 s2, s1, s22
	s_and_b32 s3, s0, vcc_lo
	s_and_saveexec_b32 s1, s3
	s_cbranch_execz .LBB207_9
; %bb.8:
	s_waitcnt lgkmcnt(0)
	s_mul_i32 s16, s26, s8
	s_mov_b32 s3, s17
	s_lshl_b64 s[38:39], s[16:17], 2
	v_lshlrev_b32_e32 v2, 2, v0
	s_add_u32 s7, s18, s38
	s_addc_u32 s9, s19, s39
	s_lshl_b64 s[16:17], s[2:3], 2
	s_add_u32 s3, s7, s16
	s_addc_u32 s9, s9, s17
	s_ashr_i32 s7, s6, 31
	s_lshl_b64 s[16:17], s[6:7], 2
	s_add_u32 s16, s3, s16
	s_addc_u32 s17, s9, s17
	global_load_dword v13, v2, s[16:17]
.LBB207_9:
	s_or_b32 exec_lo, exec_lo, s1
	s_cmp_lg_u64 s[28:29], 0
	s_cselect_b32 s9, -1, 0
	s_cmp_lg_u64 s[30:31], 0
	s_cselect_b32 s1, -1, 0
	s_and_b32 s3, s1, s9
	s_and_b32 s3, s3, vcc_lo
	s_and_saveexec_b32 s11, s3
	s_cbranch_execz .LBB207_11
; %bb.10:
	s_waitcnt lgkmcnt(0)
	s_mul_i32 s16, s26, s8
	s_mov_b32 s17, 0
	v_lshlrev_b32_e32 v2, 2, v0
	s_lshl_b64 s[18:19], s[16:17], 2
	s_mov_b32 s3, s17
	s_add_u32 s7, s30, s18
	s_addc_u32 s16, s31, s19
	s_lshl_b64 s[2:3], s[2:3], 2
	s_add_u32 s17, s7, s2
	s_addc_u32 s16, s16, s3
	s_ashr_i32 s7, s6, 31
	s_lshl_b64 s[2:3], s[6:7], 2
	s_add_u32 s2, s17, s2
	s_addc_u32 s3, s16, s3
	global_load_dword v12, v2, s[2:3]
.LBB207_11:
	s_or_b32 exec_lo, exec_lo, s11
	v_lshl_or_b32 v2, v1, 5, v0
	v_mov_b32_e32 v16, 0
	v_cndmask_b32_e64 v14, 0, 1, s9
	v_mov_b32_e32 v15, 0
	s_lshr_b32 s7, s36, 8
	v_lshrrev_b32_e32 v17, 3, v2
	s_mov_b32 s11, exec_lo
	v_cmpx_gt_u32_e64 s7, v17
	s_cbranch_execz .LBB207_17
; %bb.12:
	v_lshrrev_b32_e32 v2, 3, v2
	s_mul_i32 s2, s37, s21
	v_and_b32_e32 v4, 7, v0
	s_mul_hi_u32 s3, s2, 36
	s_mul_i32 s2, s2, 36
	s_waitcnt lgkmcnt(0)
	s_mul_i32 s35, s35, s6
	v_mad_u64_u32 v[2:3], null, 0x120, v2, s[2:3]
	s_mul_i32 s2, s25, s8
	v_lshlrev_b32_e32 v5, 1, v4
	v_mov_b32_e32 v16, 0
	v_lshlrev_b32_e32 v18, 1, v4
	v_mov_b32_e32 v15, 0
	s_mul_i32 s3, s33, s20
	v_mad_u64_u32 v[2:3], null, s2, 36, v[2:3]
	s_mul_hi_u32 s2, s23, s8
	v_lshlrev_b32_e32 v19, 1, v5
	s_add_i32 s2, s8, s2
	s_mov_b32 s16, 0xb7000000
	s_lshr_b32 s2, s2, s34
	v_mad_u64_u32 v[2:3], null, v4, 36, v[2:3]
	s_mul_i32 s2, s2, s24
	s_add_i32 s2, s2, s35
	v_add_co_u32 v2, vcc_lo, s14, v2
	v_add_co_ci_u32_e64 v3, null, s15, v3, vcc_lo
	s_add_i32 s15, s3, s2
	v_add_co_u32 v10, vcc_lo, v2, 32
	v_add_co_ci_u32_e64 v11, null, 0, v3, vcc_lo
	s_mov_b32 s14, 0
	s_branch .LBB207_14
.LBB207_13:                             ;   in Loop: Header=BB207_14 Depth=1
	s_waitcnt vmcnt(3)
	v_and_b32_e32 v28, 0xf0f0f0f, v27
	v_lshrrev_b32_e32 v27, 4, v27
	v_mov_b32_e32 v29, 0
	v_add_nc_u32_e32 v17, 4, v17
	v_add_co_u32 v10, s2, 0x480, v10
	v_and_b32_e32 v27, 0xf0f0f0f, v27
	v_dot4c_i32_i8 v29, v28, v7
	s_waitcnt vmcnt(2)
	v_and_b32_e32 v7, 0xf0f0f0f, v26
	v_lshrrev_b32_e32 v26, 4, v26
	v_cmp_le_u32_e32 vcc_lo, s7, v17
	v_add_co_ci_u32_e64 v11, null, 0, v11, s2
	v_dot4c_i32_i8 v29, v27, v8
	v_and_b32_e32 v8, 0xf0f0f0f, v26
	s_or_b32 s14, vcc_lo, s14
	v_dot4c_i32_i8 v29, v7, v9
	s_waitcnt vmcnt(1)
	v_and_b32_e32 v7, 0xf0f0f0f, v25
	v_lshrrev_b32_e32 v9, 4, v25
	v_dot4c_i32_i8 v29, v8, v2
	v_and_b32_e32 v8, 0x8000, v20
	v_and_b32_e32 v2, 0xf0f0f0f, v9
	v_dot4c_i32_i8 v29, v7, v3
	s_waitcnt vmcnt(0)
	v_and_b32_e32 v3, 0xf0f0f0f, v24
	v_lshrrev_b32_e32 v7, 4, v24
	v_dot4c_i32_i8 v29, v2, v4
	v_lshrrev_b32_e32 v2, 11, v20
	v_and_b32_e32 v4, 0xf0f0f0f, v7
	v_cvt_f32_u32_e32 v7, v8
	v_dot4c_i32_i8 v29, v3, v5
	v_and_or_b32 v2, v2, 14, 1
	v_fmaak_f32 v3, s16, v7, 0xbf600000
	v_dot4c_i32_i8 v29, v4, v23
	v_cvt_f32_f16_e32 v4, v21
	v_cvt_f32_ubyte0_e32 v2, v2
	v_mul_f32_e32 v3, v3, v6
	v_cvt_f32_i32_e32 v5, v29
	v_mul_f32_e32 v2, v2, v4
	v_fmac_f32_e32 v3, v5, v22
	v_fmac_f32_e32 v16, v2, v3
	s_andn2_b32 exec_lo, exec_lo, s14
	s_cbranch_execz .LBB207_16
.LBB207_14:                             ; =>This Inner Loop Header: Depth=1
	v_add_nc_u32_e32 v28, s15, v17
	s_getpc_b64 s[2:3]
	s_add_u32 s2, s2, _ZL13iq1s_grid_gpu@rel32@lo+4
	s_addc_u32 s3, s3, _ZL13iq1s_grid_gpu@rel32@hi+12
	v_mad_i64_i32 v[2:3], null, v28, 50, s[12:13]
	v_add_co_u32 v4, vcc_lo, v2, v19
	v_add_co_ci_u32_e64 v5, null, 0, v3, vcc_lo
	v_add_co_u32 v6, vcc_lo, v2, v18
	v_add_co_ci_u32_e64 v7, null, 0, v3, vcc_lo
	s_clause 0x2
	global_load_dword v4, v[4:5], off offset:2
	global_load_ushort v20, v[6:7], off offset:34
	global_load_ushort v21, v[2:3], off
	s_andn2_b32 vcc_lo, exec_lo, s9
	s_waitcnt vmcnt(2)
	v_and_b32_e32 v3, 0xff, v4
	s_waitcnt vmcnt(1)
	v_lshlrev_b32_e32 v5, 8, v20
	v_bfe_u32 v6, v4, 8, 8
	v_lshlrev_b32_e32 v7, 5, v20
	v_lshrrev_b32_e32 v2, 24, v4
	v_bfe_u32 v4, v4, 16, 8
	v_lshlrev_b32_e32 v8, 2, v20
	v_lshrrev_b32_e32 v9, 1, v20
	v_and_or_b32 v22, 0x700, v5, v3
	v_and_or_b32 v23, 0x700, v7, v6
	;; [unrolled: 1-line block ×4, first 2 shown]
	v_lshlrev_b32_e32 v22, 2, v22
	v_lshlrev_b32_e32 v26, 2, v23
	s_clause 0x1
	global_load_dwordx4 v[6:9], v[10:11], off offset:-32
	global_load_dwordx4 v[2:5], v[10:11], off offset:-16
	v_lshlrev_b32_e32 v24, 2, v24
	v_lshlrev_b32_e32 v29, 2, v25
	global_load_dword v23, v[10:11], off
	s_clause 0x3
	global_load_dword v27, v22, s[2:3]
	global_load_dword v26, v26, s[2:3]
	;; [unrolled: 1-line block ×4, first 2 shown]
	s_waitcnt vmcnt(6)
	v_cvt_f32_f16_e32 v22, v6
	v_cvt_f32_f16_sdwa v6, v6 dst_sel:DWORD dst_unused:UNUSED_PAD src0_sel:WORD_1
	s_cbranch_vccnz .LBB207_13
; %bb.15:                               ;   in Loop: Header=BB207_14 Depth=1
	v_mad_i64_i32 v[28:29], null, v28, 50, s[28:29]
	v_add_co_u32 v30, vcc_lo, v28, v19
	v_add_co_ci_u32_e64 v31, null, 0, v29, vcc_lo
	v_add_co_u32 v32, vcc_lo, v28, v18
	v_add_co_ci_u32_e64 v33, null, 0, v29, vcc_lo
	s_clause 0x2
	global_load_dword v30, v[30:31], off offset:2
	global_load_ushort v31, v[32:33], off offset:34
	global_load_ushort v28, v[28:29], off
	s_waitcnt vmcnt(2)
	v_and_b32_e32 v29, 0xff, v30
	s_waitcnt vmcnt(1)
	v_lshlrev_b32_e32 v32, 8, v31
	v_lshlrev_b32_e32 v33, 5, v31
	;; [unrolled: 1-line block ×3, first 2 shown]
	s_waitcnt vmcnt(0)
	v_cvt_f32_f16_e32 v28, v28
	v_and_or_b32 v29, 0x700, v32, v29
	v_bfe_u32 v32, v30, 8, 8
	v_lshlrev_b32_e32 v29, 2, v29
	v_and_or_b32 v32, 0x700, v33, v32
	v_bfe_u32 v33, v30, 16, 8
	v_lshrrev_b32_e32 v30, 24, v30
	global_load_dword v29, v29, s[2:3]
	v_lshlrev_b32_e32 v32, 2, v32
	v_and_or_b32 v33, 0x700, v34, v33
	v_lshrrev_b32_e32 v34, 1, v31
	global_load_dword v32, v32, s[2:3]
	v_lshlrev_b32_e32 v33, 2, v33
	v_and_or_b32 v30, 0x700, v34, v30
	v_mov_b32_e32 v34, 0
	global_load_dword v33, v33, s[2:3]
	v_lshlrev_b32_e32 v30, 2, v30
	global_load_dword v30, v30, s[2:3]
	s_waitcnt vmcnt(3)
	v_lshrrev_b32_e32 v35, 4, v29
	v_and_b32_e32 v29, 0xf0f0f0f, v29
	v_and_b32_e32 v35, 0xf0f0f0f, v35
	v_dot4c_i32_i8 v34, v29, v7
	s_waitcnt vmcnt(2)
	v_and_b32_e32 v29, 0xf0f0f0f, v32
	v_lshrrev_b32_e32 v32, 4, v32
	v_dot4c_i32_i8 v34, v35, v8
	v_and_b32_e32 v32, 0xf0f0f0f, v32
	v_dot4c_i32_i8 v34, v29, v9
	s_waitcnt vmcnt(1)
	v_and_b32_e32 v29, 0xf0f0f0f, v33
	v_lshrrev_b32_e32 v33, 4, v33
	v_dot4c_i32_i8 v34, v32, v2
	v_and_b32_e32 v32, 0xf0f0f0f, v33
	v_dot4c_i32_i8 v34, v29, v3
	s_waitcnt vmcnt(0)
	v_lshrrev_b32_e32 v29, 4, v30
	v_and_b32_e32 v30, 0xf0f0f0f, v30
	v_dot4c_i32_i8 v34, v32, v4
	v_and_b32_e32 v29, 0xf0f0f0f, v29
	v_dot4c_i32_i8 v34, v30, v5
	v_lshrrev_b32_e32 v30, 11, v31
	v_and_b32_e32 v31, 0x8000, v31
	v_dot4c_i32_i8 v34, v29, v23
	v_and_or_b32 v29, v30, 14, 1
	v_cvt_f32_u32_e32 v30, v31
	v_cvt_f32_i32_e32 v31, v34
	v_cvt_f32_ubyte0_e32 v29, v29
	v_fmaak_f32 v30, s16, v30, 0xbf600000
	v_mul_f32_e32 v31, v22, v31
	v_mul_f32_e32 v28, v29, v28
	v_fmac_f32_e32 v31, v30, v6
	v_fmac_f32_e32 v15, v28, v31
	s_branch .LBB207_13
.LBB207_16:
	s_or_b32 exec_lo, exec_lo, s14
.LBB207_17:
	s_or_b32 exec_lo, exec_lo, s11
	s_load_dword s2, s[4:5], 0x30
	s_waitcnt vmcnt(0) lgkmcnt(0)
	; wave barrier
	buffer_gl0_inv
	s_mov_b32 s3, exec_lo
	v_cmpx_eq_u32_e32 0, v1
	s_cbranch_execz .LBB207_44
; %bb.18:
	v_mbcnt_lo_u32_b32 v2, -1, 0
	v_xor_b32_e32 v1, 16, v2
	v_xor_b32_e32 v4, 8, v2
	;; [unrolled: 1-line block ×3, first 2 shown]
	v_cmp_gt_i32_e32 vcc_lo, 32, v1
	v_cndmask_b32_e32 v1, v2, v1, vcc_lo
	v_cmp_gt_i32_e32 vcc_lo, 32, v4
	v_lshlrev_b32_e32 v1, 2, v1
	v_cndmask_b32_e32 v4, v2, v4, vcc_lo
	v_cmp_gt_i32_e32 vcc_lo, 32, v5
	ds_bpermute_b32 v3, v1, v16
	v_lshlrev_b32_e32 v4, 2, v4
	v_cndmask_b32_e32 v5, v2, v5, vcc_lo
	v_lshlrev_b32_e32 v5, 2, v5
	s_waitcnt lgkmcnt(0)
	v_add_f32_e32 v3, v16, v3
	ds_bpermute_b32 v6, v4, v3
	s_waitcnt lgkmcnt(0)
	v_add_f32_e32 v3, v3, v6
	v_xor_b32_e32 v6, 2, v2
	ds_bpermute_b32 v7, v5, v3
	v_cmp_gt_i32_e32 vcc_lo, 32, v6
	v_cndmask_b32_e32 v6, v2, v6, vcc_lo
	v_lshlrev_b32_e32 v6, 2, v6
	s_waitcnt lgkmcnt(0)
	v_add_f32_e32 v3, v3, v7
	v_xor_b32_e32 v7, 1, v2
	ds_bpermute_b32 v8, v6, v3
	v_cmp_gt_i32_e32 vcc_lo, 32, v7
	v_cndmask_b32_e32 v2, v2, v7, vcc_lo
	v_cmp_ne_u32_e32 vcc_lo, 1, v14
	v_lshlrev_b32_e32 v7, 2, v2
	s_waitcnt lgkmcnt(0)
	v_add_f32_e32 v2, v3, v8
	ds_bpermute_b32 v3, v7, v2
	s_cbranch_vccnz .LBB207_20
; %bb.19:
	ds_bpermute_b32 v1, v1, v15
	s_waitcnt lgkmcnt(0)
	v_add_f32_e32 v1, v15, v1
	ds_bpermute_b32 v4, v4, v1
	s_waitcnt lgkmcnt(0)
	v_add_f32_e32 v1, v1, v4
	;; [unrolled: 3-line block ×5, first 2 shown]
.LBB207_20:
	v_cmp_eq_u32_e32 vcc_lo, 0, v0
	s_and_b32 exec_lo, exec_lo, vcc_lo
	s_cbranch_execz .LBB207_44
; %bb.21:
	s_waitcnt lgkmcnt(0)
	v_add_f32_e32 v1, v2, v3
	v_cmp_ne_u32_e32 vcc_lo, 1, v14
	v_add_f32_e32 v2, v13, v1
	v_cndmask_b32_e64 v1, v1, v2, s0
	s_cbranch_vccnz .LBB207_43
; %bb.22:
	v_add_f32_e32 v2, v12, v15
	s_cmp_lt_i32 s2, 2
	s_mov_b32 s0, 0
	v_cndmask_b32_e64 v2, v15, v2, s1
	s_cbranch_scc1 .LBB207_26
; %bb.23:
	s_cmp_gt_i32 s2, 2
	s_cbranch_scc0 .LBB207_27
; %bb.24:
	s_cmp_eq_u32 s2, 3
	s_cbranch_scc0 .LBB207_28
; %bb.25:
	v_max_f32_e32 v3, v2, v2
	s_mov_b32 s1, 0
	v_min_f32_e32 v3, 0x40e00000, v3
	v_mul_f32_e32 v4, 0xbfd9db23, v3
	v_mul_f32_e32 v5, 0x3fb8aa3b, v4
	v_cmp_ngt_f32_e32 vcc_lo, 0xc2ce8ed0, v4
	v_fma_f32 v6, 0x3fb8aa3b, v4, -v5
	v_rndne_f32_e32 v7, v5
	v_fmamk_f32 v6, v4, 0x32a5705f, v6
	v_sub_f32_e32 v5, v5, v7
	v_add_f32_e32 v5, v5, v6
	v_cvt_i32_f32_e32 v6, v7
	v_exp_f32_e32 v5, v5
	v_ldexp_f32 v5, v5, v6
	v_cndmask_b32_e32 v5, 0, v5, vcc_lo
	v_cmp_nlt_f32_e32 vcc_lo, 0x42b17218, v4
	v_cndmask_b32_e32 v4, 0x7f800000, v5, vcc_lo
	v_add_f32_e32 v4, 1.0, v4
	v_div_scale_f32 v5, null, v4, v4, v3
	v_div_scale_f32 v8, vcc_lo, v3, v4, v3
	v_rcp_f32_e32 v6, v5
	v_fma_f32 v7, -v5, v6, 1.0
	v_fmac_f32_e32 v6, v7, v6
	v_mul_f32_e32 v7, v8, v6
	v_fma_f32 v9, -v5, v7, v8
	v_fmac_f32_e32 v7, v9, v6
	v_max_f32_e32 v9, v1, v1
	v_fma_f32 v5, -v5, v7, v8
	v_min_f32_e32 v8, 0x40e00000, v9
	v_div_fmas_f32 v5, v5, v6, v7
	v_max_f32_e32 v6, 0xc0e00000, v8
	v_div_fixup_f32 v3, v5, v4, v3
	v_add_f32_e32 v4, 1.0, v6
	v_mul_f32_e32 v3, v4, v3
	s_branch .LBB207_29
.LBB207_26:
	s_mov_b32 s1, 0
                                        ; implicit-def: $vgpr3
	s_cbranch_execnz .LBB207_33
	s_branch .LBB207_34
.LBB207_27:
	s_mov_b32 s3, -1
	s_mov_b32 s1, 0
                                        ; implicit-def: $vgpr3
	s_branch .LBB207_30
.LBB207_28:
	s_mov_b32 s1, -1
                                        ; implicit-def: $vgpr3
.LBB207_29:
	s_mov_b32 s3, 0
.LBB207_30:
	s_and_b32 vcc_lo, exec_lo, s3
	s_cbranch_vccz .LBB207_32
; %bb.31:
	v_mul_f32_e32 v3, 0xbfb8aa3b, v2
	v_cmp_nlt_f32_e32 vcc_lo, 0x42ce8ed0, v2
	v_rndne_f32_e32 v4, v3
	v_fma_f32 v5, 0xbfb8aa3b, v2, -v3
	v_sub_f32_e32 v3, v3, v4
	v_fmamk_f32 v5, v2, 0xb2a5705f, v5
	v_cvt_i32_f32_e32 v4, v4
	v_add_f32_e32 v3, v3, v5
	v_exp_f32_e32 v3, v3
	v_ldexp_f32 v3, v3, v4
	v_cndmask_b32_e32 v3, 0, v3, vcc_lo
	v_cmp_ngt_f32_e32 vcc_lo, 0xc2b17218, v2
	v_cndmask_b32_e32 v3, 0x7f800000, v3, vcc_lo
	v_add_f32_e32 v3, 1.0, v3
	v_div_scale_f32 v4, null, v3, v3, v2
	v_rcp_f32_e32 v5, v4
	v_fma_f32 v6, -v4, v5, 1.0
	v_fmac_f32_e32 v5, v6, v5
	v_div_scale_f32 v6, vcc_lo, v2, v3, v2
	v_mul_f32_e32 v7, v6, v5
	v_fma_f32 v8, -v4, v7, v6
	v_fmac_f32_e32 v7, v8, v5
	v_fma_f32 v4, -v4, v7, v6
	v_div_fmas_f32 v4, v4, v5, v7
	v_div_fixup_f32 v3, v4, v3, v2
	v_mul_f32_e32 v3, v1, v3
.LBB207_32:
	s_branch .LBB207_34
.LBB207_33:
	s_cmp_lg_u32 s2, 1
	s_mov_b32 s0, -1
	s_cselect_b32 s1, -1, 0
.LBB207_34:
	s_andn2_b32 vcc_lo, exec_lo, s1
	s_cbranch_vccz .LBB207_36
; %bb.35:
	s_andn2_b32 vcc_lo, exec_lo, s0
	s_cbranch_vccz .LBB207_37
	s_branch .LBB207_42
.LBB207_36:
	v_mul_f32_e32 v3, v2, v1
	s_cbranch_execnz .LBB207_42
.LBB207_37:
	v_mul_f32_e32 v3, 0x3d372713, v2
	v_mul_f32_e32 v4, 0x3f4c422a, v2
	v_fma_f32 v3, v2, v3, 1.0
	v_mul_f32_e32 v3, v4, v3
                                        ; implicit-def: $vgpr4
	v_cmp_ngt_f32_e64 s0, 0x3f200000, |v3|
	s_and_saveexec_b32 s1, s0
	s_xor_b32 s0, exec_lo, s1
	s_cbranch_execz .LBB207_39
; %bb.38:
	v_add_f32_e64 v4, |v3|, |v3|
	v_mul_f32_e32 v5, 0x3fb8aa3b, v4
	v_cmp_ngt_f32_e32 vcc_lo, 0xc2ce8ed0, v4
	v_rndne_f32_e32 v6, v5
	v_fma_f32 v7, 0x3fb8aa3b, v4, -v5
	v_sub_f32_e32 v5, v5, v6
	v_fmamk_f32 v7, v4, 0x32a5705f, v7
	v_cvt_i32_f32_e32 v6, v6
	v_add_f32_e32 v5, v5, v7
	v_exp_f32_e32 v5, v5
	v_ldexp_f32 v5, v5, v6
	v_cndmask_b32_e32 v5, 0, v5, vcc_lo
	v_cmp_nlt_f32_e32 vcc_lo, 0x42b17218, v4
	v_cndmask_b32_e32 v4, 0x7f800000, v5, vcc_lo
	v_add_f32_e32 v4, 1.0, v4
	v_rcp_f32_e32 v4, v4
	v_fma_f32 v4, v4, -2.0, 1.0
.LBB207_39:
	s_andn2_saveexec_b32 s0, s0
	s_cbranch_execz .LBB207_41
; %bb.40:
	v_mul_f32_e32 v4, v3, v3
	s_mov_b32 s1, 0xbbbac73d
	v_fmaak_f32 v5, s1, v4, 0x3ca908c9
	v_fmaak_f32 v5, v4, v5, 0xbd5c1c4e
	;; [unrolled: 1-line block ×4, first 2 shown]
	v_mul_f32_e64 v5, |v3|, v5
	v_fma_f32 v4, v4, v5, |v3|
.LBB207_41:
	s_or_b32 exec_lo, exec_lo, s0
	v_bfi_b32 v3, 0x7fffffff, v4, v3
	v_mul_f32_e32 v2, 0.5, v2
	v_add_f32_e32 v3, 1.0, v3
	v_mul_f32_e32 v2, v2, v3
	v_mul_f32_e32 v3, v1, v2
.LBB207_42:
	v_mov_b32_e32 v1, v3
.LBB207_43:
	s_load_dwordx2 s[0:1], s[4:5], 0x38
	s_mul_i32 s2, s22, s10
	s_mul_i32 s3, s26, s8
	s_add_i32 s2, s2, s6
	v_lshlrev_b32_e32 v0, 2, v0
	s_add_i32 s2, s2, s3
	s_mov_b32 s3, 0
	s_lshl_b64 s[2:3], s[2:3], 2
	s_waitcnt lgkmcnt(0)
	s_add_u32 s0, s0, s2
	s_addc_u32 s1, s1, s3
	global_store_dword v0, v1, s[0:1]
.LBB207_44:
	s_endpgm
	.section	.rodata,"a",@progbits
	.p2align	6, 0x0
	.amdhsa_kernel _ZL13mul_mat_vec_qIL9ggml_type19ELi1ELb1ELb0EEvPKvS2_PKi31ggml_cuda_mm_fusion_args_devicePfj15HIP_vector_typeIjLj3EEjjjS8_jjjS8_jjjj
		.amdhsa_group_segment_fixed_size 0
		.amdhsa_private_segment_fixed_size 0
		.amdhsa_kernarg_size 144
		.amdhsa_user_sgpr_count 6
		.amdhsa_user_sgpr_private_segment_buffer 1
		.amdhsa_user_sgpr_dispatch_ptr 0
		.amdhsa_user_sgpr_queue_ptr 0
		.amdhsa_user_sgpr_kernarg_segment_ptr 1
		.amdhsa_user_sgpr_dispatch_id 0
		.amdhsa_user_sgpr_flat_scratch_init 0
		.amdhsa_user_sgpr_private_segment_size 0
		.amdhsa_wavefront_size32 1
		.amdhsa_uses_dynamic_stack 0
		.amdhsa_system_sgpr_private_segment_wavefront_offset 0
		.amdhsa_system_sgpr_workgroup_id_x 1
		.amdhsa_system_sgpr_workgroup_id_y 1
		.amdhsa_system_sgpr_workgroup_id_z 1
		.amdhsa_system_sgpr_workgroup_info 0
		.amdhsa_system_vgpr_workitem_id 1
		.amdhsa_next_free_vgpr 36
		.amdhsa_next_free_sgpr 40
		.amdhsa_reserve_vcc 1
		.amdhsa_reserve_flat_scratch 0
		.amdhsa_float_round_mode_32 0
		.amdhsa_float_round_mode_16_64 0
		.amdhsa_float_denorm_mode_32 3
		.amdhsa_float_denorm_mode_16_64 3
		.amdhsa_dx10_clamp 1
		.amdhsa_ieee_mode 1
		.amdhsa_fp16_overflow 0
		.amdhsa_workgroup_processor_mode 1
		.amdhsa_memory_ordered 1
		.amdhsa_forward_progress 1
		.amdhsa_shared_vgpr_count 0
		.amdhsa_exception_fp_ieee_invalid_op 0
		.amdhsa_exception_fp_denorm_src 0
		.amdhsa_exception_fp_ieee_div_zero 0
		.amdhsa_exception_fp_ieee_overflow 0
		.amdhsa_exception_fp_ieee_underflow 0
		.amdhsa_exception_fp_ieee_inexact 0
		.amdhsa_exception_int_div_zero 0
	.end_amdhsa_kernel
	.section	.text._ZL13mul_mat_vec_qIL9ggml_type19ELi1ELb1ELb0EEvPKvS2_PKi31ggml_cuda_mm_fusion_args_devicePfj15HIP_vector_typeIjLj3EEjjjS8_jjjS8_jjjj,"axG",@progbits,_ZL13mul_mat_vec_qIL9ggml_type19ELi1ELb1ELb0EEvPKvS2_PKi31ggml_cuda_mm_fusion_args_devicePfj15HIP_vector_typeIjLj3EEjjjS8_jjjS8_jjjj,comdat
.Lfunc_end207:
	.size	_ZL13mul_mat_vec_qIL9ggml_type19ELi1ELb1ELb0EEvPKvS2_PKi31ggml_cuda_mm_fusion_args_devicePfj15HIP_vector_typeIjLj3EEjjjS8_jjjS8_jjjj, .Lfunc_end207-_ZL13mul_mat_vec_qIL9ggml_type19ELi1ELb1ELb0EEvPKvS2_PKi31ggml_cuda_mm_fusion_args_devicePfj15HIP_vector_typeIjLj3EEjjjS8_jjjS8_jjjj
                                        ; -- End function
	.set _ZL13mul_mat_vec_qIL9ggml_type19ELi1ELb1ELb0EEvPKvS2_PKi31ggml_cuda_mm_fusion_args_devicePfj15HIP_vector_typeIjLj3EEjjjS8_jjjS8_jjjj.num_vgpr, 36
	.set _ZL13mul_mat_vec_qIL9ggml_type19ELi1ELb1ELb0EEvPKvS2_PKi31ggml_cuda_mm_fusion_args_devicePfj15HIP_vector_typeIjLj3EEjjjS8_jjjS8_jjjj.num_agpr, 0
	.set _ZL13mul_mat_vec_qIL9ggml_type19ELi1ELb1ELb0EEvPKvS2_PKi31ggml_cuda_mm_fusion_args_devicePfj15HIP_vector_typeIjLj3EEjjjS8_jjjS8_jjjj.numbered_sgpr, 40
	.set _ZL13mul_mat_vec_qIL9ggml_type19ELi1ELb1ELb0EEvPKvS2_PKi31ggml_cuda_mm_fusion_args_devicePfj15HIP_vector_typeIjLj3EEjjjS8_jjjS8_jjjj.num_named_barrier, 0
	.set _ZL13mul_mat_vec_qIL9ggml_type19ELi1ELb1ELb0EEvPKvS2_PKi31ggml_cuda_mm_fusion_args_devicePfj15HIP_vector_typeIjLj3EEjjjS8_jjjS8_jjjj.private_seg_size, 0
	.set _ZL13mul_mat_vec_qIL9ggml_type19ELi1ELb1ELb0EEvPKvS2_PKi31ggml_cuda_mm_fusion_args_devicePfj15HIP_vector_typeIjLj3EEjjjS8_jjjS8_jjjj.uses_vcc, 1
	.set _ZL13mul_mat_vec_qIL9ggml_type19ELi1ELb1ELb0EEvPKvS2_PKi31ggml_cuda_mm_fusion_args_devicePfj15HIP_vector_typeIjLj3EEjjjS8_jjjS8_jjjj.uses_flat_scratch, 0
	.set _ZL13mul_mat_vec_qIL9ggml_type19ELi1ELb1ELb0EEvPKvS2_PKi31ggml_cuda_mm_fusion_args_devicePfj15HIP_vector_typeIjLj3EEjjjS8_jjjS8_jjjj.has_dyn_sized_stack, 0
	.set _ZL13mul_mat_vec_qIL9ggml_type19ELi1ELb1ELb0EEvPKvS2_PKi31ggml_cuda_mm_fusion_args_devicePfj15HIP_vector_typeIjLj3EEjjjS8_jjjS8_jjjj.has_recursion, 0
	.set _ZL13mul_mat_vec_qIL9ggml_type19ELi1ELb1ELb0EEvPKvS2_PKi31ggml_cuda_mm_fusion_args_devicePfj15HIP_vector_typeIjLj3EEjjjS8_jjjS8_jjjj.has_indirect_call, 0
	.section	.AMDGPU.csdata,"",@progbits
; Kernel info:
; codeLenInByte = 2732
; TotalNumSgprs: 42
; NumVgprs: 36
; ScratchSize: 0
; MemoryBound: 0
; FloatMode: 240
; IeeeMode: 1
; LDSByteSize: 0 bytes/workgroup (compile time only)
; SGPRBlocks: 0
; VGPRBlocks: 4
; NumSGPRsForWavesPerEU: 42
; NumVGPRsForWavesPerEU: 36
; Occupancy: 16
; WaveLimiterHint : 0
; COMPUTE_PGM_RSRC2:SCRATCH_EN: 0
; COMPUTE_PGM_RSRC2:USER_SGPR: 6
; COMPUTE_PGM_RSRC2:TRAP_HANDLER: 0
; COMPUTE_PGM_RSRC2:TGID_X_EN: 1
; COMPUTE_PGM_RSRC2:TGID_Y_EN: 1
; COMPUTE_PGM_RSRC2:TGID_Z_EN: 1
; COMPUTE_PGM_RSRC2:TIDIG_COMP_CNT: 1
	.section	.text._ZL13mul_mat_vec_qIL9ggml_type19ELi1ELb0ELb0EEvPKvS2_PKi31ggml_cuda_mm_fusion_args_devicePfj15HIP_vector_typeIjLj3EEjjjS8_jjjS8_jjjj,"axG",@progbits,_ZL13mul_mat_vec_qIL9ggml_type19ELi1ELb0ELb0EEvPKvS2_PKi31ggml_cuda_mm_fusion_args_devicePfj15HIP_vector_typeIjLj3EEjjjS8_jjjS8_jjjj,comdat
	.globl	_ZL13mul_mat_vec_qIL9ggml_type19ELi1ELb0ELb0EEvPKvS2_PKi31ggml_cuda_mm_fusion_args_devicePfj15HIP_vector_typeIjLj3EEjjjS8_jjjS8_jjjj ; -- Begin function _ZL13mul_mat_vec_qIL9ggml_type19ELi1ELb0ELb0EEvPKvS2_PKi31ggml_cuda_mm_fusion_args_devicePfj15HIP_vector_typeIjLj3EEjjjS8_jjjS8_jjjj
	.p2align	8
	.type	_ZL13mul_mat_vec_qIL9ggml_type19ELi1ELb0ELb0EEvPKvS2_PKi31ggml_cuda_mm_fusion_args_devicePfj15HIP_vector_typeIjLj3EEjjjS8_jjjS8_jjjj,@function
_ZL13mul_mat_vec_qIL9ggml_type19ELi1ELb0ELb0EEvPKvS2_PKi31ggml_cuda_mm_fusion_args_devicePfj15HIP_vector_typeIjLj3EEjjjS8_jjjS8_jjjj: ; @_ZL13mul_mat_vec_qIL9ggml_type19ELi1ELb0ELb0EEvPKvS2_PKi31ggml_cuda_mm_fusion_args_devicePfj15HIP_vector_typeIjLj3EEjjjS8_jjjS8_jjjj
; %bb.0:
	s_clause 0x1
	s_load_dwordx2 s[0:1], s[4:5], 0x10
	s_load_dwordx4 s[16:19], s[4:5], 0x40
	s_mov_b32 s10, s7
	s_waitcnt lgkmcnt(0)
	s_cmp_lg_u64 s[0:1], 0
	s_cselect_b32 s7, -1, 0
	s_cmp_eq_u64 s[0:1], 0
	s_cbranch_scc1 .LBB208_5
; %bb.1:
	s_mov_b32 s11, 0
	s_lshl_b64 s[2:3], s[10:11], 2
	s_add_u32 s0, s0, s2
	s_addc_u32 s1, s1, s3
	s_load_dword s20, s[0:1], 0x0
	s_clause 0x1
	s_load_dwordx4 s[0:3], s[4:5], 0x68
	s_load_dword s21, s[4:5], 0x50
	s_cbranch_execnz .LBB208_3
.LBB208_2:
	s_load_dwordx2 s[12:13], s[4:5], 0x5c
	s_waitcnt lgkmcnt(0)
	s_mul_hi_u32 s9, s12, s10
	s_add_i32 s9, s10, s9
	s_lshr_b32 s20, s9, s13
.LBB208_3:
	s_load_dword s11, s[4:5], 0x78
	s_andn2_b32 vcc_lo, exec_lo, s7
	s_cbranch_vccnz .LBB208_6
; %bb.4:
	s_mul_hi_u32 s7, s17, s10
	s_add_i32 s7, s10, s7
	s_lshr_b32 s7, s7, s18
	s_mul_i32 s7, s7, s19
	s_sub_i32 s17, s10, s7
	s_branch .LBB208_7
.LBB208_5:
                                        ; implicit-def: $sgpr20
	s_clause 0x1
	s_load_dwordx4 s[0:3], s[4:5], 0x68
	s_load_dword s21, s[4:5], 0x50
	s_branch .LBB208_2
.LBB208_6:
	s_mov_b32 s17, s10
.LBB208_7:
	s_load_dwordx4 s[12:15], s[4:5], 0x80
	v_lshl_or_b32 v2, v1, 5, v0
	v_mov_b32_e32 v4, 0
	s_lshr_b32 s9, s16, 8
	s_mov_b32 s7, exec_lo
	v_lshrrev_b32_e32 v5, 3, v2
	v_cmpx_gt_u32_e64 s9, v5
	s_cbranch_execz .LBB208_11
; %bb.8:
	v_lshrrev_b32_e32 v2, 3, v2
	s_waitcnt lgkmcnt(0)
	s_mul_i32 s1, s17, s1
	v_and_b32_e32 v7, 7, v0
	s_mul_hi_u32 s17, s1, 36
	s_mul_i32 s16, s1, 36
	s_mul_i32 s1, s13, s8
	v_mad_u64_u32 v[2:3], null, 0x120, v2, s[16:17]
	s_load_dwordx4 s[16:19], s[4:5], 0x0
	v_lshlrev_b32_e32 v6, 1, v7
	s_mul_i32 s21, s21, s6
	v_mov_b32_e32 v4, 0
	v_lshlrev_b32_e32 v6, 1, v6
	v_mad_u64_u32 v[2:3], null, s1, 36, v[2:3]
	s_mul_hi_u32 s1, s3, s8
	s_mul_i32 s3, s20, s0
	s_add_i32 s1, s8, s1
	s_lshr_b32 s0, s1, s11
	s_mov_b32 s1, 0
	v_mad_u64_u32 v[2:3], null, v7, 36, v[2:3]
	s_mul_i32 s0, s0, s12
	v_lshlrev_b32_e32 v7, 1, v7
	s_add_i32 s0, s0, s21
	s_mov_b32 s11, 0xb7000000
	s_add_i32 s3, s3, s0
	s_waitcnt lgkmcnt(0)
	v_add_co_u32 v2, vcc_lo, s18, v2
	v_add_co_ci_u32_e64 v3, null, s19, v3, vcc_lo
	v_add_co_u32 v2, vcc_lo, v2, 32
	v_add_co_ci_u32_e64 v3, null, 0, v3, vcc_lo
.LBB208_9:                              ; =>This Inner Loop Header: Depth=1
	v_add_nc_u32_e32 v8, s3, v5
	s_getpc_b64 s[12:13]
	s_add_u32 s12, s12, _ZL13iq1s_grid_gpu@rel32@lo+4
	s_addc_u32 s13, s13, _ZL13iq1s_grid_gpu@rel32@hi+12
	v_mov_b32_e32 v23, 0
	v_add_nc_u32_e32 v5, 4, v5
	v_mad_i64_i32 v[12:13], null, v8, 50, s[16:17]
	v_cmp_le_u32_e64 s0, s9, v5
	s_or_b32 s1, s0, s1
	v_add_co_u32 v8, vcc_lo, v12, v6
	v_add_co_ci_u32_e64 v9, null, 0, v13, vcc_lo
	v_add_co_u32 v10, vcc_lo, v12, v7
	v_add_co_ci_u32_e64 v11, null, 0, v13, vcc_lo
	s_clause 0x1
	global_load_dword v16, v[8:9], off offset:2
	global_load_ushort v17, v[10:11], off offset:34
	global_load_dwordx4 v[8:11], v[2:3], off offset:-32
	global_load_ushort v18, v[12:13], off
	global_load_dwordx4 v[12:15], v[2:3], off offset:-16
	s_waitcnt vmcnt(4)
	v_and_b32_e32 v19, 0xff, v16
	s_waitcnt vmcnt(3)
	v_lshlrev_b32_e32 v20, 8, v17
	v_lshlrev_b32_e32 v22, 5, v17
	v_lshrrev_b32_e32 v21, 24, v16
	v_and_or_b32 v19, 0x700, v20, v19
	v_bfe_u32 v20, v16, 8, 8
	v_bfe_u32 v16, v16, 16, 8
	v_lshlrev_b32_e32 v19, 2, v19
	v_and_or_b32 v20, 0x700, v22, v20
	v_lshlrev_b32_e32 v22, 2, v17
	global_load_dword v19, v19, s[12:13]
	v_lshlrev_b32_e32 v20, 2, v20
	v_and_or_b32 v16, 0x700, v22, v16
	v_lshrrev_b32_e32 v22, 1, v17
	global_load_dword v20, v20, s[12:13]
	v_lshlrev_b32_e32 v16, 2, v16
	v_and_or_b32 v21, 0x700, v22, v21
	global_load_dword v16, v16, s[12:13]
	v_lshlrev_b32_e32 v21, 2, v21
	global_load_dword v21, v21, s[12:13]
	global_load_dword v22, v[2:3], off
	v_add_co_u32 v2, vcc_lo, 0x480, v2
	v_add_co_ci_u32_e64 v3, null, 0, v3, vcc_lo
	s_waitcnt vmcnt(4)
	v_lshrrev_b32_e32 v24, 4, v19
	v_and_b32_e32 v19, 0xf0f0f0f, v19
	v_and_b32_e32 v24, 0xf0f0f0f, v24
	v_dot4c_i32_i8 v23, v19, v9
	s_waitcnt vmcnt(3)
	v_and_b32_e32 v9, 0xf0f0f0f, v20
	v_lshrrev_b32_e32 v19, 4, v20
	v_dot4c_i32_i8 v23, v24, v10
	v_and_b32_e32 v10, 0xf0f0f0f, v19
	v_dot4c_i32_i8 v23, v9, v11
	s_waitcnt vmcnt(2)
	v_and_b32_e32 v9, 0xf0f0f0f, v16
	v_lshrrev_b32_e32 v11, 4, v16
	v_dot4c_i32_i8 v23, v10, v12
	s_waitcnt vmcnt(1)
	v_lshrrev_b32_e32 v12, 4, v21
	v_and_b32_e32 v10, 0xf0f0f0f, v11
	v_and_b32_e32 v11, 0xf0f0f0f, v21
	v_dot4c_i32_i8 v23, v9, v13
	v_and_b32_e32 v9, 0x8000, v17
	v_and_b32_e32 v12, 0xf0f0f0f, v12
	v_dot4c_i32_i8 v23, v10, v14
	v_lshrrev_b32_e32 v10, 11, v17
	v_cvt_f32_u32_e32 v9, v9
	v_dot4c_i32_i8 v23, v11, v15
	v_cvt_f32_f16_sdwa v11, v8 dst_sel:DWORD dst_unused:UNUSED_PAD src0_sel:WORD_1
	v_and_or_b32 v10, v10, 14, 1
	v_fmaak_f32 v9, s11, v9, 0xbf600000
	s_waitcnt vmcnt(0)
	v_dot4c_i32_i8 v23, v12, v22
	v_cvt_f32_f16_e32 v12, v18
	v_cvt_f32_ubyte0_e32 v10, v10
	v_mul_f32_e32 v9, v9, v11
	v_cvt_f32_i32_e32 v11, v23
	v_mul_f32_e32 v10, v10, v12
	v_fma_mix_f32 v8, v11, v8, v9 op_sel_hi:[0,1,0]
	v_fmac_f32_e32 v4, v10, v8
	s_andn2_b32 exec_lo, exec_lo, s1
	s_cbranch_execnz .LBB208_9
; %bb.10:
	s_or_b32 exec_lo, exec_lo, s1
.LBB208_11:
	s_or_b32 exec_lo, exec_lo, s7
	s_waitcnt lgkmcnt(0)
	; wave barrier
	buffer_gl0_inv
	s_mov_b32 s0, exec_lo
	v_cmpx_eq_u32_e32 0, v1
	s_cbranch_execz .LBB208_14
; %bb.12:
	v_mbcnt_lo_u32_b32 v1, -1, 0
	v_xor_b32_e32 v2, 16, v1
	v_xor_b32_e32 v3, 8, v1
	v_cmp_gt_i32_e32 vcc_lo, 32, v2
	v_cndmask_b32_e32 v2, v1, v2, vcc_lo
	v_cmp_gt_i32_e32 vcc_lo, 32, v3
	v_lshlrev_b32_e32 v2, 2, v2
	v_cndmask_b32_e32 v3, v1, v3, vcc_lo
	ds_bpermute_b32 v2, v2, v4
	v_lshlrev_b32_e32 v3, 2, v3
	s_waitcnt lgkmcnt(0)
	v_add_f32_e32 v2, v4, v2
	v_xor_b32_e32 v4, 4, v1
	ds_bpermute_b32 v3, v3, v2
	v_cmp_gt_i32_e32 vcc_lo, 32, v4
	v_cndmask_b32_e32 v4, v1, v4, vcc_lo
	v_lshlrev_b32_e32 v4, 2, v4
	s_waitcnt lgkmcnt(0)
	v_add_f32_e32 v2, v2, v3
	ds_bpermute_b32 v3, v4, v2
	v_xor_b32_e32 v4, 2, v1
	v_cmp_gt_i32_e32 vcc_lo, 32, v4
	v_cndmask_b32_e32 v4, v1, v4, vcc_lo
	v_lshlrev_b32_e32 v4, 2, v4
	s_waitcnt lgkmcnt(0)
	v_add_f32_e32 v2, v2, v3
	ds_bpermute_b32 v3, v4, v2
	v_xor_b32_e32 v4, 1, v1
	v_cmp_gt_i32_e32 vcc_lo, 32, v4
	v_cndmask_b32_e32 v1, v1, v4, vcc_lo
	v_cmp_eq_u32_e32 vcc_lo, 0, v0
	v_lshlrev_b32_e32 v4, 2, v1
	s_waitcnt lgkmcnt(0)
	v_add_f32_e32 v1, v2, v3
	ds_bpermute_b32 v2, v4, v1
	s_and_b32 exec_lo, exec_lo, vcc_lo
	s_cbranch_execz .LBB208_14
; %bb.13:
	s_load_dwordx2 s[0:1], s[4:5], 0x38
	s_mul_i32 s2, s2, s10
	s_mul_i32 s3, s14, s8
	s_add_i32 s2, s2, s6
	s_waitcnt lgkmcnt(0)
	v_add_f32_e32 v0, v1, v2
	s_add_i32 s2, s2, s3
	s_mov_b32 s3, 0
	v_mov_b32_e32 v1, 0
	s_lshl_b64 s[2:3], s[2:3], 2
	s_add_u32 s0, s0, s2
	s_addc_u32 s1, s1, s3
	global_store_dword v1, v0, s[0:1]
.LBB208_14:
	s_endpgm
	.section	.rodata,"a",@progbits
	.p2align	6, 0x0
	.amdhsa_kernel _ZL13mul_mat_vec_qIL9ggml_type19ELi1ELb0ELb0EEvPKvS2_PKi31ggml_cuda_mm_fusion_args_devicePfj15HIP_vector_typeIjLj3EEjjjS8_jjjS8_jjjj
		.amdhsa_group_segment_fixed_size 0
		.amdhsa_private_segment_fixed_size 0
		.amdhsa_kernarg_size 144
		.amdhsa_user_sgpr_count 6
		.amdhsa_user_sgpr_private_segment_buffer 1
		.amdhsa_user_sgpr_dispatch_ptr 0
		.amdhsa_user_sgpr_queue_ptr 0
		.amdhsa_user_sgpr_kernarg_segment_ptr 1
		.amdhsa_user_sgpr_dispatch_id 0
		.amdhsa_user_sgpr_flat_scratch_init 0
		.amdhsa_user_sgpr_private_segment_size 0
		.amdhsa_wavefront_size32 1
		.amdhsa_uses_dynamic_stack 0
		.amdhsa_system_sgpr_private_segment_wavefront_offset 0
		.amdhsa_system_sgpr_workgroup_id_x 1
		.amdhsa_system_sgpr_workgroup_id_y 1
		.amdhsa_system_sgpr_workgroup_id_z 1
		.amdhsa_system_sgpr_workgroup_info 0
		.amdhsa_system_vgpr_workitem_id 1
		.amdhsa_next_free_vgpr 25
		.amdhsa_next_free_sgpr 22
		.amdhsa_reserve_vcc 1
		.amdhsa_reserve_flat_scratch 0
		.amdhsa_float_round_mode_32 0
		.amdhsa_float_round_mode_16_64 0
		.amdhsa_float_denorm_mode_32 3
		.amdhsa_float_denorm_mode_16_64 3
		.amdhsa_dx10_clamp 1
		.amdhsa_ieee_mode 1
		.amdhsa_fp16_overflow 0
		.amdhsa_workgroup_processor_mode 1
		.amdhsa_memory_ordered 1
		.amdhsa_forward_progress 1
		.amdhsa_shared_vgpr_count 0
		.amdhsa_exception_fp_ieee_invalid_op 0
		.amdhsa_exception_fp_denorm_src 0
		.amdhsa_exception_fp_ieee_div_zero 0
		.amdhsa_exception_fp_ieee_overflow 0
		.amdhsa_exception_fp_ieee_underflow 0
		.amdhsa_exception_fp_ieee_inexact 0
		.amdhsa_exception_int_div_zero 0
	.end_amdhsa_kernel
	.section	.text._ZL13mul_mat_vec_qIL9ggml_type19ELi1ELb0ELb0EEvPKvS2_PKi31ggml_cuda_mm_fusion_args_devicePfj15HIP_vector_typeIjLj3EEjjjS8_jjjS8_jjjj,"axG",@progbits,_ZL13mul_mat_vec_qIL9ggml_type19ELi1ELb0ELb0EEvPKvS2_PKi31ggml_cuda_mm_fusion_args_devicePfj15HIP_vector_typeIjLj3EEjjjS8_jjjS8_jjjj,comdat
.Lfunc_end208:
	.size	_ZL13mul_mat_vec_qIL9ggml_type19ELi1ELb0ELb0EEvPKvS2_PKi31ggml_cuda_mm_fusion_args_devicePfj15HIP_vector_typeIjLj3EEjjjS8_jjjS8_jjjj, .Lfunc_end208-_ZL13mul_mat_vec_qIL9ggml_type19ELi1ELb0ELb0EEvPKvS2_PKi31ggml_cuda_mm_fusion_args_devicePfj15HIP_vector_typeIjLj3EEjjjS8_jjjS8_jjjj
                                        ; -- End function
	.set _ZL13mul_mat_vec_qIL9ggml_type19ELi1ELb0ELb0EEvPKvS2_PKi31ggml_cuda_mm_fusion_args_devicePfj15HIP_vector_typeIjLj3EEjjjS8_jjjS8_jjjj.num_vgpr, 25
	.set _ZL13mul_mat_vec_qIL9ggml_type19ELi1ELb0ELb0EEvPKvS2_PKi31ggml_cuda_mm_fusion_args_devicePfj15HIP_vector_typeIjLj3EEjjjS8_jjjS8_jjjj.num_agpr, 0
	.set _ZL13mul_mat_vec_qIL9ggml_type19ELi1ELb0ELb0EEvPKvS2_PKi31ggml_cuda_mm_fusion_args_devicePfj15HIP_vector_typeIjLj3EEjjjS8_jjjS8_jjjj.numbered_sgpr, 22
	.set _ZL13mul_mat_vec_qIL9ggml_type19ELi1ELb0ELb0EEvPKvS2_PKi31ggml_cuda_mm_fusion_args_devicePfj15HIP_vector_typeIjLj3EEjjjS8_jjjS8_jjjj.num_named_barrier, 0
	.set _ZL13mul_mat_vec_qIL9ggml_type19ELi1ELb0ELb0EEvPKvS2_PKi31ggml_cuda_mm_fusion_args_devicePfj15HIP_vector_typeIjLj3EEjjjS8_jjjS8_jjjj.private_seg_size, 0
	.set _ZL13mul_mat_vec_qIL9ggml_type19ELi1ELb0ELb0EEvPKvS2_PKi31ggml_cuda_mm_fusion_args_devicePfj15HIP_vector_typeIjLj3EEjjjS8_jjjS8_jjjj.uses_vcc, 1
	.set _ZL13mul_mat_vec_qIL9ggml_type19ELi1ELb0ELb0EEvPKvS2_PKi31ggml_cuda_mm_fusion_args_devicePfj15HIP_vector_typeIjLj3EEjjjS8_jjjS8_jjjj.uses_flat_scratch, 0
	.set _ZL13mul_mat_vec_qIL9ggml_type19ELi1ELb0ELb0EEvPKvS2_PKi31ggml_cuda_mm_fusion_args_devicePfj15HIP_vector_typeIjLj3EEjjjS8_jjjS8_jjjj.has_dyn_sized_stack, 0
	.set _ZL13mul_mat_vec_qIL9ggml_type19ELi1ELb0ELb0EEvPKvS2_PKi31ggml_cuda_mm_fusion_args_devicePfj15HIP_vector_typeIjLj3EEjjjS8_jjjS8_jjjj.has_recursion, 0
	.set _ZL13mul_mat_vec_qIL9ggml_type19ELi1ELb0ELb0EEvPKvS2_PKi31ggml_cuda_mm_fusion_args_devicePfj15HIP_vector_typeIjLj3EEjjjS8_jjjS8_jjjj.has_indirect_call, 0
	.section	.AMDGPU.csdata,"",@progbits
; Kernel info:
; codeLenInByte = 1172
; TotalNumSgprs: 24
; NumVgprs: 25
; ScratchSize: 0
; MemoryBound: 0
; FloatMode: 240
; IeeeMode: 1
; LDSByteSize: 0 bytes/workgroup (compile time only)
; SGPRBlocks: 0
; VGPRBlocks: 3
; NumSGPRsForWavesPerEU: 24
; NumVGPRsForWavesPerEU: 25
; Occupancy: 16
; WaveLimiterHint : 0
; COMPUTE_PGM_RSRC2:SCRATCH_EN: 0
; COMPUTE_PGM_RSRC2:USER_SGPR: 6
; COMPUTE_PGM_RSRC2:TRAP_HANDLER: 0
; COMPUTE_PGM_RSRC2:TGID_X_EN: 1
; COMPUTE_PGM_RSRC2:TGID_Y_EN: 1
; COMPUTE_PGM_RSRC2:TGID_Z_EN: 1
; COMPUTE_PGM_RSRC2:TIDIG_COMP_CNT: 1
	.section	.text._ZL13mul_mat_vec_qIL9ggml_type19ELi2ELb0ELb0EEvPKvS2_PKi31ggml_cuda_mm_fusion_args_devicePfj15HIP_vector_typeIjLj3EEjjjS8_jjjS8_jjjj,"axG",@progbits,_ZL13mul_mat_vec_qIL9ggml_type19ELi2ELb0ELb0EEvPKvS2_PKi31ggml_cuda_mm_fusion_args_devicePfj15HIP_vector_typeIjLj3EEjjjS8_jjjS8_jjjj,comdat
	.globl	_ZL13mul_mat_vec_qIL9ggml_type19ELi2ELb0ELb0EEvPKvS2_PKi31ggml_cuda_mm_fusion_args_devicePfj15HIP_vector_typeIjLj3EEjjjS8_jjjS8_jjjj ; -- Begin function _ZL13mul_mat_vec_qIL9ggml_type19ELi2ELb0ELb0EEvPKvS2_PKi31ggml_cuda_mm_fusion_args_devicePfj15HIP_vector_typeIjLj3EEjjjS8_jjjS8_jjjj
	.p2align	8
	.type	_ZL13mul_mat_vec_qIL9ggml_type19ELi2ELb0ELb0EEvPKvS2_PKi31ggml_cuda_mm_fusion_args_devicePfj15HIP_vector_typeIjLj3EEjjjS8_jjjS8_jjjj,@function
_ZL13mul_mat_vec_qIL9ggml_type19ELi2ELb0ELb0EEvPKvS2_PKi31ggml_cuda_mm_fusion_args_devicePfj15HIP_vector_typeIjLj3EEjjjS8_jjjS8_jjjj: ; @_ZL13mul_mat_vec_qIL9ggml_type19ELi2ELb0ELb0EEvPKvS2_PKi31ggml_cuda_mm_fusion_args_devicePfj15HIP_vector_typeIjLj3EEjjjS8_jjjS8_jjjj
; %bb.0:
	s_clause 0x5
	s_load_dword s9, s[4:5], 0x40
	s_load_dwordx4 s[0:3], s[4:5], 0x50
	s_load_dword s11, s[4:5], 0x60
	s_load_dwordx4 s[12:15], s[4:5], 0x68
	;; [unrolled: 2-line block ×3, first 2 shown]
	v_lshl_or_b32 v2, v1, 5, v0
	v_mov_b32_e32 v6, 0
	v_mov_b32_e32 v8, 0
	v_lshrrev_b32_e32 v7, 3, v2
	s_waitcnt lgkmcnt(0)
	s_lshr_b32 s10, s9, 8
	s_mov_b32 s9, exec_lo
	v_cmpx_gt_u32_e64 s10, v7
	s_cbranch_execz .LBB209_4
; %bb.1:
	s_mul_i32 s13, s13, s7
	s_mul_hi_u32 s3, s3, s7
	s_mul_hi_u32 s27, s13, 36
	s_mul_i32 s26, s13, 36
	s_add_i32 s3, s7, s3
	v_mad_u64_u32 v[2:3], null, 0x120, v7, s[26:27]
	s_load_dwordx4 s[20:23], s[4:5], 0x0
	s_lshr_b32 s3, s3, s11
	v_and_b32_e32 v8, 7, v0
	s_mul_i32 s3, s3, s12
	s_mul_i32 s12, s17, s8
	s_mul_hi_u32 s15, s15, s8
	v_mad_u64_u32 v[2:3], null, s12, 36, v[2:3]
	s_add_i32 s13, s8, s15
	v_lshlrev_b32_e32 v10, 1, v8
	s_lshr_b32 s11, s13, s24
	s_mul_hi_u32 s13, s12, 36
	s_mul_i32 s12, s12, 36
	s_mul_i32 s0, s0, s6
	v_mad_u64_u32 v[4:5], null, v8, 36, v[2:3]
	v_mov_b32_e32 v6, 0
	v_lshl_add_u32 v9, v7, 3, s1
	v_lshlrev_b32_e32 v10, 1, v10
	v_lshlrev_b32_e32 v11, 1, v8
	s_waitcnt lgkmcnt(0)
	s_add_u32 s12, s22, s12
	s_addc_u32 s13, s23, s13
	v_add_co_u32 v4, vcc_lo, s22, v4
	s_add_u32 s12, s12, s26
	s_addc_u32 s13, s13, s27
	v_add_co_ci_u32_e64 v5, null, s23, v5, vcc_lo
	v_mad_u64_u32 v[2:3], null, v8, 36, s[12:13]
	v_add_co_u32 v4, vcc_lo, v4, 32
	v_add_co_ci_u32_e64 v5, null, 0, v5, vcc_lo
	v_mov_b32_e32 v8, 0
	s_mul_i32 s11, s11, s16
	s_add_i32 s3, s3, s0
	s_mov_b32 s1, 0
	s_add_i32 s3, s11, s3
	s_mov_b32 s11, 0xb7000000
.LBB209_2:                              ; =>This Inner Loop Header: Depth=1
	v_add_nc_u32_e32 v12, s3, v7
	v_mad_u64_u32 v[28:29], null, v9, 36, v[2:3]
	s_getpc_b64 s[12:13]
	s_add_u32 s12, s12, _ZL13iq1s_grid_gpu@rel32@lo+4
	s_addc_u32 s13, s13, _ZL13iq1s_grid_gpu@rel32@hi+12
	v_mov_b32_e32 v37, 0
	v_mad_i64_i32 v[24:25], null, v12, 50, s[20:21]
	v_add_nc_u32_e32 v7, 4, v7
	v_add_nc_u32_e32 v9, 32, v9
	v_cmp_le_u32_e64 s0, s10, v7
	v_add_co_u32 v12, vcc_lo, v24, v10
	v_add_co_ci_u32_e64 v13, null, 0, v25, vcc_lo
	v_add_co_u32 v14, vcc_lo, v24, v11
	v_add_co_ci_u32_e64 v15, null, 0, v25, vcc_lo
	s_clause 0x1
	global_load_dword v30, v[12:13], off offset:2
	global_load_ushort v31, v[14:15], off offset:34
	s_clause 0x1
	global_load_dwordx4 v[12:15], v[4:5], off offset:-32
	global_load_dwordx4 v[16:19], v[4:5], off offset:-16
	global_load_dwordx4 v[20:23], v[28:29], off
	global_load_ushort v32, v[24:25], off
	global_load_dwordx4 v[24:27], v[28:29], off offset:16
	s_or_b32 s1, s0, s1
	s_waitcnt vmcnt(6)
	v_and_b32_e32 v33, 0xff, v30
	s_waitcnt vmcnt(5)
	v_lshlrev_b32_e32 v34, 8, v31
	v_lshlrev_b32_e32 v36, 5, v31
	v_lshrrev_b32_e32 v35, 24, v30
	v_and_or_b32 v33, 0x700, v34, v33
	v_bfe_u32 v34, v30, 8, 8
	v_bfe_u32 v30, v30, 16, 8
	v_lshlrev_b32_e32 v33, 2, v33
	v_and_or_b32 v34, 0x700, v36, v34
	v_lshlrev_b32_e32 v36, 2, v31
	global_load_dword v33, v33, s[12:13]
	v_lshlrev_b32_e32 v34, 2, v34
	v_and_or_b32 v30, 0x700, v36, v30
	v_lshrrev_b32_e32 v36, 1, v31
	global_load_dword v34, v34, s[12:13]
	v_lshlrev_b32_e32 v30, 2, v30
	v_and_or_b32 v35, 0x700, v36, v35
	global_load_dword v30, v30, s[12:13]
	v_lshlrev_b32_e32 v35, 2, v35
	global_load_dword v35, v35, s[12:13]
	global_load_dword v36, v[4:5], off
	global_load_dword v28, v[28:29], off offset:32
	v_mov_b32_e32 v29, 0
	v_add_co_u32 v4, vcc_lo, 0x480, v4
	v_add_co_ci_u32_e64 v5, null, 0, v5, vcc_lo
	s_waitcnt vmcnt(5)
	v_lshrrev_b32_e32 v38, 4, v33
	v_and_b32_e32 v33, 0xf0f0f0f, v33
	v_and_b32_e32 v38, 0xf0f0f0f, v38
	v_dot4c_i32_i8 v29, v33, v13
	v_dot4c_i32_i8 v37, v33, v21
	s_waitcnt vmcnt(4)
	v_and_b32_e32 v13, 0xf0f0f0f, v34
	v_lshrrev_b32_e32 v21, 4, v34
	v_dot4c_i32_i8 v29, v38, v14
	v_dot4c_i32_i8 v37, v38, v22
	v_and_b32_e32 v14, 0xf0f0f0f, v21
	s_waitcnt vmcnt(3)
	v_lshrrev_b32_e32 v21, 4, v30
	v_dot4c_i32_i8 v29, v13, v15
	v_dot4c_i32_i8 v37, v13, v23
	v_and_b32_e32 v15, 0xf0f0f0f, v30
	s_waitcnt vmcnt(2)
	v_lshrrev_b32_e32 v22, 4, v35
	v_and_b32_e32 v21, 0xf0f0f0f, v21
	v_dot4c_i32_i8 v29, v14, v16
	v_dot4c_i32_i8 v37, v14, v24
	v_cvt_f32_f16_sdwa v13, v12 dst_sel:DWORD dst_unused:UNUSED_PAD src0_sel:WORD_1
	v_cvt_f32_f16_sdwa v14, v20 dst_sel:DWORD dst_unused:UNUSED_PAD src0_sel:WORD_1
	v_cvt_f32_f16_e32 v16, v32
	v_dot4c_i32_i8 v29, v15, v17
	v_dot4c_i32_i8 v37, v15, v25
	v_and_b32_e32 v15, 0x8000, v31
	v_and_b32_e32 v17, 0xf0f0f0f, v35
	v_dot4c_i32_i8 v29, v21, v18
	v_dot4c_i32_i8 v37, v21, v26
	v_lshrrev_b32_e32 v18, 11, v31
	v_cvt_f32_u32_e32 v15, v15
	v_and_b32_e32 v21, 0xf0f0f0f, v22
	v_dot4c_i32_i8 v29, v17, v19
	v_dot4c_i32_i8 v37, v17, v27
	v_and_or_b32 v17, v18, 14, 1
	v_fmaak_f32 v15, s11, v15, 0xbf600000
	s_waitcnt vmcnt(1)
	v_dot4c_i32_i8 v29, v21, v36
	s_waitcnt vmcnt(0)
	v_dot4c_i32_i8 v37, v21, v28
	v_cvt_f32_ubyte0_e32 v17, v17
	v_mul_f32_e32 v13, v15, v13
	v_mul_f32_e32 v14, v15, v14
	v_cvt_f32_i32_e32 v15, v29
	v_cvt_f32_i32_e32 v18, v37
	v_mul_f32_e32 v16, v17, v16
	v_fma_mix_f32 v12, v15, v12, v13 op_sel_hi:[0,1,0]
	v_fma_mix_f32 v13, v18, v20, v14 op_sel_hi:[0,1,0]
	v_fmac_f32_e32 v8, v16, v12
	v_fmac_f32_e32 v6, v16, v13
	s_andn2_b32 exec_lo, exec_lo, s1
	s_cbranch_execnz .LBB209_2
; %bb.3:
	s_or_b32 exec_lo, exec_lo, s1
.LBB209_4:
	s_or_b32 exec_lo, exec_lo, s9
	s_mov_b32 s1, 0
	; wave barrier
	buffer_gl0_inv
	s_mov_b32 s0, exec_lo
	v_cmpx_eq_u32_e32 0, v1
	s_cbranch_execz .LBB209_9
; %bb.5:
	v_mbcnt_lo_u32_b32 v5, -1, 0
	s_load_dwordx2 s[4:5], s[4:5], 0x38
	s_mul_i32 s0, s14, s7
	s_mul_i32 s3, s18, s8
	s_add_i32 s0, s0, s6
	v_xor_b32_e32 v1, 16, v5
	v_xor_b32_e32 v2, 8, v5
	;; [unrolled: 1-line block ×3, first 2 shown]
	s_add_i32 s0, s0, s3
	s_lshl_b64 s[0:1], s[0:1], 2
	v_cmp_gt_i32_e32 vcc_lo, 32, v1
	v_cndmask_b32_e32 v1, v5, v1, vcc_lo
	v_cmp_gt_i32_e32 vcc_lo, 32, v2
	v_lshlrev_b32_e32 v1, 2, v1
	v_cndmask_b32_e32 v2, v5, v2, vcc_lo
	s_waitcnt lgkmcnt(0)
	s_add_u32 s0, s4, s0
	s_addc_u32 s1, s5, s1
	ds_bpermute_b32 v3, v1, v8
	v_lshlrev_b32_e32 v2, 2, v2
	s_waitcnt lgkmcnt(0)
	v_add_f32_e32 v4, v8, v3
	v_xor_b32_e32 v3, 4, v5
	ds_bpermute_b32 v7, v2, v4
	v_cmp_gt_i32_e32 vcc_lo, 32, v3
	v_cndmask_b32_e32 v3, v5, v3, vcc_lo
	v_lshlrev_b32_e32 v3, 2, v3
	s_waitcnt lgkmcnt(0)
	v_add_f32_e32 v7, v4, v7
	v_xor_b32_e32 v4, 2, v5
	ds_bpermute_b32 v8, v3, v7
	v_cmp_gt_i32_e32 vcc_lo, 32, v4
	v_cndmask_b32_e32 v4, v5, v4, vcc_lo
	v_cmp_gt_i32_e32 vcc_lo, 32, v9
	v_lshlrev_b32_e32 v4, 2, v4
	v_cndmask_b32_e32 v5, v5, v9, vcc_lo
	v_cmp_eq_u32_e32 vcc_lo, 0, v0
	v_lshlrev_b32_e32 v5, 2, v5
	s_waitcnt lgkmcnt(0)
	v_add_f32_e32 v7, v7, v8
	ds_bpermute_b32 v8, v4, v7
	s_waitcnt lgkmcnt(0)
	v_add_f32_e32 v7, v7, v8
	ds_bpermute_b32 v8, v5, v7
	s_and_saveexec_b32 s3, vcc_lo
	s_cbranch_execz .LBB209_7
; %bb.6:
	s_waitcnt lgkmcnt(0)
	v_add_f32_e32 v0, v7, v8
	v_mov_b32_e32 v7, 0
	global_store_dword v7, v0, s[0:1]
.LBB209_7:
	s_or_b32 exec_lo, exec_lo, s3
	ds_bpermute_b32 v0, v1, v6
	s_waitcnt lgkmcnt(0)
	v_add_f32_e32 v0, v6, v0
	ds_bpermute_b32 v1, v2, v0
	s_waitcnt lgkmcnt(0)
	v_add_f32_e32 v0, v0, v1
	;; [unrolled: 3-line block ×4, first 2 shown]
	ds_bpermute_b32 v1, v5, v0
	s_and_b32 exec_lo, exec_lo, vcc_lo
	s_cbranch_execz .LBB209_9
; %bb.8:
	s_mov_b32 s3, 0
	s_waitcnt lgkmcnt(0)
	v_add_f32_e32 v0, v0, v1
	s_lshl_b64 s[2:3], s[2:3], 2
	v_mov_b32_e32 v1, 0
	s_add_u32 s0, s0, s2
	s_addc_u32 s1, s1, s3
	global_store_dword v1, v0, s[0:1]
.LBB209_9:
	s_endpgm
	.section	.rodata,"a",@progbits
	.p2align	6, 0x0
	.amdhsa_kernel _ZL13mul_mat_vec_qIL9ggml_type19ELi2ELb0ELb0EEvPKvS2_PKi31ggml_cuda_mm_fusion_args_devicePfj15HIP_vector_typeIjLj3EEjjjS8_jjjS8_jjjj
		.amdhsa_group_segment_fixed_size 0
		.amdhsa_private_segment_fixed_size 0
		.amdhsa_kernarg_size 144
		.amdhsa_user_sgpr_count 6
		.amdhsa_user_sgpr_private_segment_buffer 1
		.amdhsa_user_sgpr_dispatch_ptr 0
		.amdhsa_user_sgpr_queue_ptr 0
		.amdhsa_user_sgpr_kernarg_segment_ptr 1
		.amdhsa_user_sgpr_dispatch_id 0
		.amdhsa_user_sgpr_flat_scratch_init 0
		.amdhsa_user_sgpr_private_segment_size 0
		.amdhsa_wavefront_size32 1
		.amdhsa_uses_dynamic_stack 0
		.amdhsa_system_sgpr_private_segment_wavefront_offset 0
		.amdhsa_system_sgpr_workgroup_id_x 1
		.amdhsa_system_sgpr_workgroup_id_y 1
		.amdhsa_system_sgpr_workgroup_id_z 1
		.amdhsa_system_sgpr_workgroup_info 0
		.amdhsa_system_vgpr_workitem_id 1
		.amdhsa_next_free_vgpr 39
		.amdhsa_next_free_sgpr 28
		.amdhsa_reserve_vcc 1
		.amdhsa_reserve_flat_scratch 0
		.amdhsa_float_round_mode_32 0
		.amdhsa_float_round_mode_16_64 0
		.amdhsa_float_denorm_mode_32 3
		.amdhsa_float_denorm_mode_16_64 3
		.amdhsa_dx10_clamp 1
		.amdhsa_ieee_mode 1
		.amdhsa_fp16_overflow 0
		.amdhsa_workgroup_processor_mode 1
		.amdhsa_memory_ordered 1
		.amdhsa_forward_progress 1
		.amdhsa_shared_vgpr_count 0
		.amdhsa_exception_fp_ieee_invalid_op 0
		.amdhsa_exception_fp_denorm_src 0
		.amdhsa_exception_fp_ieee_div_zero 0
		.amdhsa_exception_fp_ieee_overflow 0
		.amdhsa_exception_fp_ieee_underflow 0
		.amdhsa_exception_fp_ieee_inexact 0
		.amdhsa_exception_int_div_zero 0
	.end_amdhsa_kernel
	.section	.text._ZL13mul_mat_vec_qIL9ggml_type19ELi2ELb0ELb0EEvPKvS2_PKi31ggml_cuda_mm_fusion_args_devicePfj15HIP_vector_typeIjLj3EEjjjS8_jjjS8_jjjj,"axG",@progbits,_ZL13mul_mat_vec_qIL9ggml_type19ELi2ELb0ELb0EEvPKvS2_PKi31ggml_cuda_mm_fusion_args_devicePfj15HIP_vector_typeIjLj3EEjjjS8_jjjS8_jjjj,comdat
.Lfunc_end209:
	.size	_ZL13mul_mat_vec_qIL9ggml_type19ELi2ELb0ELb0EEvPKvS2_PKi31ggml_cuda_mm_fusion_args_devicePfj15HIP_vector_typeIjLj3EEjjjS8_jjjS8_jjjj, .Lfunc_end209-_ZL13mul_mat_vec_qIL9ggml_type19ELi2ELb0ELb0EEvPKvS2_PKi31ggml_cuda_mm_fusion_args_devicePfj15HIP_vector_typeIjLj3EEjjjS8_jjjS8_jjjj
                                        ; -- End function
	.set _ZL13mul_mat_vec_qIL9ggml_type19ELi2ELb0ELb0EEvPKvS2_PKi31ggml_cuda_mm_fusion_args_devicePfj15HIP_vector_typeIjLj3EEjjjS8_jjjS8_jjjj.num_vgpr, 39
	.set _ZL13mul_mat_vec_qIL9ggml_type19ELi2ELb0ELb0EEvPKvS2_PKi31ggml_cuda_mm_fusion_args_devicePfj15HIP_vector_typeIjLj3EEjjjS8_jjjS8_jjjj.num_agpr, 0
	.set _ZL13mul_mat_vec_qIL9ggml_type19ELi2ELb0ELb0EEvPKvS2_PKi31ggml_cuda_mm_fusion_args_devicePfj15HIP_vector_typeIjLj3EEjjjS8_jjjS8_jjjj.numbered_sgpr, 28
	.set _ZL13mul_mat_vec_qIL9ggml_type19ELi2ELb0ELb0EEvPKvS2_PKi31ggml_cuda_mm_fusion_args_devicePfj15HIP_vector_typeIjLj3EEjjjS8_jjjS8_jjjj.num_named_barrier, 0
	.set _ZL13mul_mat_vec_qIL9ggml_type19ELi2ELb0ELb0EEvPKvS2_PKi31ggml_cuda_mm_fusion_args_devicePfj15HIP_vector_typeIjLj3EEjjjS8_jjjS8_jjjj.private_seg_size, 0
	.set _ZL13mul_mat_vec_qIL9ggml_type19ELi2ELb0ELb0EEvPKvS2_PKi31ggml_cuda_mm_fusion_args_devicePfj15HIP_vector_typeIjLj3EEjjjS8_jjjS8_jjjj.uses_vcc, 1
	.set _ZL13mul_mat_vec_qIL9ggml_type19ELi2ELb0ELb0EEvPKvS2_PKi31ggml_cuda_mm_fusion_args_devicePfj15HIP_vector_typeIjLj3EEjjjS8_jjjS8_jjjj.uses_flat_scratch, 0
	.set _ZL13mul_mat_vec_qIL9ggml_type19ELi2ELb0ELb0EEvPKvS2_PKi31ggml_cuda_mm_fusion_args_devicePfj15HIP_vector_typeIjLj3EEjjjS8_jjjS8_jjjj.has_dyn_sized_stack, 0
	.set _ZL13mul_mat_vec_qIL9ggml_type19ELi2ELb0ELb0EEvPKvS2_PKi31ggml_cuda_mm_fusion_args_devicePfj15HIP_vector_typeIjLj3EEjjjS8_jjjS8_jjjj.has_recursion, 0
	.set _ZL13mul_mat_vec_qIL9ggml_type19ELi2ELb0ELb0EEvPKvS2_PKi31ggml_cuda_mm_fusion_args_devicePfj15HIP_vector_typeIjLj3EEjjjS8_jjjS8_jjjj.has_indirect_call, 0
	.section	.AMDGPU.csdata,"",@progbits
; Kernel info:
; codeLenInByte = 1316
; TotalNumSgprs: 30
; NumVgprs: 39
; ScratchSize: 0
; MemoryBound: 0
; FloatMode: 240
; IeeeMode: 1
; LDSByteSize: 0 bytes/workgroup (compile time only)
; SGPRBlocks: 0
; VGPRBlocks: 4
; NumSGPRsForWavesPerEU: 30
; NumVGPRsForWavesPerEU: 39
; Occupancy: 16
; WaveLimiterHint : 0
; COMPUTE_PGM_RSRC2:SCRATCH_EN: 0
; COMPUTE_PGM_RSRC2:USER_SGPR: 6
; COMPUTE_PGM_RSRC2:TRAP_HANDLER: 0
; COMPUTE_PGM_RSRC2:TGID_X_EN: 1
; COMPUTE_PGM_RSRC2:TGID_Y_EN: 1
; COMPUTE_PGM_RSRC2:TGID_Z_EN: 1
; COMPUTE_PGM_RSRC2:TIDIG_COMP_CNT: 1
	.section	.text._ZL13mul_mat_vec_qIL9ggml_type19ELi3ELb0ELb0EEvPKvS2_PKi31ggml_cuda_mm_fusion_args_devicePfj15HIP_vector_typeIjLj3EEjjjS8_jjjS8_jjjj,"axG",@progbits,_ZL13mul_mat_vec_qIL9ggml_type19ELi3ELb0ELb0EEvPKvS2_PKi31ggml_cuda_mm_fusion_args_devicePfj15HIP_vector_typeIjLj3EEjjjS8_jjjS8_jjjj,comdat
	.globl	_ZL13mul_mat_vec_qIL9ggml_type19ELi3ELb0ELb0EEvPKvS2_PKi31ggml_cuda_mm_fusion_args_devicePfj15HIP_vector_typeIjLj3EEjjjS8_jjjS8_jjjj ; -- Begin function _ZL13mul_mat_vec_qIL9ggml_type19ELi3ELb0ELb0EEvPKvS2_PKi31ggml_cuda_mm_fusion_args_devicePfj15HIP_vector_typeIjLj3EEjjjS8_jjjS8_jjjj
	.p2align	8
	.type	_ZL13mul_mat_vec_qIL9ggml_type19ELi3ELb0ELb0EEvPKvS2_PKi31ggml_cuda_mm_fusion_args_devicePfj15HIP_vector_typeIjLj3EEjjjS8_jjjS8_jjjj,@function
_ZL13mul_mat_vec_qIL9ggml_type19ELi3ELb0ELb0EEvPKvS2_PKi31ggml_cuda_mm_fusion_args_devicePfj15HIP_vector_typeIjLj3EEjjjS8_jjjS8_jjjj: ; @_ZL13mul_mat_vec_qIL9ggml_type19ELi3ELb0ELb0EEvPKvS2_PKi31ggml_cuda_mm_fusion_args_devicePfj15HIP_vector_typeIjLj3EEjjjS8_jjjS8_jjjj
; %bb.0:
	s_clause 0x5
	s_load_dword s9, s[4:5], 0x40
	s_load_dwordx4 s[0:3], s[4:5], 0x50
	s_load_dword s11, s[4:5], 0x60
	s_load_dwordx4 s[12:15], s[4:5], 0x68
	;; [unrolled: 2-line block ×3, first 2 shown]
	v_lshl_or_b32 v2, v1, 5, v0
	v_mov_b32_e32 v6, 0
	v_mov_b32_e32 v7, 0
	;; [unrolled: 1-line block ×3, first 2 shown]
	v_lshrrev_b32_e32 v8, 3, v2
	s_waitcnt lgkmcnt(0)
	s_lshr_b32 s10, s9, 8
	s_mov_b32 s9, exec_lo
	v_cmpx_gt_u32_e64 s10, v8
	s_cbranch_execz .LBB210_4
; %bb.1:
	s_mul_i32 s13, s13, s7
	s_load_dwordx4 s[20:23], s[4:5], 0x0
	s_mul_hi_u32 s27, s13, 36
	s_mul_i32 s26, s13, 36
	s_mul_i32 s17, s17, s8
	v_mad_u64_u32 v[2:3], null, 0x120, v8, s[26:27]
	v_and_b32_e32 v7, 7, v0
	s_mul_hi_u32 s3, s3, s7
	s_mul_hi_u32 s15, s15, s8
	s_add_i32 s3, s7, s3
	s_add_i32 s15, s8, s15
	s_mul_i32 s19, s17, 36
	v_mad_u64_u32 v[2:3], null, s17, 36, v[2:3]
	s_lshr_b32 s3, s3, s11
	s_mul_hi_u32 s13, s17, 36
	s_lshr_b32 s11, s15, s24
	s_mul_i32 s3, s3, s12
	v_lshlrev_b32_e32 v9, 3, v8
	v_lshlrev_b32_e32 v12, 1, v7
	v_mad_u64_u32 v[4:5], null, v7, 36, v[2:3]
	s_waitcnt lgkmcnt(0)
	s_add_u32 s12, s22, s19
	s_addc_u32 s13, s23, s13
	s_add_u32 s12, s12, s26
	s_addc_u32 s13, s13, s27
	s_mul_i32 s0, s0, s6
	v_mad_u64_u32 v[2:3], null, v7, 36, s[12:13]
	v_add_co_u32 v4, vcc_lo, s22, v4
	v_add_co_ci_u32_e64 v5, null, s23, v5, vcc_lo
	v_mov_b32_e32 v6, 0
	v_add_co_u32 v4, vcc_lo, v4, 16
	v_add_nc_u32_e32 v10, s1, v9
	v_lshl_add_u32 v11, s1, 1, v9
	v_add_co_ci_u32_e64 v5, null, 0, v5, vcc_lo
	v_lshlrev_b32_e32 v12, 1, v12
	v_lshlrev_b32_e32 v13, 1, v7
	v_mov_b32_e32 v7, 0
	v_mov_b32_e32 v9, 0
	s_mul_i32 s11, s11, s16
	s_add_i32 s3, s3, s0
	s_mov_b32 s0, 0
	s_add_i32 s1, s11, s3
	s_mov_b32 s3, 0xb7000000
.LBB210_2:                              ; =>This Inner Loop Header: Depth=1
	v_add_nc_u32_e32 v14, s1, v8
	v_mad_u64_u32 v[30:31], null, v10, 36, v[2:3]
	v_mad_u64_u32 v[34:35], null, v11, 36, v[2:3]
	v_mad_i64_i32 v[38:39], null, v14, 50, s[20:21]
	s_getpc_b64 s[12:13]
	s_add_u32 s12, s12, _ZL13iq1s_grid_gpu@rel32@lo+4
	s_addc_u32 s13, s13, _ZL13iq1s_grid_gpu@rel32@hi+12
	v_add_nc_u32_e32 v8, 4, v8
	v_add_nc_u32_e32 v10, 32, v10
	v_add_nc_u32_e32 v11, 32, v11
	v_add_co_u32 v14, vcc_lo, v38, v12
	v_add_co_ci_u32_e64 v15, null, 0, v39, vcc_lo
	v_add_co_u32 v16, vcc_lo, v38, v13
	v_add_co_ci_u32_e64 v17, null, 0, v39, vcc_lo
	s_clause 0x1
	global_load_dword v40, v[14:15], off offset:2
	global_load_ushort v41, v[16:17], off offset:34
	s_clause 0x1
	global_load_dwordx4 v[14:17], v[4:5], off offset:-16
	global_load_dwordx4 v[18:21], v[4:5], off
	s_clause 0x5
	global_load_dwordx4 v[22:25], v[30:31], off
	global_load_dwordx4 v[26:29], v[30:31], off offset:16
	global_load_dword v42, v[30:31], off offset:32
	global_load_dwordx4 v[30:33], v[34:35], off
	global_load_dword v43, v[34:35], off offset:32
	global_load_dwordx4 v[34:37], v[34:35], off offset:16
	global_load_ushort v38, v[38:39], off
	s_waitcnt vmcnt(8)
	v_cvt_f32_f16_sdwa v50, v14 dst_sel:DWORD dst_unused:UNUSED_PAD src0_sel:WORD_1
	s_waitcnt vmcnt(6)
	v_cvt_f32_f16_sdwa v51, v22 dst_sel:DWORD dst_unused:UNUSED_PAD src0_sel:WORD_1
	;; [unrolled: 2-line block ×3, first 2 shown]
	v_and_b32_e32 v44, 0xff, v40
	v_lshlrev_b32_e32 v45, 8, v41
	v_bfe_u32 v46, v40, 8, 8
	v_lshlrev_b32_e32 v47, 5, v41
	v_lshrrev_b32_e32 v39, 24, v40
	v_bfe_u32 v40, v40, 16, 8
	v_lshlrev_b32_e32 v48, 2, v41
	v_lshrrev_b32_e32 v49, 1, v41
	v_and_or_b32 v44, 0x700, v45, v44
	v_and_or_b32 v45, 0x700, v47, v46
	v_mov_b32_e32 v47, 0
	v_and_or_b32 v40, 0x700, v48, v40
	v_and_or_b32 v39, 0x700, v49, v39
	v_lshlrev_b32_e32 v44, 2, v44
	v_lshlrev_b32_e32 v45, 2, v45
	v_mov_b32_e32 v48, 0
	v_lshlrev_b32_e32 v40, 2, v40
	v_lshlrev_b32_e32 v39, 2, v39
	s_clause 0x3
	global_load_dword v44, v44, s[12:13]
	global_load_dword v45, v45, s[12:13]
	;; [unrolled: 1-line block ×4, first 2 shown]
	global_load_dword v46, v[4:5], off offset:16
	v_mov_b32_e32 v49, 0
	v_and_b32_e32 v53, 0x8000, v41
	v_lshrrev_b32_e32 v41, 11, v41
	s_waitcnt vmcnt(5)
	v_cvt_f32_f16_e32 v38, v38
	v_add_co_u32 v4, vcc_lo, 0x480, v4
	v_cvt_f32_u32_e32 v53, v53
	v_and_or_b32 v41, v41, 14, 1
	v_add_co_ci_u32_e64 v5, null, 0, v5, vcc_lo
	v_cmp_le_u32_e32 vcc_lo, s10, v8
	v_fmaak_f32 v53, s3, v53, 0xbf600000
	v_cvt_f32_ubyte0_e32 v41, v41
	s_or_b32 s0, vcc_lo, s0
	v_mul_f32_e32 v50, v53, v50
	s_waitcnt vmcnt(4)
	v_lshrrev_b32_e32 v54, 4, v44
	v_and_b32_e32 v44, 0xf0f0f0f, v44
	s_waitcnt vmcnt(3)
	v_and_b32_e32 v55, 0xf0f0f0f, v45
	v_lshrrev_b32_e32 v45, 4, v45
	s_waitcnt vmcnt(2)
	v_and_b32_e32 v56, 0xf0f0f0f, v40
	v_and_b32_e32 v54, 0xf0f0f0f, v54
	v_dot4c_i32_i8 v47, v44, v15
	v_dot4c_i32_i8 v48, v44, v23
	;; [unrolled: 1-line block ×3, first 2 shown]
	v_lshrrev_b32_e32 v15, 4, v40
	v_dot4c_i32_i8 v47, v54, v16
	v_dot4c_i32_i8 v48, v54, v24
	;; [unrolled: 1-line block ×3, first 2 shown]
	v_and_b32_e32 v16, 0xf0f0f0f, v45
	v_and_b32_e32 v15, 0xf0f0f0f, v15
	v_dot4c_i32_i8 v47, v55, v17
	v_dot4c_i32_i8 v48, v55, v25
	;; [unrolled: 1-line block ×3, first 2 shown]
	s_waitcnt vmcnt(1)
	v_and_b32_e32 v17, 0xf0f0f0f, v39
	v_dot4c_i32_i8 v47, v16, v18
	v_dot4c_i32_i8 v48, v16, v26
	;; [unrolled: 1-line block ×3, first 2 shown]
	v_lshrrev_b32_e32 v16, 4, v39
	v_dot4c_i32_i8 v47, v56, v19
	v_dot4c_i32_i8 v48, v56, v27
	;; [unrolled: 1-line block ×6, first 2 shown]
	v_and_b32_e32 v15, 0xf0f0f0f, v16
	v_mul_f32_e32 v16, v53, v51
	v_dot4c_i32_i8 v47, v17, v21
	v_dot4c_i32_i8 v48, v17, v29
	;; [unrolled: 1-line block ×3, first 2 shown]
	v_mul_f32_e32 v20, v41, v38
	s_waitcnt vmcnt(0)
	v_dot4c_i32_i8 v47, v15, v46
	v_dot4c_i32_i8 v48, v15, v42
	v_dot4c_i32_i8 v49, v15, v43
	v_mul_f32_e32 v15, v53, v52
	v_cvt_f32_i32_e32 v17, v47
	v_cvt_f32_i32_e32 v18, v48
	;; [unrolled: 1-line block ×3, first 2 shown]
	v_fma_mix_f32 v14, v17, v14, v50 op_sel_hi:[0,1,0]
	v_fma_mix_f32 v16, v18, v22, v16 op_sel_hi:[0,1,0]
	;; [unrolled: 1-line block ×3, first 2 shown]
	v_fmac_f32_e32 v9, v20, v14
	v_fmac_f32_e32 v7, v20, v16
	;; [unrolled: 1-line block ×3, first 2 shown]
	s_andn2_b32 exec_lo, exec_lo, s0
	s_cbranch_execnz .LBB210_2
; %bb.3:
	s_or_b32 exec_lo, exec_lo, s0
.LBB210_4:
	s_or_b32 exec_lo, exec_lo, s9
	s_mov_b32 s1, 0
	; wave barrier
	buffer_gl0_inv
	s_mov_b32 s0, exec_lo
	v_cmpx_eq_u32_e32 0, v1
	s_cbranch_execz .LBB210_11
; %bb.5:
	v_mbcnt_lo_u32_b32 v5, -1, 0
	s_load_dwordx2 s[4:5], s[4:5], 0x38
	s_mul_i32 s0, s14, s7
	s_mul_i32 s3, s18, s8
	s_add_i32 s0, s0, s6
	v_xor_b32_e32 v1, 16, v5
	v_xor_b32_e32 v2, 8, v5
	;; [unrolled: 1-line block ×3, first 2 shown]
	s_add_i32 s0, s0, s3
	s_lshl_b64 s[0:1], s[0:1], 2
	v_cmp_gt_i32_e32 vcc_lo, 32, v1
	v_cndmask_b32_e32 v1, v5, v1, vcc_lo
	v_cmp_gt_i32_e32 vcc_lo, 32, v2
	v_lshlrev_b32_e32 v1, 2, v1
	v_cndmask_b32_e32 v2, v5, v2, vcc_lo
	s_waitcnt lgkmcnt(0)
	s_add_u32 s0, s4, s0
	s_addc_u32 s1, s5, s1
	ds_bpermute_b32 v3, v1, v9
	v_lshlrev_b32_e32 v2, 2, v2
	s_waitcnt lgkmcnt(0)
	v_add_f32_e32 v4, v9, v3
	v_xor_b32_e32 v3, 4, v5
	ds_bpermute_b32 v8, v2, v4
	v_cmp_gt_i32_e32 vcc_lo, 32, v3
	v_cndmask_b32_e32 v3, v5, v3, vcc_lo
	v_lshlrev_b32_e32 v3, 2, v3
	s_waitcnt lgkmcnt(0)
	v_add_f32_e32 v8, v4, v8
	v_xor_b32_e32 v4, 2, v5
	ds_bpermute_b32 v9, v3, v8
	v_cmp_gt_i32_e32 vcc_lo, 32, v4
	v_cndmask_b32_e32 v4, v5, v4, vcc_lo
	v_cmp_gt_i32_e32 vcc_lo, 32, v10
	v_lshlrev_b32_e32 v4, 2, v4
	v_cndmask_b32_e32 v5, v5, v10, vcc_lo
	v_cmp_eq_u32_e32 vcc_lo, 0, v0
	v_lshlrev_b32_e32 v5, 2, v5
	s_waitcnt lgkmcnt(0)
	v_add_f32_e32 v8, v8, v9
	ds_bpermute_b32 v9, v4, v8
	s_waitcnt lgkmcnt(0)
	v_add_f32_e32 v8, v8, v9
	ds_bpermute_b32 v9, v5, v8
	s_and_saveexec_b32 s3, vcc_lo
	s_cbranch_execz .LBB210_7
; %bb.6:
	s_waitcnt lgkmcnt(0)
	v_add_f32_e32 v0, v8, v9
	v_mov_b32_e32 v8, 0
	global_store_dword v8, v0, s[0:1]
.LBB210_7:
	s_or_b32 exec_lo, exec_lo, s3
	ds_bpermute_b32 v0, v1, v7
	s_waitcnt lgkmcnt(0)
	v_add_f32_e32 v0, v7, v0
	ds_bpermute_b32 v7, v2, v0
	s_waitcnt lgkmcnt(0)
	v_add_f32_e32 v0, v0, v7
	;; [unrolled: 3-line block ×4, first 2 shown]
	ds_bpermute_b32 v7, v5, v0
	s_and_saveexec_b32 s4, vcc_lo
	s_cbranch_execz .LBB210_9
; %bb.8:
	s_mov_b32 s3, 0
	s_waitcnt lgkmcnt(0)
	v_add_f32_e32 v0, v0, v7
	s_lshl_b64 s[6:7], s[2:3], 2
	v_mov_b32_e32 v7, 0
	s_add_u32 s6, s0, s6
	s_addc_u32 s7, s1, s7
	global_store_dword v7, v0, s[6:7]
.LBB210_9:
	s_or_b32 exec_lo, exec_lo, s4
	ds_bpermute_b32 v0, v1, v6
	s_waitcnt lgkmcnt(0)
	v_add_f32_e32 v0, v6, v0
	ds_bpermute_b32 v1, v2, v0
	s_waitcnt lgkmcnt(0)
	v_add_f32_e32 v0, v0, v1
	;; [unrolled: 3-line block ×4, first 2 shown]
	ds_bpermute_b32 v1, v5, v0
	s_and_b32 exec_lo, exec_lo, vcc_lo
	s_cbranch_execz .LBB210_11
; %bb.10:
	s_lshl_b32 s2, s2, 1
	s_mov_b32 s3, 0
	s_waitcnt lgkmcnt(0)
	v_add_f32_e32 v0, v0, v1
	s_lshl_b64 s[2:3], s[2:3], 2
	v_mov_b32_e32 v1, 0
	s_add_u32 s0, s0, s2
	s_addc_u32 s1, s1, s3
	global_store_dword v1, v0, s[0:1]
.LBB210_11:
	s_endpgm
	.section	.rodata,"a",@progbits
	.p2align	6, 0x0
	.amdhsa_kernel _ZL13mul_mat_vec_qIL9ggml_type19ELi3ELb0ELb0EEvPKvS2_PKi31ggml_cuda_mm_fusion_args_devicePfj15HIP_vector_typeIjLj3EEjjjS8_jjjS8_jjjj
		.amdhsa_group_segment_fixed_size 0
		.amdhsa_private_segment_fixed_size 0
		.amdhsa_kernarg_size 144
		.amdhsa_user_sgpr_count 6
		.amdhsa_user_sgpr_private_segment_buffer 1
		.amdhsa_user_sgpr_dispatch_ptr 0
		.amdhsa_user_sgpr_queue_ptr 0
		.amdhsa_user_sgpr_kernarg_segment_ptr 1
		.amdhsa_user_sgpr_dispatch_id 0
		.amdhsa_user_sgpr_flat_scratch_init 0
		.amdhsa_user_sgpr_private_segment_size 0
		.amdhsa_wavefront_size32 1
		.amdhsa_uses_dynamic_stack 0
		.amdhsa_system_sgpr_private_segment_wavefront_offset 0
		.amdhsa_system_sgpr_workgroup_id_x 1
		.amdhsa_system_sgpr_workgroup_id_y 1
		.amdhsa_system_sgpr_workgroup_id_z 1
		.amdhsa_system_sgpr_workgroup_info 0
		.amdhsa_system_vgpr_workitem_id 1
		.amdhsa_next_free_vgpr 57
		.amdhsa_next_free_sgpr 28
		.amdhsa_reserve_vcc 1
		.amdhsa_reserve_flat_scratch 0
		.amdhsa_float_round_mode_32 0
		.amdhsa_float_round_mode_16_64 0
		.amdhsa_float_denorm_mode_32 3
		.amdhsa_float_denorm_mode_16_64 3
		.amdhsa_dx10_clamp 1
		.amdhsa_ieee_mode 1
		.amdhsa_fp16_overflow 0
		.amdhsa_workgroup_processor_mode 1
		.amdhsa_memory_ordered 1
		.amdhsa_forward_progress 1
		.amdhsa_shared_vgpr_count 0
		.amdhsa_exception_fp_ieee_invalid_op 0
		.amdhsa_exception_fp_denorm_src 0
		.amdhsa_exception_fp_ieee_div_zero 0
		.amdhsa_exception_fp_ieee_overflow 0
		.amdhsa_exception_fp_ieee_underflow 0
		.amdhsa_exception_fp_ieee_inexact 0
		.amdhsa_exception_int_div_zero 0
	.end_amdhsa_kernel
	.section	.text._ZL13mul_mat_vec_qIL9ggml_type19ELi3ELb0ELb0EEvPKvS2_PKi31ggml_cuda_mm_fusion_args_devicePfj15HIP_vector_typeIjLj3EEjjjS8_jjjS8_jjjj,"axG",@progbits,_ZL13mul_mat_vec_qIL9ggml_type19ELi3ELb0ELb0EEvPKvS2_PKi31ggml_cuda_mm_fusion_args_devicePfj15HIP_vector_typeIjLj3EEjjjS8_jjjS8_jjjj,comdat
.Lfunc_end210:
	.size	_ZL13mul_mat_vec_qIL9ggml_type19ELi3ELb0ELb0EEvPKvS2_PKi31ggml_cuda_mm_fusion_args_devicePfj15HIP_vector_typeIjLj3EEjjjS8_jjjS8_jjjj, .Lfunc_end210-_ZL13mul_mat_vec_qIL9ggml_type19ELi3ELb0ELb0EEvPKvS2_PKi31ggml_cuda_mm_fusion_args_devicePfj15HIP_vector_typeIjLj3EEjjjS8_jjjS8_jjjj
                                        ; -- End function
	.set _ZL13mul_mat_vec_qIL9ggml_type19ELi3ELb0ELb0EEvPKvS2_PKi31ggml_cuda_mm_fusion_args_devicePfj15HIP_vector_typeIjLj3EEjjjS8_jjjS8_jjjj.num_vgpr, 57
	.set _ZL13mul_mat_vec_qIL9ggml_type19ELi3ELb0ELb0EEvPKvS2_PKi31ggml_cuda_mm_fusion_args_devicePfj15HIP_vector_typeIjLj3EEjjjS8_jjjS8_jjjj.num_agpr, 0
	.set _ZL13mul_mat_vec_qIL9ggml_type19ELi3ELb0ELb0EEvPKvS2_PKi31ggml_cuda_mm_fusion_args_devicePfj15HIP_vector_typeIjLj3EEjjjS8_jjjS8_jjjj.numbered_sgpr, 28
	.set _ZL13mul_mat_vec_qIL9ggml_type19ELi3ELb0ELb0EEvPKvS2_PKi31ggml_cuda_mm_fusion_args_devicePfj15HIP_vector_typeIjLj3EEjjjS8_jjjS8_jjjj.num_named_barrier, 0
	.set _ZL13mul_mat_vec_qIL9ggml_type19ELi3ELb0ELb0EEvPKvS2_PKi31ggml_cuda_mm_fusion_args_devicePfj15HIP_vector_typeIjLj3EEjjjS8_jjjS8_jjjj.private_seg_size, 0
	.set _ZL13mul_mat_vec_qIL9ggml_type19ELi3ELb0ELb0EEvPKvS2_PKi31ggml_cuda_mm_fusion_args_devicePfj15HIP_vector_typeIjLj3EEjjjS8_jjjS8_jjjj.uses_vcc, 1
	.set _ZL13mul_mat_vec_qIL9ggml_type19ELi3ELb0ELb0EEvPKvS2_PKi31ggml_cuda_mm_fusion_args_devicePfj15HIP_vector_typeIjLj3EEjjjS8_jjjS8_jjjj.uses_flat_scratch, 0
	.set _ZL13mul_mat_vec_qIL9ggml_type19ELi3ELb0ELb0EEvPKvS2_PKi31ggml_cuda_mm_fusion_args_devicePfj15HIP_vector_typeIjLj3EEjjjS8_jjjS8_jjjj.has_dyn_sized_stack, 0
	.set _ZL13mul_mat_vec_qIL9ggml_type19ELi3ELb0ELb0EEvPKvS2_PKi31ggml_cuda_mm_fusion_args_devicePfj15HIP_vector_typeIjLj3EEjjjS8_jjjS8_jjjj.has_recursion, 0
	.set _ZL13mul_mat_vec_qIL9ggml_type19ELi3ELb0ELb0EEvPKvS2_PKi31ggml_cuda_mm_fusion_args_devicePfj15HIP_vector_typeIjLj3EEjjjS8_jjjS8_jjjj.has_indirect_call, 0
	.section	.AMDGPU.csdata,"",@progbits
; Kernel info:
; codeLenInByte = 1564
; TotalNumSgprs: 30
; NumVgprs: 57
; ScratchSize: 0
; MemoryBound: 0
; FloatMode: 240
; IeeeMode: 1
; LDSByteSize: 0 bytes/workgroup (compile time only)
; SGPRBlocks: 0
; VGPRBlocks: 7
; NumSGPRsForWavesPerEU: 30
; NumVGPRsForWavesPerEU: 57
; Occupancy: 16
; WaveLimiterHint : 0
; COMPUTE_PGM_RSRC2:SCRATCH_EN: 0
; COMPUTE_PGM_RSRC2:USER_SGPR: 6
; COMPUTE_PGM_RSRC2:TRAP_HANDLER: 0
; COMPUTE_PGM_RSRC2:TGID_X_EN: 1
; COMPUTE_PGM_RSRC2:TGID_Y_EN: 1
; COMPUTE_PGM_RSRC2:TGID_Z_EN: 1
; COMPUTE_PGM_RSRC2:TIDIG_COMP_CNT: 1
	.section	.text._ZL13mul_mat_vec_qIL9ggml_type19ELi4ELb0ELb0EEvPKvS2_PKi31ggml_cuda_mm_fusion_args_devicePfj15HIP_vector_typeIjLj3EEjjjS8_jjjS8_jjjj,"axG",@progbits,_ZL13mul_mat_vec_qIL9ggml_type19ELi4ELb0ELb0EEvPKvS2_PKi31ggml_cuda_mm_fusion_args_devicePfj15HIP_vector_typeIjLj3EEjjjS8_jjjS8_jjjj,comdat
	.globl	_ZL13mul_mat_vec_qIL9ggml_type19ELi4ELb0ELb0EEvPKvS2_PKi31ggml_cuda_mm_fusion_args_devicePfj15HIP_vector_typeIjLj3EEjjjS8_jjjS8_jjjj ; -- Begin function _ZL13mul_mat_vec_qIL9ggml_type19ELi4ELb0ELb0EEvPKvS2_PKi31ggml_cuda_mm_fusion_args_devicePfj15HIP_vector_typeIjLj3EEjjjS8_jjjS8_jjjj
	.p2align	8
	.type	_ZL13mul_mat_vec_qIL9ggml_type19ELi4ELb0ELb0EEvPKvS2_PKi31ggml_cuda_mm_fusion_args_devicePfj15HIP_vector_typeIjLj3EEjjjS8_jjjS8_jjjj,@function
_ZL13mul_mat_vec_qIL9ggml_type19ELi4ELb0ELb0EEvPKvS2_PKi31ggml_cuda_mm_fusion_args_devicePfj15HIP_vector_typeIjLj3EEjjjS8_jjjS8_jjjj: ; @_ZL13mul_mat_vec_qIL9ggml_type19ELi4ELb0ELb0EEvPKvS2_PKi31ggml_cuda_mm_fusion_args_devicePfj15HIP_vector_typeIjLj3EEjjjS8_jjjS8_jjjj
; %bb.0:
	s_clause 0x5
	s_load_dword s9, s[4:5], 0x40
	s_load_dwordx4 s[0:3], s[4:5], 0x50
	s_load_dword s11, s[4:5], 0x60
	s_load_dwordx4 s[12:15], s[4:5], 0x68
	;; [unrolled: 2-line block ×3, first 2 shown]
	v_lshl_or_b32 v2, v1, 5, v0
	v_mov_b32_e32 v7, 0
	v_mov_b32_e32 v8, 0
	;; [unrolled: 1-line block ×4, first 2 shown]
	v_lshrrev_b32_e32 v10, 3, v2
	s_waitcnt lgkmcnt(0)
	s_lshr_b32 s10, s9, 8
	s_mov_b32 s9, exec_lo
	v_cmpx_gt_u32_e64 s10, v10
	s_cbranch_execz .LBB211_4
; %bb.1:
	s_mul_i32 s13, s13, s7
	s_load_dwordx4 s[20:23], s[4:5], 0x0
	s_mul_hi_u32 s27, s13, 36
	s_mul_i32 s26, s13, 36
	s_mul_i32 s17, s17, s8
	v_mad_u64_u32 v[2:3], null, 0x120, v10, s[26:27]
	v_and_b32_e32 v11, 7, v0
	s_mul_hi_u32 s3, s3, s7
	s_mul_hi_u32 s15, s15, s8
	v_lshlrev_b32_e32 v6, 3, v10
	v_mov_b32_e32 v7, 0
	s_add_i32 s3, s7, s3
	v_mad_u64_u32 v[2:3], null, s17, 36, v[2:3]
	s_add_i32 s15, s8, s15
	s_mul_i32 s13, s17, 36
	s_lshr_b32 s3, s3, s11
	s_mul_hi_u32 s19, s17, 36
	s_lshr_b32 s11, s15, s24
	s_mul_i32 s3, s3, s12
	v_mad_u64_u32 v[8:9], null, v11, 36, v[2:3]
	s_waitcnt lgkmcnt(0)
	s_add_u32 s12, s22, s13
	v_mad_u64_u32 v[4:5], null, s1, 3, v[6:7]
	s_addc_u32 s13, s23, s19
	s_add_u32 s12, s12, s26
	s_addc_u32 s13, s13, s27
	v_add_co_u32 v5, vcc_lo, s22, v8
	v_lshlrev_b32_e32 v14, 1, v11
	v_add_co_ci_u32_e64 v8, null, s23, v9, vcc_lo
	v_mad_u64_u32 v[2:3], null, v11, 36, s[12:13]
	v_add_co_u32 v5, vcc_lo, v5, 16
	s_mul_i32 s0, s0, s6
	v_add_nc_u32_e32 v12, s1, v6
	v_lshl_add_u32 v13, s1, 1, v6
	v_add_co_ci_u32_e64 v6, null, 0, v8, vcc_lo
	v_lshlrev_b32_e32 v14, 1, v14
	v_lshlrev_b32_e32 v15, 1, v11
	v_mov_b32_e32 v8, 0
	v_mov_b32_e32 v9, 0
	;; [unrolled: 1-line block ×3, first 2 shown]
	s_mul_i32 s11, s11, s16
	s_add_i32 s3, s3, s0
	s_mov_b32 s12, 0xb7000000
	s_add_i32 s11, s11, s3
	s_mov_b32 s3, 0
.LBB211_2:                              ; =>This Inner Loop Header: Depth=1
	v_add_nc_u32_e32 v24, s11, v10
	v_mad_u64_u32 v[32:33], null, v12, 36, v[2:3]
	v_mad_u64_u32 v[44:45], null, v13, 36, v[2:3]
	v_mad_i64_i32 v[48:49], null, v24, 50, s[20:21]
	v_mad_u64_u32 v[46:47], null, v4, 36, v[2:3]
	s_clause 0x1
	global_load_dwordx4 v[16:19], v[5:6], off offset:-16
	global_load_dwordx4 v[20:23], v[5:6], off
	s_clause 0x5
	global_load_dwordx4 v[24:27], v[32:33], off
	global_load_dwordx4 v[28:31], v[32:33], off offset:16
	global_load_dword v55, v[32:33], off offset:32
	global_load_dwordx4 v[32:35], v[44:45], off
	global_load_dwordx4 v[36:39], v[44:45], off offset:16
	global_load_dwordx4 v[40:43], v[46:47], off
	s_getpc_b64 s[0:1]
	s_add_u32 s0, s0, _ZL13iq1s_grid_gpu@rel32@lo+4
	s_addc_u32 s1, s1, _ZL13iq1s_grid_gpu@rel32@hi+12
	v_mov_b32_e32 v54, 0
	v_add_co_u32 v50, vcc_lo, v48, v14
	v_add_co_ci_u32_e64 v51, null, 0, v49, vcc_lo
	v_add_co_u32 v52, vcc_lo, v48, v15
	v_add_co_ci_u32_e64 v53, null, 0, v49, vcc_lo
	s_clause 0x2
	global_load_dword v50, v[50:51], off offset:2
	global_load_ushort v51, v[52:53], off offset:34
	global_load_ushort v48, v[48:49], off
	v_add_nc_u32_e32 v10, 4, v10
	v_add_nc_u32_e32 v12, 32, v12
	;; [unrolled: 1-line block ×4, first 2 shown]
	s_waitcnt vmcnt(2)
	v_and_b32_e32 v52, 0xff, v50
	s_waitcnt vmcnt(1)
	v_lshlrev_b32_e32 v53, 8, v51
	v_bfe_u32 v56, v50, 8, 8
	v_lshlrev_b32_e32 v57, 5, v51
	v_lshrrev_b32_e32 v49, 24, v50
	v_bfe_u32 v50, v50, 16, 8
	v_lshlrev_b32_e32 v58, 2, v51
	v_lshrrev_b32_e32 v59, 1, v51
	v_and_or_b32 v52, 0x700, v53, v52
	v_and_or_b32 v53, 0x700, v57, v56
	;; [unrolled: 1-line block ×4, first 2 shown]
	v_lshlrev_b32_e32 v52, 2, v52
	v_lshlrev_b32_e32 v53, 2, v53
	;; [unrolled: 1-line block ×4, first 2 shown]
	s_clause 0x3
	global_load_dword v52, v52, s[0:1]
	global_load_dword v53, v53, s[0:1]
	global_load_dword v50, v50, s[0:1]
	global_load_dword v49, v49, s[0:1]
	s_waitcnt vmcnt(3)
	v_and_b32_e32 v56, 0xf0f0f0f, v52
	v_lshrrev_b32_e32 v52, 4, v52
	s_waitcnt vmcnt(2)
	v_and_b32_e32 v57, 0xf0f0f0f, v53
	v_lshrrev_b32_e32 v53, 4, v53
	s_waitcnt vmcnt(1)
	v_and_b32_e32 v58, 0xf0f0f0f, v50
	v_dot4c_i32_i8 v54, v56, v17
	v_and_b32_e32 v52, 0xf0f0f0f, v52
	v_lshrrev_b32_e32 v50, 4, v50
	v_and_b32_e32 v53, 0xf0f0f0f, v53
	s_waitcnt vmcnt(0)
	v_and_b32_e32 v59, 0xf0f0f0f, v49
	v_dot4c_i32_i8 v54, v52, v18
	v_and_b32_e32 v50, 0xf0f0f0f, v50
	v_dot4c_i32_i8 v54, v57, v19
	v_dot4c_i32_i8 v54, v53, v20
	;; [unrolled: 1-line block ×3, first 2 shown]
	s_clause 0x2
	global_load_dwordx4 v[17:20], v[46:47], off offset:16
	global_load_dword v21, v[44:45], off offset:32
	global_load_dword v44, v[46:47], off offset:32
	v_mov_b32_e32 v45, 0
	v_dot4c_i32_i8 v54, v50, v22
	v_mov_b32_e32 v22, 0
	v_dot4c_i32_i8 v45, v56, v41
	v_dot4c_i32_i8 v54, v59, v23
	;; [unrolled: 1-line block ×3, first 2 shown]
	global_load_dword v25, v[5:6], off offset:16
	v_mov_b32_e32 v23, 0
	v_dot4c_i32_i8 v45, v52, v42
	v_add_co_u32 v5, vcc_lo, 0x480, v5
	v_dot4c_i32_i8 v22, v52, v26
	v_dot4c_i32_i8 v23, v56, v33
	;; [unrolled: 1-line block ×3, first 2 shown]
	v_cvt_f32_f16_sdwa v26, v16 dst_sel:DWORD dst_unused:UNUSED_PAD src0_sel:WORD_1
	v_add_co_ci_u32_e64 v6, null, 0, v6, vcc_lo
	v_dot4c_i32_i8 v23, v52, v34
	v_dot4c_i32_i8 v22, v57, v27
	v_cvt_f32_f16_sdwa v27, v24 dst_sel:DWORD dst_unused:UNUSED_PAD src0_sel:WORD_1
	v_cmp_le_u32_e32 vcc_lo, s10, v10
	v_dot4c_i32_i8 v23, v57, v35
	v_dot4c_i32_i8 v22, v53, v28
	v_cvt_f32_f16_e32 v28, v48
	s_or_b32 s3, vcc_lo, s3
	v_dot4c_i32_i8 v23, v53, v36
	v_dot4c_i32_i8 v22, v58, v29
	v_lshrrev_b32_e32 v29, 11, v51
	v_dot4c_i32_i8 v23, v58, v37
	v_dot4c_i32_i8 v22, v50, v30
	v_lshrrev_b32_e32 v30, 4, v49
	v_and_or_b32 v29, v29, 14, 1
	v_dot4c_i32_i8 v23, v50, v38
	v_dot4c_i32_i8 v22, v59, v31
	v_and_b32_e32 v30, 0xf0f0f0f, v30
	v_cvt_f32_ubyte0_e32 v29, v29
	v_dot4c_i32_i8 v23, v59, v39
	v_dot4c_i32_i8 v22, v30, v55
	s_waitcnt vmcnt(3)
	v_dot4c_i32_i8 v45, v53, v17
	v_cvt_f32_f16_sdwa v17, v32 dst_sel:DWORD dst_unused:UNUSED_PAD src0_sel:WORD_1
	s_waitcnt vmcnt(2)
	v_dot4c_i32_i8 v23, v30, v21
	v_dot4c_i32_i8 v45, v58, v18
	v_cvt_f32_f16_sdwa v18, v40 dst_sel:DWORD dst_unused:UNUSED_PAD src0_sel:WORD_1
	v_cvt_f32_i32_e32 v21, v23
	v_mul_f32_e32 v23, v29, v28
	v_dot4c_i32_i8 v45, v50, v19
	v_and_b32_e32 v19, 0x8000, v51
	s_waitcnt vmcnt(0)
	v_dot4c_i32_i8 v54, v30, v25
	v_dot4c_i32_i8 v45, v59, v20
	v_cvt_f32_u32_e32 v19, v19
	v_cvt_f32_i32_e32 v20, v22
	v_dot4c_i32_i8 v45, v30, v44
	v_fmaak_f32 v19, s12, v19, 0xbf600000
	v_cvt_f32_i32_e32 v22, v45
	v_mul_f32_e32 v26, v19, v26
	v_mul_f32_e32 v27, v19, v27
	;; [unrolled: 1-line block ×4, first 2 shown]
	v_cvt_f32_i32_e32 v19, v54
	v_fma_mix_f32 v17, v21, v32, v17 op_sel_hi:[0,1,0]
	v_fma_mix_f32 v18, v22, v40, v18 op_sel_hi:[0,1,0]
	;; [unrolled: 1-line block ×4, first 2 shown]
	v_fmac_f32_e32 v8, v23, v17
	v_fmac_f32_e32 v7, v23, v18
	;; [unrolled: 1-line block ×4, first 2 shown]
	s_andn2_b32 exec_lo, exec_lo, s3
	s_cbranch_execnz .LBB211_2
; %bb.3:
	s_or_b32 exec_lo, exec_lo, s3
.LBB211_4:
	s_or_b32 exec_lo, exec_lo, s9
	s_mov_b32 s1, 0
	; wave barrier
	buffer_gl0_inv
	s_mov_b32 s0, exec_lo
	v_cmpx_eq_u32_e32 0, v1
	s_cbranch_execz .LBB211_13
; %bb.5:
	v_mbcnt_lo_u32_b32 v5, -1, 0
	s_load_dwordx2 s[4:5], s[4:5], 0x38
	s_mul_i32 s0, s14, s7
	s_mul_i32 s3, s18, s8
	s_add_i32 s0, s0, s6
	v_xor_b32_e32 v1, 16, v5
	v_xor_b32_e32 v2, 8, v5
	s_add_i32 s0, s0, s3
	s_lshl_b64 s[0:1], s[0:1], 2
	v_cmp_gt_i32_e32 vcc_lo, 32, v1
	v_cndmask_b32_e32 v1, v5, v1, vcc_lo
	v_cmp_gt_i32_e32 vcc_lo, 32, v2
	v_lshlrev_b32_e32 v1, 2, v1
	v_cndmask_b32_e32 v2, v5, v2, vcc_lo
	s_waitcnt lgkmcnt(0)
	s_add_u32 s0, s4, s0
	s_addc_u32 s1, s5, s1
	ds_bpermute_b32 v3, v1, v11
	v_lshlrev_b32_e32 v2, 2, v2
	s_waitcnt lgkmcnt(0)
	v_add_f32_e32 v4, v11, v3
	v_xor_b32_e32 v3, 4, v5
	v_xor_b32_e32 v11, 1, v5
	ds_bpermute_b32 v6, v2, v4
	v_cmp_gt_i32_e32 vcc_lo, 32, v3
	v_cndmask_b32_e32 v3, v5, v3, vcc_lo
	v_lshlrev_b32_e32 v3, 2, v3
	s_waitcnt lgkmcnt(0)
	v_add_f32_e32 v6, v4, v6
	v_xor_b32_e32 v4, 2, v5
	ds_bpermute_b32 v10, v3, v6
	v_cmp_gt_i32_e32 vcc_lo, 32, v4
	v_cndmask_b32_e32 v4, v5, v4, vcc_lo
	v_cmp_gt_i32_e32 vcc_lo, 32, v11
	v_lshlrev_b32_e32 v4, 2, v4
	v_cndmask_b32_e32 v5, v5, v11, vcc_lo
	v_cmp_eq_u32_e32 vcc_lo, 0, v0
	v_lshlrev_b32_e32 v5, 2, v5
	s_waitcnt lgkmcnt(0)
	v_add_f32_e32 v6, v6, v10
	ds_bpermute_b32 v10, v4, v6
	s_waitcnt lgkmcnt(0)
	v_add_f32_e32 v6, v6, v10
	ds_bpermute_b32 v10, v5, v6
	s_and_saveexec_b32 s3, vcc_lo
	s_cbranch_execz .LBB211_7
; %bb.6:
	s_waitcnt lgkmcnt(0)
	v_add_f32_e32 v0, v6, v10
	v_mov_b32_e32 v6, 0
	global_store_dword v6, v0, s[0:1]
.LBB211_7:
	s_or_b32 exec_lo, exec_lo, s3
	ds_bpermute_b32 v0, v1, v9
	s_waitcnt lgkmcnt(0)
	v_add_f32_e32 v0, v9, v0
	ds_bpermute_b32 v6, v2, v0
	s_waitcnt lgkmcnt(0)
	v_add_f32_e32 v0, v0, v6
	;; [unrolled: 3-line block ×4, first 2 shown]
	ds_bpermute_b32 v6, v5, v0
	s_and_saveexec_b32 s4, vcc_lo
	s_cbranch_execz .LBB211_9
; %bb.8:
	s_mov_b32 s3, 0
	s_waitcnt lgkmcnt(0)
	v_add_f32_e32 v0, v0, v6
	s_lshl_b64 s[6:7], s[2:3], 2
	v_mov_b32_e32 v6, 0
	s_add_u32 s6, s0, s6
	s_addc_u32 s7, s1, s7
	global_store_dword v6, v0, s[6:7]
.LBB211_9:
	s_or_b32 exec_lo, exec_lo, s4
	ds_bpermute_b32 v0, v1, v8
	s_waitcnt lgkmcnt(0)
	v_add_f32_e32 v0, v8, v0
	ds_bpermute_b32 v6, v2, v0
	s_waitcnt lgkmcnt(0)
	v_add_f32_e32 v0, v0, v6
	;; [unrolled: 3-line block ×4, first 2 shown]
	ds_bpermute_b32 v6, v5, v0
	s_and_saveexec_b32 s3, vcc_lo
	s_cbranch_execz .LBB211_11
; %bb.10:
	s_lshl_b32 s4, s2, 1
	s_mov_b32 s5, 0
	s_waitcnt lgkmcnt(0)
	v_add_f32_e32 v0, v0, v6
	s_lshl_b64 s[4:5], s[4:5], 2
	v_mov_b32_e32 v6, 0
	s_add_u32 s4, s0, s4
	s_addc_u32 s5, s1, s5
	global_store_dword v6, v0, s[4:5]
.LBB211_11:
	s_or_b32 exec_lo, exec_lo, s3
	ds_bpermute_b32 v0, v1, v7
	s_waitcnt lgkmcnt(0)
	v_add_f32_e32 v0, v7, v0
	ds_bpermute_b32 v1, v2, v0
	s_waitcnt lgkmcnt(0)
	v_add_f32_e32 v0, v0, v1
	;; [unrolled: 3-line block ×4, first 2 shown]
	ds_bpermute_b32 v1, v5, v0
	s_and_b32 exec_lo, exec_lo, vcc_lo
	s_cbranch_execz .LBB211_13
; %bb.12:
	s_mul_i32 s2, s2, 3
	s_mov_b32 s3, 0
	s_waitcnt lgkmcnt(0)
	v_add_f32_e32 v0, v0, v1
	s_lshl_b64 s[2:3], s[2:3], 2
	v_mov_b32_e32 v1, 0
	s_add_u32 s0, s0, s2
	s_addc_u32 s1, s1, s3
	global_store_dword v1, v0, s[0:1]
.LBB211_13:
	s_endpgm
	.section	.rodata,"a",@progbits
	.p2align	6, 0x0
	.amdhsa_kernel _ZL13mul_mat_vec_qIL9ggml_type19ELi4ELb0ELb0EEvPKvS2_PKi31ggml_cuda_mm_fusion_args_devicePfj15HIP_vector_typeIjLj3EEjjjS8_jjjS8_jjjj
		.amdhsa_group_segment_fixed_size 0
		.amdhsa_private_segment_fixed_size 0
		.amdhsa_kernarg_size 144
		.amdhsa_user_sgpr_count 6
		.amdhsa_user_sgpr_private_segment_buffer 1
		.amdhsa_user_sgpr_dispatch_ptr 0
		.amdhsa_user_sgpr_queue_ptr 0
		.amdhsa_user_sgpr_kernarg_segment_ptr 1
		.amdhsa_user_sgpr_dispatch_id 0
		.amdhsa_user_sgpr_flat_scratch_init 0
		.amdhsa_user_sgpr_private_segment_size 0
		.amdhsa_wavefront_size32 1
		.amdhsa_uses_dynamic_stack 0
		.amdhsa_system_sgpr_private_segment_wavefront_offset 0
		.amdhsa_system_sgpr_workgroup_id_x 1
		.amdhsa_system_sgpr_workgroup_id_y 1
		.amdhsa_system_sgpr_workgroup_id_z 1
		.amdhsa_system_sgpr_workgroup_info 0
		.amdhsa_system_vgpr_workitem_id 1
		.amdhsa_next_free_vgpr 60
		.amdhsa_next_free_sgpr 28
		.amdhsa_reserve_vcc 1
		.amdhsa_reserve_flat_scratch 0
		.amdhsa_float_round_mode_32 0
		.amdhsa_float_round_mode_16_64 0
		.amdhsa_float_denorm_mode_32 3
		.amdhsa_float_denorm_mode_16_64 3
		.amdhsa_dx10_clamp 1
		.amdhsa_ieee_mode 1
		.amdhsa_fp16_overflow 0
		.amdhsa_workgroup_processor_mode 1
		.amdhsa_memory_ordered 1
		.amdhsa_forward_progress 1
		.amdhsa_shared_vgpr_count 0
		.amdhsa_exception_fp_ieee_invalid_op 0
		.amdhsa_exception_fp_denorm_src 0
		.amdhsa_exception_fp_ieee_div_zero 0
		.amdhsa_exception_fp_ieee_overflow 0
		.amdhsa_exception_fp_ieee_underflow 0
		.amdhsa_exception_fp_ieee_inexact 0
		.amdhsa_exception_int_div_zero 0
	.end_amdhsa_kernel
	.section	.text._ZL13mul_mat_vec_qIL9ggml_type19ELi4ELb0ELb0EEvPKvS2_PKi31ggml_cuda_mm_fusion_args_devicePfj15HIP_vector_typeIjLj3EEjjjS8_jjjS8_jjjj,"axG",@progbits,_ZL13mul_mat_vec_qIL9ggml_type19ELi4ELb0ELb0EEvPKvS2_PKi31ggml_cuda_mm_fusion_args_devicePfj15HIP_vector_typeIjLj3EEjjjS8_jjjS8_jjjj,comdat
.Lfunc_end211:
	.size	_ZL13mul_mat_vec_qIL9ggml_type19ELi4ELb0ELb0EEvPKvS2_PKi31ggml_cuda_mm_fusion_args_devicePfj15HIP_vector_typeIjLj3EEjjjS8_jjjS8_jjjj, .Lfunc_end211-_ZL13mul_mat_vec_qIL9ggml_type19ELi4ELb0ELb0EEvPKvS2_PKi31ggml_cuda_mm_fusion_args_devicePfj15HIP_vector_typeIjLj3EEjjjS8_jjjS8_jjjj
                                        ; -- End function
	.set _ZL13mul_mat_vec_qIL9ggml_type19ELi4ELb0ELb0EEvPKvS2_PKi31ggml_cuda_mm_fusion_args_devicePfj15HIP_vector_typeIjLj3EEjjjS8_jjjS8_jjjj.num_vgpr, 60
	.set _ZL13mul_mat_vec_qIL9ggml_type19ELi4ELb0ELb0EEvPKvS2_PKi31ggml_cuda_mm_fusion_args_devicePfj15HIP_vector_typeIjLj3EEjjjS8_jjjS8_jjjj.num_agpr, 0
	.set _ZL13mul_mat_vec_qIL9ggml_type19ELi4ELb0ELb0EEvPKvS2_PKi31ggml_cuda_mm_fusion_args_devicePfj15HIP_vector_typeIjLj3EEjjjS8_jjjS8_jjjj.numbered_sgpr, 28
	.set _ZL13mul_mat_vec_qIL9ggml_type19ELi4ELb0ELb0EEvPKvS2_PKi31ggml_cuda_mm_fusion_args_devicePfj15HIP_vector_typeIjLj3EEjjjS8_jjjS8_jjjj.num_named_barrier, 0
	.set _ZL13mul_mat_vec_qIL9ggml_type19ELi4ELb0ELb0EEvPKvS2_PKi31ggml_cuda_mm_fusion_args_devicePfj15HIP_vector_typeIjLj3EEjjjS8_jjjS8_jjjj.private_seg_size, 0
	.set _ZL13mul_mat_vec_qIL9ggml_type19ELi4ELb0ELb0EEvPKvS2_PKi31ggml_cuda_mm_fusion_args_devicePfj15HIP_vector_typeIjLj3EEjjjS8_jjjS8_jjjj.uses_vcc, 1
	.set _ZL13mul_mat_vec_qIL9ggml_type19ELi4ELb0ELb0EEvPKvS2_PKi31ggml_cuda_mm_fusion_args_devicePfj15HIP_vector_typeIjLj3EEjjjS8_jjjS8_jjjj.uses_flat_scratch, 0
	.set _ZL13mul_mat_vec_qIL9ggml_type19ELi4ELb0ELb0EEvPKvS2_PKi31ggml_cuda_mm_fusion_args_devicePfj15HIP_vector_typeIjLj3EEjjjS8_jjjS8_jjjj.has_dyn_sized_stack, 0
	.set _ZL13mul_mat_vec_qIL9ggml_type19ELi4ELb0ELb0EEvPKvS2_PKi31ggml_cuda_mm_fusion_args_devicePfj15HIP_vector_typeIjLj3EEjjjS8_jjjS8_jjjj.has_recursion, 0
	.set _ZL13mul_mat_vec_qIL9ggml_type19ELi4ELb0ELb0EEvPKvS2_PKi31ggml_cuda_mm_fusion_args_devicePfj15HIP_vector_typeIjLj3EEjjjS8_jjjS8_jjjj.has_indirect_call, 0
	.section	.AMDGPU.csdata,"",@progbits
; Kernel info:
; codeLenInByte = 1808
; TotalNumSgprs: 30
; NumVgprs: 60
; ScratchSize: 0
; MemoryBound: 0
; FloatMode: 240
; IeeeMode: 1
; LDSByteSize: 0 bytes/workgroup (compile time only)
; SGPRBlocks: 0
; VGPRBlocks: 7
; NumSGPRsForWavesPerEU: 30
; NumVGPRsForWavesPerEU: 60
; Occupancy: 16
; WaveLimiterHint : 0
; COMPUTE_PGM_RSRC2:SCRATCH_EN: 0
; COMPUTE_PGM_RSRC2:USER_SGPR: 6
; COMPUTE_PGM_RSRC2:TRAP_HANDLER: 0
; COMPUTE_PGM_RSRC2:TGID_X_EN: 1
; COMPUTE_PGM_RSRC2:TGID_Y_EN: 1
; COMPUTE_PGM_RSRC2:TGID_Z_EN: 1
; COMPUTE_PGM_RSRC2:TIDIG_COMP_CNT: 1
	.section	.text._ZL13mul_mat_vec_qIL9ggml_type19ELi5ELb0ELb0EEvPKvS2_PKi31ggml_cuda_mm_fusion_args_devicePfj15HIP_vector_typeIjLj3EEjjjS8_jjjS8_jjjj,"axG",@progbits,_ZL13mul_mat_vec_qIL9ggml_type19ELi5ELb0ELb0EEvPKvS2_PKi31ggml_cuda_mm_fusion_args_devicePfj15HIP_vector_typeIjLj3EEjjjS8_jjjS8_jjjj,comdat
	.globl	_ZL13mul_mat_vec_qIL9ggml_type19ELi5ELb0ELb0EEvPKvS2_PKi31ggml_cuda_mm_fusion_args_devicePfj15HIP_vector_typeIjLj3EEjjjS8_jjjS8_jjjj ; -- Begin function _ZL13mul_mat_vec_qIL9ggml_type19ELi5ELb0ELb0EEvPKvS2_PKi31ggml_cuda_mm_fusion_args_devicePfj15HIP_vector_typeIjLj3EEjjjS8_jjjS8_jjjj
	.p2align	8
	.type	_ZL13mul_mat_vec_qIL9ggml_type19ELi5ELb0ELb0EEvPKvS2_PKi31ggml_cuda_mm_fusion_args_devicePfj15HIP_vector_typeIjLj3EEjjjS8_jjjS8_jjjj,@function
_ZL13mul_mat_vec_qIL9ggml_type19ELi5ELb0ELb0EEvPKvS2_PKi31ggml_cuda_mm_fusion_args_devicePfj15HIP_vector_typeIjLj3EEjjjS8_jjjS8_jjjj: ; @_ZL13mul_mat_vec_qIL9ggml_type19ELi5ELb0ELb0EEvPKvS2_PKi31ggml_cuda_mm_fusion_args_devicePfj15HIP_vector_typeIjLj3EEjjjS8_jjjS8_jjjj
; %bb.0:
	s_clause 0x5
	s_load_dword s9, s[4:5], 0x40
	s_load_dwordx4 s[0:3], s[4:5], 0x50
	s_load_dword s11, s[4:5], 0x60
	s_load_dwordx4 s[12:15], s[4:5], 0x68
	;; [unrolled: 2-line block ×3, first 2 shown]
	v_lshl_or_b32 v2, v1, 5, v0
	v_mov_b32_e32 v7, 0
	v_mov_b32_e32 v8, 0
	v_mov_b32_e32 v9, 0
	v_mov_b32_e32 v10, 0
	v_lshrrev_b32_e32 v11, 3, v2
	v_mov_b32_e32 v12, 0
	s_waitcnt lgkmcnt(0)
	s_lshr_b32 s10, s9, 8
	s_mov_b32 s9, exec_lo
	v_cmpx_gt_u32_e64 s10, v11
	s_cbranch_execz .LBB212_4
; %bb.1:
	s_mul_i32 s13, s13, s7
	s_load_dwordx4 s[20:23], s[4:5], 0x0
	s_mul_hi_u32 s27, s13, 36
	s_mul_i32 s26, s13, 36
	s_mul_i32 s17, s17, s8
	v_mad_u64_u32 v[2:3], null, 0x120, v11, s[26:27]
	v_and_b32_e32 v10, 7, v0
	s_mul_hi_u32 s3, s3, s7
	s_mul_hi_u32 s15, s15, s8
	v_mov_b32_e32 v7, 0
	v_lshlrev_b32_e32 v6, 3, v11
	s_add_i32 s3, s7, s3
	v_mad_u64_u32 v[2:3], null, s17, 36, v[2:3]
	s_add_i32 s15, s8, s15
	s_mul_i32 s25, s17, 36
	s_lshr_b32 s3, s3, s11
	s_mul_hi_u32 s19, s17, 36
	s_lshr_b32 s11, s15, s24
	s_mul_i32 s3, s3, s12
	v_mad_u64_u32 v[8:9], null, v10, 36, v[2:3]
	s_waitcnt lgkmcnt(0)
	s_add_u32 s12, s22, s25
	v_mad_u64_u32 v[4:5], null, s1, 3, v[6:7]
	s_addc_u32 s13, s23, s19
	s_add_u32 s12, s12, s26
	s_addc_u32 s13, s13, s27
	v_add_co_u32 v5, vcc_lo, s22, v8
	v_lshlrev_b32_e32 v12, 1, v10
	v_add_co_ci_u32_e64 v8, null, s23, v9, vcc_lo
	v_mad_u64_u32 v[2:3], null, v10, 36, s[12:13]
	v_add_co_u32 v5, vcc_lo, v5, 16
	s_mul_i32 s0, s0, s6
	v_add_nc_u32_e32 v13, s1, v6
	v_lshl_add_u32 v14, s1, 2, v6
	v_lshl_add_u32 v15, s1, 1, v6
	v_add_co_ci_u32_e64 v6, null, 0, v8, vcc_lo
	v_lshlrev_b32_e32 v16, 1, v12
	v_lshlrev_b32_e32 v17, 1, v10
	v_mov_b32_e32 v8, 0
	v_mov_b32_e32 v9, 0
	;; [unrolled: 1-line block ×4, first 2 shown]
	s_mul_i32 s11, s11, s16
	s_add_i32 s3, s3, s0
	s_mov_b32 s12, 0xb7000000
	s_add_i32 s11, s11, s3
	s_mov_b32 s3, 0
.LBB212_2:                              ; =>This Inner Loop Header: Depth=1
	v_add_nc_u32_e32 v26, s11, v11
	v_mad_u64_u32 v[38:39], null, v13, 36, v[2:3]
	v_mad_u64_u32 v[40:41], null, v15, 36, v[2:3]
	v_mad_i64_i32 v[46:47], null, v26, 50, s[20:21]
	s_clause 0x1
	global_load_dwordx4 v[18:21], v[5:6], off offset:-16
	global_load_dwordx4 v[22:25], v[5:6], off
	s_clause 0x2
	global_load_dwordx4 v[26:29], v[38:39], off
	global_load_dwordx4 v[30:33], v[38:39], off offset:16
	global_load_dwordx4 v[34:37], v[40:41], off
	s_getpc_b64 s[0:1]
	s_add_u32 s0, s0, _ZL13iq1s_grid_gpu@rel32@lo+4
	s_addc_u32 s1, s1, _ZL13iq1s_grid_gpu@rel32@hi+12
	v_mov_b32_e32 v52, 0
	v_mov_b32_e32 v53, 0
	v_add_co_u32 v48, vcc_lo, v46, v16
	v_add_co_ci_u32_e64 v49, null, 0, v47, vcc_lo
	v_add_co_u32 v50, vcc_lo, v46, v17
	v_add_co_ci_u32_e64 v51, null, 0, v47, vcc_lo
	s_clause 0x2
	global_load_dword v48, v[48:49], off offset:2
	global_load_ushort v49, v[50:51], off offset:34
	global_load_ushort v46, v[46:47], off
	v_mov_b32_e32 v54, 0
	v_mad_u64_u32 v[42:43], null, v4, 36, v[2:3]
	v_mad_u64_u32 v[44:45], null, v14, 36, v[2:3]
	v_mov_b32_e32 v55, 0
	v_add_nc_u32_e32 v11, 4, v11
	v_add_nc_u32_e32 v13, 32, v13
	;; [unrolled: 1-line block ×5, first 2 shown]
	s_waitcnt vmcnt(2)
	v_and_b32_e32 v50, 0xff, v48
	s_waitcnt vmcnt(1)
	v_lshlrev_b32_e32 v51, 8, v49
	v_bfe_u32 v56, v48, 8, 8
	v_lshlrev_b32_e32 v57, 5, v49
	v_lshrrev_b32_e32 v47, 24, v48
	v_bfe_u32 v48, v48, 16, 8
	v_lshlrev_b32_e32 v58, 2, v49
	v_lshrrev_b32_e32 v59, 1, v49
	v_and_or_b32 v50, 0x700, v51, v50
	v_and_or_b32 v51, 0x700, v57, v56
	;; [unrolled: 1-line block ×4, first 2 shown]
	v_lshlrev_b32_e32 v50, 2, v50
	v_lshlrev_b32_e32 v51, 2, v51
	;; [unrolled: 1-line block ×4, first 2 shown]
	s_clause 0x3
	global_load_dword v50, v50, s[0:1]
	global_load_dword v51, v51, s[0:1]
	;; [unrolled: 1-line block ×4, first 2 shown]
	s_waitcnt vmcnt(3)
	v_and_b32_e32 v56, 0xf0f0f0f, v50
	v_lshrrev_b32_e32 v50, 4, v50
	s_waitcnt vmcnt(2)
	v_and_b32_e32 v57, 0xf0f0f0f, v51
	v_lshrrev_b32_e32 v51, 4, v51
	s_waitcnt vmcnt(1)
	v_and_b32_e32 v58, 0xf0f0f0f, v48
	v_dot4c_i32_i8 v52, v56, v19
	v_and_b32_e32 v50, 0xf0f0f0f, v50
	v_dot4c_i32_i8 v53, v56, v27
	v_and_b32_e32 v51, 0xf0f0f0f, v51
	v_lshrrev_b32_e32 v48, 4, v48
	v_dot4c_i32_i8 v54, v56, v35
	v_dot4c_i32_i8 v52, v50, v20
	;; [unrolled: 1-line block ×3, first 2 shown]
	s_waitcnt vmcnt(0)
	v_and_b32_e32 v59, 0xf0f0f0f, v47
	v_and_b32_e32 v48, 0xf0f0f0f, v48
	v_dot4c_i32_i8 v54, v50, v36
	v_dot4c_i32_i8 v52, v57, v21
	;; [unrolled: 1-line block ×3, first 2 shown]
	v_mov_b32_e32 v36, 0
	v_dot4c_i32_i8 v54, v57, v37
	v_dot4c_i32_i8 v52, v51, v22
	global_load_dwordx4 v[19:22], v[40:41], off offset:16
	v_dot4c_i32_i8 v53, v51, v30
	v_dot4c_i32_i8 v52, v58, v23
	v_cvt_f32_f16_sdwa v23, v18 dst_sel:DWORD dst_unused:UNUSED_PAD src0_sel:WORD_1
	v_dot4c_i32_i8 v53, v58, v31
	v_dot4c_i32_i8 v52, v48, v24
	;; [unrolled: 1-line block ×3, first 2 shown]
	v_cvt_f32_f16_e32 v32, v46
	v_dot4c_i32_i8 v52, v59, v25
	s_clause 0x4
	global_load_dwordx4 v[27:30], v[42:43], off
	global_load_dword v24, v[38:39], off offset:32
	global_load_dword v25, v[40:41], off offset:32
	;; [unrolled: 1-line block ×3, first 2 shown]
	global_load_dwordx4 v[38:41], v[42:43], off offset:16
	v_dot4c_i32_i8 v53, v59, v33
	v_and_b32_e32 v33, 0x8000, v49
	global_load_dword v37, v[44:45], off offset:32
	v_cvt_f32_u32_e32 v33, v33
	v_fmaak_f32 v33, s12, v33, 0xbf600000
	v_mul_f32_e32 v35, v33, v23
	s_waitcnt vmcnt(6)
	v_dot4c_i32_i8 v54, v51, v19
	v_dot4c_i32_i8 v54, v58, v20
	;; [unrolled: 1-line block ×3, first 2 shown]
	s_waitcnt vmcnt(5)
	v_dot4c_i32_i8 v55, v56, v28
	v_cvt_f32_f16_sdwa v28, v26 dst_sel:DWORD dst_unused:UNUSED_PAD src0_sel:WORD_1
	v_dot4c_i32_i8 v54, v59, v22
	global_load_dwordx4 v[19:22], v[44:45], off
	v_dot4c_i32_i8 v55, v50, v29
	v_cvt_f32_f16_sdwa v29, v34 dst_sel:DWORD dst_unused:UNUSED_PAD src0_sel:WORD_1
	v_mul_f32_e32 v28, v33, v28
	v_dot4c_i32_i8 v55, v57, v30
	v_lshrrev_b32_e32 v30, 11, v49
	v_mul_f32_e32 v29, v33, v29
	s_waitcnt vmcnt(2)
	v_dot4c_i32_i8 v55, v51, v38
	v_and_or_b32 v30, v30, 14, 1
	v_dot4c_i32_i8 v55, v58, v39
	v_cvt_f32_ubyte0_e32 v30, v30
	v_dot4c_i32_i8 v55, v48, v40
	v_mul_f32_e32 v30, v30, v32
	v_cvt_f32_f16_sdwa v32, v27 dst_sel:DWORD dst_unused:UNUSED_PAD src0_sel:WORD_1
	v_dot4c_i32_i8 v55, v59, v41
	v_mul_f32_e32 v32, v33, v32
	s_waitcnt vmcnt(0)
	v_dot4c_i32_i8 v36, v56, v20
	v_cvt_f32_f16_sdwa v23, v19 dst_sel:DWORD dst_unused:UNUSED_PAD src0_sel:WORD_1
	v_dot4c_i32_i8 v36, v50, v21
	v_mul_f32_e32 v33, v33, v23
	v_dot4c_i32_i8 v36, v57, v22
	global_load_dwordx4 v[20:23], v[44:45], off offset:16
	s_waitcnt vmcnt(0)
	v_dot4c_i32_i8 v36, v51, v20
	global_load_dword v20, v[5:6], off offset:16
	v_add_co_u32 v5, vcc_lo, 0x480, v5
	v_add_co_ci_u32_e64 v6, null, 0, v6, vcc_lo
	v_dot4c_i32_i8 v36, v58, v21
	v_lshrrev_b32_e32 v21, 4, v47
	v_cmp_le_u32_e32 vcc_lo, s10, v11
	v_dot4c_i32_i8 v36, v48, v22
	v_and_b32_e32 v21, 0xf0f0f0f, v21
	s_or_b32 s3, vcc_lo, s3
	v_dot4c_i32_i8 v36, v59, v23
	v_dot4c_i32_i8 v53, v21, v24
	;; [unrolled: 1-line block ×5, first 2 shown]
	v_cvt_f32_i32_e32 v22, v54
	v_cvt_f32_i32_e32 v23, v55
	v_cvt_f32_i32_e32 v24, v36
	v_fma_mix_f32 v19, v24, v19, v33 op_sel_hi:[0,1,0]
	v_fmac_f32_e32 v7, v30, v19
	s_waitcnt vmcnt(0)
	v_dot4c_i32_i8 v52, v21, v20
	v_cvt_f32_i32_e32 v21, v53
	v_cvt_f32_i32_e32 v20, v52
	v_fma_mix_f32 v18, v20, v18, v35 op_sel_hi:[0,1,0]
	v_fma_mix_f32 v20, v21, v26, v28 op_sel_hi:[0,1,0]
	;; [unrolled: 1-line block ×4, first 2 shown]
	v_fmac_f32_e32 v12, v30, v18
	v_fmac_f32_e32 v10, v30, v20
	;; [unrolled: 1-line block ×4, first 2 shown]
	s_andn2_b32 exec_lo, exec_lo, s3
	s_cbranch_execnz .LBB212_2
; %bb.3:
	s_or_b32 exec_lo, exec_lo, s3
.LBB212_4:
	s_or_b32 exec_lo, exec_lo, s9
	s_mov_b32 s1, 0
	; wave barrier
	buffer_gl0_inv
	s_mov_b32 s0, exec_lo
	v_cmpx_eq_u32_e32 0, v1
	s_cbranch_execz .LBB212_15
; %bb.5:
	v_mbcnt_lo_u32_b32 v5, -1, 0
	s_load_dwordx2 s[4:5], s[4:5], 0x38
	s_mul_i32 s0, s14, s7
	s_mul_i32 s3, s18, s8
	s_add_i32 s0, s0, s6
	v_xor_b32_e32 v1, 16, v5
	v_xor_b32_e32 v2, 8, v5
	s_add_i32 s0, s0, s3
	s_lshl_b64 s[0:1], s[0:1], 2
	v_cmp_gt_i32_e32 vcc_lo, 32, v1
	v_cndmask_b32_e32 v1, v5, v1, vcc_lo
	v_cmp_gt_i32_e32 vcc_lo, 32, v2
	v_lshlrev_b32_e32 v1, 2, v1
	v_cndmask_b32_e32 v2, v5, v2, vcc_lo
	s_waitcnt lgkmcnt(0)
	s_add_u32 s0, s4, s0
	s_addc_u32 s1, s5, s1
	ds_bpermute_b32 v3, v1, v12
	v_lshlrev_b32_e32 v2, 2, v2
	s_waitcnt lgkmcnt(0)
	v_add_f32_e32 v4, v12, v3
	v_xor_b32_e32 v3, 4, v5
	v_xor_b32_e32 v12, 1, v5
	ds_bpermute_b32 v6, v2, v4
	v_cmp_gt_i32_e32 vcc_lo, 32, v3
	v_cndmask_b32_e32 v3, v5, v3, vcc_lo
	v_lshlrev_b32_e32 v3, 2, v3
	s_waitcnt lgkmcnt(0)
	v_add_f32_e32 v6, v4, v6
	v_xor_b32_e32 v4, 2, v5
	ds_bpermute_b32 v11, v3, v6
	v_cmp_gt_i32_e32 vcc_lo, 32, v4
	v_cndmask_b32_e32 v4, v5, v4, vcc_lo
	v_cmp_gt_i32_e32 vcc_lo, 32, v12
	v_lshlrev_b32_e32 v4, 2, v4
	v_cndmask_b32_e32 v5, v5, v12, vcc_lo
	v_cmp_eq_u32_e32 vcc_lo, 0, v0
	v_lshlrev_b32_e32 v5, 2, v5
	s_waitcnt lgkmcnt(0)
	v_add_f32_e32 v6, v6, v11
	ds_bpermute_b32 v11, v4, v6
	s_waitcnt lgkmcnt(0)
	v_add_f32_e32 v6, v6, v11
	ds_bpermute_b32 v11, v5, v6
	s_and_saveexec_b32 s3, vcc_lo
	s_cbranch_execz .LBB212_7
; %bb.6:
	s_waitcnt lgkmcnt(0)
	v_add_f32_e32 v0, v6, v11
	v_mov_b32_e32 v6, 0
	global_store_dword v6, v0, s[0:1]
.LBB212_7:
	s_or_b32 exec_lo, exec_lo, s3
	ds_bpermute_b32 v0, v1, v10
	s_waitcnt lgkmcnt(0)
	v_add_f32_e32 v0, v10, v0
	ds_bpermute_b32 v6, v2, v0
	s_waitcnt lgkmcnt(0)
	v_add_f32_e32 v0, v0, v6
	;; [unrolled: 3-line block ×4, first 2 shown]
	ds_bpermute_b32 v6, v5, v0
	s_and_saveexec_b32 s4, vcc_lo
	s_cbranch_execz .LBB212_9
; %bb.8:
	s_mov_b32 s3, 0
	s_waitcnt lgkmcnt(0)
	v_add_f32_e32 v0, v0, v6
	s_lshl_b64 s[6:7], s[2:3], 2
	v_mov_b32_e32 v6, 0
	s_add_u32 s6, s0, s6
	s_addc_u32 s7, s1, s7
	global_store_dword v6, v0, s[6:7]
.LBB212_9:
	s_or_b32 exec_lo, exec_lo, s4
	ds_bpermute_b32 v0, v1, v9
	s_waitcnt lgkmcnt(0)
	v_add_f32_e32 v0, v9, v0
	ds_bpermute_b32 v6, v2, v0
	s_waitcnt lgkmcnt(0)
	v_add_f32_e32 v0, v0, v6
	ds_bpermute_b32 v6, v3, v0
	s_waitcnt lgkmcnt(0)
	v_add_f32_e32 v0, v0, v6
	ds_bpermute_b32 v6, v4, v0
	s_waitcnt lgkmcnt(0)
	v_add_f32_e32 v0, v0, v6
	ds_bpermute_b32 v6, v5, v0
	s_and_saveexec_b32 s3, vcc_lo
	s_cbranch_execz .LBB212_11
; %bb.10:
	s_lshl_b32 s4, s2, 1
	s_mov_b32 s5, 0
	s_waitcnt lgkmcnt(0)
	v_add_f32_e32 v0, v0, v6
	s_lshl_b64 s[4:5], s[4:5], 2
	v_mov_b32_e32 v6, 0
	s_add_u32 s4, s0, s4
	s_addc_u32 s5, s1, s5
	global_store_dword v6, v0, s[4:5]
.LBB212_11:
	s_or_b32 exec_lo, exec_lo, s3
	ds_bpermute_b32 v0, v1, v8
	s_waitcnt lgkmcnt(0)
	v_add_f32_e32 v0, v8, v0
	ds_bpermute_b32 v6, v2, v0
	s_waitcnt lgkmcnt(0)
	v_add_f32_e32 v0, v0, v6
	;; [unrolled: 3-line block ×4, first 2 shown]
	ds_bpermute_b32 v6, v5, v0
	s_and_saveexec_b32 s3, vcc_lo
	s_cbranch_execz .LBB212_13
; %bb.12:
	s_mul_i32 s4, s2, 3
	s_mov_b32 s5, 0
	s_waitcnt lgkmcnt(0)
	v_add_f32_e32 v0, v0, v6
	s_lshl_b64 s[4:5], s[4:5], 2
	v_mov_b32_e32 v6, 0
	s_add_u32 s4, s0, s4
	s_addc_u32 s5, s1, s5
	global_store_dword v6, v0, s[4:5]
.LBB212_13:
	s_or_b32 exec_lo, exec_lo, s3
	ds_bpermute_b32 v0, v1, v7
	s_waitcnt lgkmcnt(0)
	v_add_f32_e32 v0, v7, v0
	ds_bpermute_b32 v1, v2, v0
	s_waitcnt lgkmcnt(0)
	v_add_f32_e32 v0, v0, v1
	;; [unrolled: 3-line block ×4, first 2 shown]
	ds_bpermute_b32 v1, v5, v0
	s_and_b32 exec_lo, exec_lo, vcc_lo
	s_cbranch_execz .LBB212_15
; %bb.14:
	s_lshl_b32 s2, s2, 2
	s_mov_b32 s3, 0
	s_waitcnt lgkmcnt(0)
	v_add_f32_e32 v0, v0, v1
	s_lshl_b64 s[2:3], s[2:3], 2
	v_mov_b32_e32 v1, 0
	s_add_u32 s0, s0, s2
	s_addc_u32 s1, s1, s3
	global_store_dword v1, v0, s[0:1]
.LBB212_15:
	s_endpgm
	.section	.rodata,"a",@progbits
	.p2align	6, 0x0
	.amdhsa_kernel _ZL13mul_mat_vec_qIL9ggml_type19ELi5ELb0ELb0EEvPKvS2_PKi31ggml_cuda_mm_fusion_args_devicePfj15HIP_vector_typeIjLj3EEjjjS8_jjjS8_jjjj
		.amdhsa_group_segment_fixed_size 0
		.amdhsa_private_segment_fixed_size 0
		.amdhsa_kernarg_size 144
		.amdhsa_user_sgpr_count 6
		.amdhsa_user_sgpr_private_segment_buffer 1
		.amdhsa_user_sgpr_dispatch_ptr 0
		.amdhsa_user_sgpr_queue_ptr 0
		.amdhsa_user_sgpr_kernarg_segment_ptr 1
		.amdhsa_user_sgpr_dispatch_id 0
		.amdhsa_user_sgpr_flat_scratch_init 0
		.amdhsa_user_sgpr_private_segment_size 0
		.amdhsa_wavefront_size32 1
		.amdhsa_uses_dynamic_stack 0
		.amdhsa_system_sgpr_private_segment_wavefront_offset 0
		.amdhsa_system_sgpr_workgroup_id_x 1
		.amdhsa_system_sgpr_workgroup_id_y 1
		.amdhsa_system_sgpr_workgroup_id_z 1
		.amdhsa_system_sgpr_workgroup_info 0
		.amdhsa_system_vgpr_workitem_id 1
		.amdhsa_next_free_vgpr 60
		.amdhsa_next_free_sgpr 28
		.amdhsa_reserve_vcc 1
		.amdhsa_reserve_flat_scratch 0
		.amdhsa_float_round_mode_32 0
		.amdhsa_float_round_mode_16_64 0
		.amdhsa_float_denorm_mode_32 3
		.amdhsa_float_denorm_mode_16_64 3
		.amdhsa_dx10_clamp 1
		.amdhsa_ieee_mode 1
		.amdhsa_fp16_overflow 0
		.amdhsa_workgroup_processor_mode 1
		.amdhsa_memory_ordered 1
		.amdhsa_forward_progress 1
		.amdhsa_shared_vgpr_count 0
		.amdhsa_exception_fp_ieee_invalid_op 0
		.amdhsa_exception_fp_denorm_src 0
		.amdhsa_exception_fp_ieee_div_zero 0
		.amdhsa_exception_fp_ieee_overflow 0
		.amdhsa_exception_fp_ieee_underflow 0
		.amdhsa_exception_fp_ieee_inexact 0
		.amdhsa_exception_int_div_zero 0
	.end_amdhsa_kernel
	.section	.text._ZL13mul_mat_vec_qIL9ggml_type19ELi5ELb0ELb0EEvPKvS2_PKi31ggml_cuda_mm_fusion_args_devicePfj15HIP_vector_typeIjLj3EEjjjS8_jjjS8_jjjj,"axG",@progbits,_ZL13mul_mat_vec_qIL9ggml_type19ELi5ELb0ELb0EEvPKvS2_PKi31ggml_cuda_mm_fusion_args_devicePfj15HIP_vector_typeIjLj3EEjjjS8_jjjS8_jjjj,comdat
.Lfunc_end212:
	.size	_ZL13mul_mat_vec_qIL9ggml_type19ELi5ELb0ELb0EEvPKvS2_PKi31ggml_cuda_mm_fusion_args_devicePfj15HIP_vector_typeIjLj3EEjjjS8_jjjS8_jjjj, .Lfunc_end212-_ZL13mul_mat_vec_qIL9ggml_type19ELi5ELb0ELb0EEvPKvS2_PKi31ggml_cuda_mm_fusion_args_devicePfj15HIP_vector_typeIjLj3EEjjjS8_jjjS8_jjjj
                                        ; -- End function
	.set _ZL13mul_mat_vec_qIL9ggml_type19ELi5ELb0ELb0EEvPKvS2_PKi31ggml_cuda_mm_fusion_args_devicePfj15HIP_vector_typeIjLj3EEjjjS8_jjjS8_jjjj.num_vgpr, 60
	.set _ZL13mul_mat_vec_qIL9ggml_type19ELi5ELb0ELb0EEvPKvS2_PKi31ggml_cuda_mm_fusion_args_devicePfj15HIP_vector_typeIjLj3EEjjjS8_jjjS8_jjjj.num_agpr, 0
	.set _ZL13mul_mat_vec_qIL9ggml_type19ELi5ELb0ELb0EEvPKvS2_PKi31ggml_cuda_mm_fusion_args_devicePfj15HIP_vector_typeIjLj3EEjjjS8_jjjS8_jjjj.numbered_sgpr, 28
	.set _ZL13mul_mat_vec_qIL9ggml_type19ELi5ELb0ELb0EEvPKvS2_PKi31ggml_cuda_mm_fusion_args_devicePfj15HIP_vector_typeIjLj3EEjjjS8_jjjS8_jjjj.num_named_barrier, 0
	.set _ZL13mul_mat_vec_qIL9ggml_type19ELi5ELb0ELb0EEvPKvS2_PKi31ggml_cuda_mm_fusion_args_devicePfj15HIP_vector_typeIjLj3EEjjjS8_jjjS8_jjjj.private_seg_size, 0
	.set _ZL13mul_mat_vec_qIL9ggml_type19ELi5ELb0ELb0EEvPKvS2_PKi31ggml_cuda_mm_fusion_args_devicePfj15HIP_vector_typeIjLj3EEjjjS8_jjjS8_jjjj.uses_vcc, 1
	.set _ZL13mul_mat_vec_qIL9ggml_type19ELi5ELb0ELb0EEvPKvS2_PKi31ggml_cuda_mm_fusion_args_devicePfj15HIP_vector_typeIjLj3EEjjjS8_jjjS8_jjjj.uses_flat_scratch, 0
	.set _ZL13mul_mat_vec_qIL9ggml_type19ELi5ELb0ELb0EEvPKvS2_PKi31ggml_cuda_mm_fusion_args_devicePfj15HIP_vector_typeIjLj3EEjjjS8_jjjS8_jjjj.has_dyn_sized_stack, 0
	.set _ZL13mul_mat_vec_qIL9ggml_type19ELi5ELb0ELb0EEvPKvS2_PKi31ggml_cuda_mm_fusion_args_devicePfj15HIP_vector_typeIjLj3EEjjjS8_jjjS8_jjjj.has_recursion, 0
	.set _ZL13mul_mat_vec_qIL9ggml_type19ELi5ELb0ELb0EEvPKvS2_PKi31ggml_cuda_mm_fusion_args_devicePfj15HIP_vector_typeIjLj3EEjjjS8_jjjS8_jjjj.has_indirect_call, 0
	.section	.AMDGPU.csdata,"",@progbits
; Kernel info:
; codeLenInByte = 2060
; TotalNumSgprs: 30
; NumVgprs: 60
; ScratchSize: 0
; MemoryBound: 0
; FloatMode: 240
; IeeeMode: 1
; LDSByteSize: 0 bytes/workgroup (compile time only)
; SGPRBlocks: 0
; VGPRBlocks: 7
; NumSGPRsForWavesPerEU: 30
; NumVGPRsForWavesPerEU: 60
; Occupancy: 16
; WaveLimiterHint : 0
; COMPUTE_PGM_RSRC2:SCRATCH_EN: 0
; COMPUTE_PGM_RSRC2:USER_SGPR: 6
; COMPUTE_PGM_RSRC2:TRAP_HANDLER: 0
; COMPUTE_PGM_RSRC2:TGID_X_EN: 1
; COMPUTE_PGM_RSRC2:TGID_Y_EN: 1
; COMPUTE_PGM_RSRC2:TGID_Z_EN: 1
; COMPUTE_PGM_RSRC2:TIDIG_COMP_CNT: 1
	.section	.text._ZL13mul_mat_vec_qIL9ggml_type19ELi6ELb0ELb0EEvPKvS2_PKi31ggml_cuda_mm_fusion_args_devicePfj15HIP_vector_typeIjLj3EEjjjS8_jjjS8_jjjj,"axG",@progbits,_ZL13mul_mat_vec_qIL9ggml_type19ELi6ELb0ELb0EEvPKvS2_PKi31ggml_cuda_mm_fusion_args_devicePfj15HIP_vector_typeIjLj3EEjjjS8_jjjS8_jjjj,comdat
	.globl	_ZL13mul_mat_vec_qIL9ggml_type19ELi6ELb0ELb0EEvPKvS2_PKi31ggml_cuda_mm_fusion_args_devicePfj15HIP_vector_typeIjLj3EEjjjS8_jjjS8_jjjj ; -- Begin function _ZL13mul_mat_vec_qIL9ggml_type19ELi6ELb0ELb0EEvPKvS2_PKi31ggml_cuda_mm_fusion_args_devicePfj15HIP_vector_typeIjLj3EEjjjS8_jjjS8_jjjj
	.p2align	8
	.type	_ZL13mul_mat_vec_qIL9ggml_type19ELi6ELb0ELb0EEvPKvS2_PKi31ggml_cuda_mm_fusion_args_devicePfj15HIP_vector_typeIjLj3EEjjjS8_jjjS8_jjjj,@function
_ZL13mul_mat_vec_qIL9ggml_type19ELi6ELb0ELb0EEvPKvS2_PKi31ggml_cuda_mm_fusion_args_devicePfj15HIP_vector_typeIjLj3EEjjjS8_jjjS8_jjjj: ; @_ZL13mul_mat_vec_qIL9ggml_type19ELi6ELb0ELb0EEvPKvS2_PKi31ggml_cuda_mm_fusion_args_devicePfj15HIP_vector_typeIjLj3EEjjjS8_jjjS8_jjjj
; %bb.0:
	s_clause 0x5
	s_load_dword s9, s[4:5], 0x40
	s_load_dwordx4 s[0:3], s[4:5], 0x50
	s_load_dword s11, s[4:5], 0x60
	s_load_dwordx4 s[12:15], s[4:5], 0x68
	;; [unrolled: 2-line block ×3, first 2 shown]
	v_lshl_or_b32 v2, v1, 5, v0
	v_mov_b32_e32 v8, 0
	v_mov_b32_e32 v9, 0
	;; [unrolled: 1-line block ×4, first 2 shown]
	v_lshrrev_b32_e32 v13, 3, v2
	v_mov_b32_e32 v12, 0
	v_mov_b32_e32 v14, 0
	s_waitcnt lgkmcnt(0)
	s_lshr_b32 s10, s9, 8
	s_mov_b32 s9, exec_lo
	v_cmpx_gt_u32_e64 s10, v13
	s_cbranch_execz .LBB213_4
; %bb.1:
	s_mul_i32 s13, s13, s7
	s_load_dwordx4 s[20:23], s[4:5], 0x0
	s_mul_hi_u32 s27, s13, 36
	s_mul_i32 s26, s13, 36
	s_mul_i32 s17, s17, s8
	v_mad_u64_u32 v[2:3], null, 0x120, v13, s[26:27]
	v_and_b32_e32 v11, 7, v0
	s_mul_hi_u32 s3, s3, s7
	v_mov_b32_e32 v8, 0
	v_lshlrev_b32_e32 v7, 3, v13
	s_mul_hi_u32 s15, s15, s8
	s_add_i32 s3, s7, s3
	v_mad_u64_u32 v[4:5], null, s17, 36, v[2:3]
	s_add_i32 s15, s8, s15
	s_mul_i32 s25, s17, 36
	s_lshr_b32 s3, s3, s11
	s_mul_hi_u32 s19, s17, 36
	s_lshr_b32 s11, s15, s24
	s_mul_i32 s3, s3, s12
	v_mad_u64_u32 v[9:10], null, v11, 36, v[4:5]
	v_mad_u64_u32 v[4:5], null, s1, 5, v[7:8]
	s_waitcnt lgkmcnt(0)
	s_add_u32 s12, s22, s25
	v_mad_u64_u32 v[5:6], null, s1, 3, v[7:8]
	s_addc_u32 s13, s23, s19
	v_add_co_u32 v6, vcc_lo, s22, v9
	s_add_u32 s12, s12, s26
	s_addc_u32 s13, s13, s27
	v_lshlrev_b32_e32 v12, 1, v11
	v_add_co_ci_u32_e64 v9, null, s23, v10, vcc_lo
	v_mad_u64_u32 v[2:3], null, v11, 36, s[12:13]
	v_add_co_u32 v6, vcc_lo, v6, 16
	s_mul_i32 s0, s0, s6
	v_add_nc_u32_e32 v15, s1, v7
	v_lshl_add_u32 v16, s1, 2, v7
	v_lshl_add_u32 v17, s1, 1, v7
	v_add_co_ci_u32_e64 v7, null, 0, v9, vcc_lo
	v_lshlrev_b32_e32 v18, 1, v12
	v_lshlrev_b32_e32 v19, 1, v11
	v_mov_b32_e32 v9, 0
	v_mov_b32_e32 v10, 0
	;; [unrolled: 1-line block ×5, first 2 shown]
	s_mul_i32 s11, s11, s16
	s_add_i32 s3, s3, s0
	s_mov_b32 s12, 0xb7000000
	s_add_i32 s11, s11, s3
	s_mov_b32 s3, 0
.LBB213_2:                              ; =>This Inner Loop Header: Depth=1
	v_add_nc_u32_e32 v28, s11, v13
	v_mad_u64_u32 v[40:41], null, v15, 36, v[2:3]
	v_mad_u64_u32 v[42:43], null, v17, 36, v[2:3]
	v_mad_i64_i32 v[46:47], null, v28, 50, s[20:21]
	s_clause 0x1
	global_load_dwordx4 v[20:23], v[6:7], off offset:-16
	global_load_dwordx4 v[24:27], v[6:7], off
	s_clause 0x2
	global_load_dwordx4 v[28:31], v[40:41], off
	global_load_dwordx4 v[32:35], v[40:41], off offset:16
	global_load_dwordx4 v[36:39], v[42:43], off
	s_getpc_b64 s[0:1]
	s_add_u32 s0, s0, _ZL13iq1s_grid_gpu@rel32@lo+4
	s_addc_u32 s1, s1, _ZL13iq1s_grid_gpu@rel32@hi+12
	v_mov_b32_e32 v52, 0
	v_mov_b32_e32 v53, 0
	v_add_co_u32 v48, vcc_lo, v46, v18
	v_add_co_ci_u32_e64 v49, null, 0, v47, vcc_lo
	v_add_co_u32 v50, vcc_lo, v46, v19
	v_add_co_ci_u32_e64 v51, null, 0, v47, vcc_lo
	s_clause 0x2
	global_load_dword v48, v[48:49], off offset:2
	global_load_ushort v49, v[50:51], off offset:34
	global_load_ushort v46, v[46:47], off
	v_mov_b32_e32 v54, 0
	v_mad_u64_u32 v[44:45], null, v5, 36, v[2:3]
	v_mov_b32_e32 v55, 0
	v_add_nc_u32_e32 v13, 4, v13
	v_add_nc_u32_e32 v15, 32, v15
	;; [unrolled: 1-line block ×4, first 2 shown]
	s_waitcnt vmcnt(2)
	v_and_b32_e32 v50, 0xff, v48
	s_waitcnt vmcnt(1)
	v_lshlrev_b32_e32 v51, 8, v49
	v_bfe_u32 v56, v48, 8, 8
	v_lshlrev_b32_e32 v57, 5, v49
	v_lshrrev_b32_e32 v47, 24, v48
	v_bfe_u32 v48, v48, 16, 8
	v_lshlrev_b32_e32 v58, 2, v49
	v_lshrrev_b32_e32 v59, 1, v49
	v_and_or_b32 v50, 0x700, v51, v50
	v_and_or_b32 v51, 0x700, v57, v56
	;; [unrolled: 1-line block ×4, first 2 shown]
	v_lshlrev_b32_e32 v50, 2, v50
	v_lshlrev_b32_e32 v51, 2, v51
	;; [unrolled: 1-line block ×4, first 2 shown]
	s_clause 0x3
	global_load_dword v50, v50, s[0:1]
	global_load_dword v51, v51, s[0:1]
	;; [unrolled: 1-line block ×4, first 2 shown]
	s_waitcnt vmcnt(3)
	v_and_b32_e32 v56, 0xf0f0f0f, v50
	v_lshrrev_b32_e32 v50, 4, v50
	s_waitcnt vmcnt(2)
	v_and_b32_e32 v57, 0xf0f0f0f, v51
	v_lshrrev_b32_e32 v51, 4, v51
	s_waitcnt vmcnt(1)
	v_and_b32_e32 v58, 0xf0f0f0f, v48
	v_dot4c_i32_i8 v52, v56, v21
	v_and_b32_e32 v50, 0xf0f0f0f, v50
	v_dot4c_i32_i8 v53, v56, v29
	;; [unrolled: 2-line block ×3, first 2 shown]
	v_lshrrev_b32_e32 v48, 4, v48
	v_dot4c_i32_i8 v52, v50, v22
	v_dot4c_i32_i8 v53, v50, v30
	s_waitcnt vmcnt(0)
	v_and_b32_e32 v59, 0xf0f0f0f, v47
	v_dot4c_i32_i8 v54, v50, v38
	v_and_b32_e32 v48, 0xf0f0f0f, v48
	v_dot4c_i32_i8 v52, v57, v23
	v_dot4c_i32_i8 v53, v57, v31
	v_mov_b32_e32 v37, 0
	v_dot4c_i32_i8 v54, v57, v39
	v_mov_b32_e32 v38, 0
	v_dot4c_i32_i8 v52, v51, v24
	global_load_dwordx4 v[21:24], v[42:43], off offset:16
	v_dot4c_i32_i8 v53, v51, v32
	global_load_dwordx4 v[29:32], v[44:45], off
	v_dot4c_i32_i8 v52, v58, v25
	v_dot4c_i32_i8 v53, v58, v33
	;; [unrolled: 1-line block ×5, first 2 shown]
	v_mad_u64_u32 v[26:27], null, v16, 36, v[2:3]
	v_dot4c_i32_i8 v53, v59, v35
	v_mad_u64_u32 v[34:35], null, v4, 36, v[2:3]
	v_add_nc_u32_e32 v4, 32, v4
	v_add_nc_u32_e32 v16, 32, v16
	s_waitcnt vmcnt(1)
	v_dot4c_i32_i8 v54, v51, v21
	s_waitcnt vmcnt(0)
	v_dot4c_i32_i8 v55, v56, v30
	v_dot4c_i32_i8 v54, v58, v22
	;; [unrolled: 1-line block ×6, first 2 shown]
	global_load_dwordx4 v[21:24], v[44:45], off offset:16
	s_waitcnt vmcnt(0)
	v_dot4c_i32_i8 v55, v51, v21
	v_dot4c_i32_i8 v55, v58, v22
	;; [unrolled: 1-line block ×4, first 2 shown]
	global_load_dwordx4 v[21:24], v[26:27], off
	s_waitcnt vmcnt(0)
	v_dot4c_i32_i8 v37, v56, v22
	v_cvt_f32_f16_sdwa v39, v21 dst_sel:DWORD dst_unused:UNUSED_PAD src0_sel:WORD_1
	v_dot4c_i32_i8 v37, v50, v23
	v_dot4c_i32_i8 v37, v57, v24
	global_load_dwordx4 v[22:25], v[26:27], off offset:16
	s_waitcnt vmcnt(0)
	v_dot4c_i32_i8 v37, v51, v22
	v_dot4c_i32_i8 v37, v58, v23
	;; [unrolled: 1-line block ×4, first 2 shown]
	s_clause 0x1
	global_load_dwordx4 v[22:25], v[34:35], off
	global_load_dwordx4 v[30:33], v[34:35], off offset:16
	s_waitcnt vmcnt(1)
	v_dot4c_i32_i8 v38, v56, v23
	v_dot4c_i32_i8 v38, v50, v24
	;; [unrolled: 1-line block ×3, first 2 shown]
	s_clause 0x4
	global_load_dword v23, v[40:41], off offset:32
	global_load_dword v24, v[42:43], off offset:32
	;; [unrolled: 1-line block ×6, first 2 shown]
	v_cvt_f32_f16_sdwa v34, v36 dst_sel:DWORD dst_unused:UNUSED_PAD src0_sel:WORD_1
	v_cvt_f32_f16_sdwa v35, v29 dst_sel:DWORD dst_unused:UNUSED_PAD src0_sel:WORD_1
	s_waitcnt vmcnt(6)
	v_dot4c_i32_i8 v38, v51, v30
	v_cvt_f32_f16_sdwa v30, v20 dst_sel:DWORD dst_unused:UNUSED_PAD src0_sel:WORD_1
	v_cvt_f32_f16_sdwa v40, v22 dst_sel:DWORD dst_unused:UNUSED_PAD src0_sel:WORD_1
	v_add_co_u32 v6, vcc_lo, 0x480, v6
	v_dot4c_i32_i8 v38, v58, v31
	v_lshrrev_b32_e32 v31, 11, v49
	v_add_co_ci_u32_e64 v7, null, 0, v7, vcc_lo
	v_cmp_le_u32_e32 vcc_lo, s10, v13
	v_dot4c_i32_i8 v38, v48, v32
	v_and_or_b32 v31, v31, 14, 1
	v_cvt_f32_f16_e32 v32, v46
	s_or_b32 s3, vcc_lo, s3
	v_dot4c_i32_i8 v38, v59, v33
	v_and_b32_e32 v33, 0x8000, v49
	v_cvt_f32_ubyte0_e32 v31, v31
	v_cvt_f32_u32_e32 v33, v33
	v_mul_f32_e32 v31, v31, v32
	v_cvt_f32_f16_sdwa v32, v28 dst_sel:DWORD dst_unused:UNUSED_PAD src0_sel:WORD_1
	v_fmaak_f32 v33, s12, v33, 0xbf600000
	v_mul_f32_e32 v30, v33, v30
	v_mul_f32_e32 v32, v33, v32
	;; [unrolled: 1-line block ×6, first 2 shown]
	v_lshrrev_b32_e32 v40, 4, v47
	v_and_b32_e32 v40, 0xf0f0f0f, v40
	s_waitcnt vmcnt(5)
	v_dot4c_i32_i8 v53, v40, v23
	s_waitcnt vmcnt(4)
	v_dot4c_i32_i8 v54, v40, v24
	;; [unrolled: 2-line block ×6, first 2 shown]
	v_cvt_f32_i32_e32 v24, v53
	v_cvt_f32_i32_e32 v25, v54
	;; [unrolled: 1-line block ×6, first 2 shown]
	v_fma_mix_f32 v21, v27, v21, v39 op_sel_hi:[0,1,0]
	v_fma_mix_f32 v20, v23, v20, v30 op_sel_hi:[0,1,0]
	;; [unrolled: 1-line block ×6, first 2 shown]
	v_fmac_f32_e32 v14, v31, v20
	v_fmac_f32_e32 v12, v31, v23
	;; [unrolled: 1-line block ×6, first 2 shown]
	s_andn2_b32 exec_lo, exec_lo, s3
	s_cbranch_execnz .LBB213_2
; %bb.3:
	s_or_b32 exec_lo, exec_lo, s3
.LBB213_4:
	s_or_b32 exec_lo, exec_lo, s9
	s_mov_b32 s1, 0
	; wave barrier
	buffer_gl0_inv
	s_mov_b32 s0, exec_lo
	v_cmpx_eq_u32_e32 0, v1
	s_cbranch_execz .LBB213_17
; %bb.5:
	v_mbcnt_lo_u32_b32 v5, -1, 0
	s_load_dwordx2 s[4:5], s[4:5], 0x38
	s_mul_i32 s0, s14, s7
	s_mul_i32 s3, s18, s8
	s_add_i32 s0, s0, s6
	v_xor_b32_e32 v1, 16, v5
	v_xor_b32_e32 v2, 8, v5
	;; [unrolled: 1-line block ×3, first 2 shown]
	s_add_i32 s0, s0, s3
	s_lshl_b64 s[0:1], s[0:1], 2
	v_cmp_gt_i32_e32 vcc_lo, 32, v1
	v_cndmask_b32_e32 v1, v5, v1, vcc_lo
	v_cmp_gt_i32_e32 vcc_lo, 32, v2
	v_lshlrev_b32_e32 v1, 2, v1
	v_cndmask_b32_e32 v2, v5, v2, vcc_lo
	s_waitcnt lgkmcnt(0)
	s_add_u32 s0, s4, s0
	s_addc_u32 s1, s5, s1
	ds_bpermute_b32 v3, v1, v14
	v_lshlrev_b32_e32 v2, 2, v2
	s_waitcnt lgkmcnt(0)
	v_add_f32_e32 v4, v14, v3
	v_xor_b32_e32 v3, 4, v5
	ds_bpermute_b32 v6, v2, v4
	v_cmp_gt_i32_e32 vcc_lo, 32, v3
	v_cndmask_b32_e32 v3, v5, v3, vcc_lo
	v_lshlrev_b32_e32 v3, 2, v3
	s_waitcnt lgkmcnt(0)
	v_add_f32_e32 v6, v4, v6
	v_xor_b32_e32 v4, 2, v5
	ds_bpermute_b32 v7, v3, v6
	v_cmp_gt_i32_e32 vcc_lo, 32, v4
	v_cndmask_b32_e32 v4, v5, v4, vcc_lo
	v_cmp_gt_i32_e32 vcc_lo, 32, v13
	v_lshlrev_b32_e32 v4, 2, v4
	v_cndmask_b32_e32 v5, v5, v13, vcc_lo
	v_cmp_eq_u32_e32 vcc_lo, 0, v0
	v_lshlrev_b32_e32 v5, 2, v5
	s_waitcnt lgkmcnt(0)
	v_add_f32_e32 v6, v6, v7
	ds_bpermute_b32 v7, v4, v6
	s_waitcnt lgkmcnt(0)
	v_add_f32_e32 v6, v6, v7
	ds_bpermute_b32 v7, v5, v6
	s_and_saveexec_b32 s3, vcc_lo
	s_cbranch_execz .LBB213_7
; %bb.6:
	s_waitcnt lgkmcnt(0)
	v_add_f32_e32 v0, v6, v7
	v_mov_b32_e32 v6, 0
	global_store_dword v6, v0, s[0:1]
.LBB213_7:
	s_or_b32 exec_lo, exec_lo, s3
	ds_bpermute_b32 v0, v1, v12
	s_waitcnt lgkmcnt(0)
	v_add_f32_e32 v0, v12, v0
	ds_bpermute_b32 v6, v2, v0
	s_waitcnt lgkmcnt(0)
	v_add_f32_e32 v0, v0, v6
	ds_bpermute_b32 v6, v3, v0
	s_waitcnt lgkmcnt(0)
	v_add_f32_e32 v0, v0, v6
	ds_bpermute_b32 v6, v4, v0
	s_waitcnt lgkmcnt(0)
	v_add_f32_e32 v0, v0, v6
	ds_bpermute_b32 v6, v5, v0
	s_and_saveexec_b32 s4, vcc_lo
	s_cbranch_execz .LBB213_9
; %bb.8:
	s_mov_b32 s3, 0
	s_waitcnt lgkmcnt(0)
	v_add_f32_e32 v0, v0, v6
	s_lshl_b64 s[6:7], s[2:3], 2
	v_mov_b32_e32 v6, 0
	s_add_u32 s6, s0, s6
	s_addc_u32 s7, s1, s7
	global_store_dword v6, v0, s[6:7]
.LBB213_9:
	s_or_b32 exec_lo, exec_lo, s4
	ds_bpermute_b32 v0, v1, v11
	s_waitcnt lgkmcnt(0)
	v_add_f32_e32 v0, v11, v0
	ds_bpermute_b32 v6, v2, v0
	s_waitcnt lgkmcnt(0)
	v_add_f32_e32 v0, v0, v6
	;; [unrolled: 3-line block ×4, first 2 shown]
	ds_bpermute_b32 v6, v5, v0
	s_and_saveexec_b32 s3, vcc_lo
	s_cbranch_execz .LBB213_11
; %bb.10:
	s_lshl_b32 s4, s2, 1
	s_mov_b32 s5, 0
	s_waitcnt lgkmcnt(0)
	v_add_f32_e32 v0, v0, v6
	s_lshl_b64 s[4:5], s[4:5], 2
	v_mov_b32_e32 v6, 0
	s_add_u32 s4, s0, s4
	s_addc_u32 s5, s1, s5
	global_store_dword v6, v0, s[4:5]
.LBB213_11:
	s_or_b32 exec_lo, exec_lo, s3
	ds_bpermute_b32 v0, v1, v10
	s_waitcnt lgkmcnt(0)
	v_add_f32_e32 v0, v10, v0
	ds_bpermute_b32 v6, v2, v0
	s_waitcnt lgkmcnt(0)
	v_add_f32_e32 v0, v0, v6
	;; [unrolled: 3-line block ×4, first 2 shown]
	ds_bpermute_b32 v6, v5, v0
	s_and_saveexec_b32 s3, vcc_lo
	s_cbranch_execz .LBB213_13
; %bb.12:
	s_mul_i32 s4, s2, 3
	s_mov_b32 s5, 0
	s_waitcnt lgkmcnt(0)
	v_add_f32_e32 v0, v0, v6
	s_lshl_b64 s[4:5], s[4:5], 2
	v_mov_b32_e32 v6, 0
	s_add_u32 s4, s0, s4
	s_addc_u32 s5, s1, s5
	global_store_dword v6, v0, s[4:5]
.LBB213_13:
	s_or_b32 exec_lo, exec_lo, s3
	ds_bpermute_b32 v0, v1, v9
	s_waitcnt lgkmcnt(0)
	v_add_f32_e32 v0, v9, v0
	ds_bpermute_b32 v6, v2, v0
	s_waitcnt lgkmcnt(0)
	v_add_f32_e32 v0, v0, v6
	;; [unrolled: 3-line block ×4, first 2 shown]
	ds_bpermute_b32 v6, v5, v0
	s_and_saveexec_b32 s3, vcc_lo
	s_cbranch_execz .LBB213_15
; %bb.14:
	s_lshl_b32 s4, s2, 2
	s_mov_b32 s5, 0
	s_waitcnt lgkmcnt(0)
	v_add_f32_e32 v0, v0, v6
	s_lshl_b64 s[4:5], s[4:5], 2
	v_mov_b32_e32 v6, 0
	s_add_u32 s4, s0, s4
	s_addc_u32 s5, s1, s5
	global_store_dword v6, v0, s[4:5]
.LBB213_15:
	s_or_b32 exec_lo, exec_lo, s3
	ds_bpermute_b32 v0, v1, v8
	s_waitcnt lgkmcnt(0)
	v_add_f32_e32 v0, v8, v0
	ds_bpermute_b32 v1, v2, v0
	s_waitcnt lgkmcnt(0)
	v_add_f32_e32 v0, v0, v1
	;; [unrolled: 3-line block ×4, first 2 shown]
	ds_bpermute_b32 v1, v5, v0
	s_and_b32 exec_lo, exec_lo, vcc_lo
	s_cbranch_execz .LBB213_17
; %bb.16:
	s_mul_i32 s2, s2, 5
	s_mov_b32 s3, 0
	s_waitcnt lgkmcnt(0)
	v_add_f32_e32 v0, v0, v1
	s_lshl_b64 s[2:3], s[2:3], 2
	v_mov_b32_e32 v1, 0
	s_add_u32 s0, s0, s2
	s_addc_u32 s1, s1, s3
	global_store_dword v1, v0, s[0:1]
.LBB213_17:
	s_endpgm
	.section	.rodata,"a",@progbits
	.p2align	6, 0x0
	.amdhsa_kernel _ZL13mul_mat_vec_qIL9ggml_type19ELi6ELb0ELb0EEvPKvS2_PKi31ggml_cuda_mm_fusion_args_devicePfj15HIP_vector_typeIjLj3EEjjjS8_jjjS8_jjjj
		.amdhsa_group_segment_fixed_size 0
		.amdhsa_private_segment_fixed_size 0
		.amdhsa_kernarg_size 144
		.amdhsa_user_sgpr_count 6
		.amdhsa_user_sgpr_private_segment_buffer 1
		.amdhsa_user_sgpr_dispatch_ptr 0
		.amdhsa_user_sgpr_queue_ptr 0
		.amdhsa_user_sgpr_kernarg_segment_ptr 1
		.amdhsa_user_sgpr_dispatch_id 0
		.amdhsa_user_sgpr_flat_scratch_init 0
		.amdhsa_user_sgpr_private_segment_size 0
		.amdhsa_wavefront_size32 1
		.amdhsa_uses_dynamic_stack 0
		.amdhsa_system_sgpr_private_segment_wavefront_offset 0
		.amdhsa_system_sgpr_workgroup_id_x 1
		.amdhsa_system_sgpr_workgroup_id_y 1
		.amdhsa_system_sgpr_workgroup_id_z 1
		.amdhsa_system_sgpr_workgroup_info 0
		.amdhsa_system_vgpr_workitem_id 1
		.amdhsa_next_free_vgpr 60
		.amdhsa_next_free_sgpr 28
		.amdhsa_reserve_vcc 1
		.amdhsa_reserve_flat_scratch 0
		.amdhsa_float_round_mode_32 0
		.amdhsa_float_round_mode_16_64 0
		.amdhsa_float_denorm_mode_32 3
		.amdhsa_float_denorm_mode_16_64 3
		.amdhsa_dx10_clamp 1
		.amdhsa_ieee_mode 1
		.amdhsa_fp16_overflow 0
		.amdhsa_workgroup_processor_mode 1
		.amdhsa_memory_ordered 1
		.amdhsa_forward_progress 1
		.amdhsa_shared_vgpr_count 0
		.amdhsa_exception_fp_ieee_invalid_op 0
		.amdhsa_exception_fp_denorm_src 0
		.amdhsa_exception_fp_ieee_div_zero 0
		.amdhsa_exception_fp_ieee_overflow 0
		.amdhsa_exception_fp_ieee_underflow 0
		.amdhsa_exception_fp_ieee_inexact 0
		.amdhsa_exception_int_div_zero 0
	.end_amdhsa_kernel
	.section	.text._ZL13mul_mat_vec_qIL9ggml_type19ELi6ELb0ELb0EEvPKvS2_PKi31ggml_cuda_mm_fusion_args_devicePfj15HIP_vector_typeIjLj3EEjjjS8_jjjS8_jjjj,"axG",@progbits,_ZL13mul_mat_vec_qIL9ggml_type19ELi6ELb0ELb0EEvPKvS2_PKi31ggml_cuda_mm_fusion_args_devicePfj15HIP_vector_typeIjLj3EEjjjS8_jjjS8_jjjj,comdat
.Lfunc_end213:
	.size	_ZL13mul_mat_vec_qIL9ggml_type19ELi6ELb0ELb0EEvPKvS2_PKi31ggml_cuda_mm_fusion_args_devicePfj15HIP_vector_typeIjLj3EEjjjS8_jjjS8_jjjj, .Lfunc_end213-_ZL13mul_mat_vec_qIL9ggml_type19ELi6ELb0ELb0EEvPKvS2_PKi31ggml_cuda_mm_fusion_args_devicePfj15HIP_vector_typeIjLj3EEjjjS8_jjjS8_jjjj
                                        ; -- End function
	.set _ZL13mul_mat_vec_qIL9ggml_type19ELi6ELb0ELb0EEvPKvS2_PKi31ggml_cuda_mm_fusion_args_devicePfj15HIP_vector_typeIjLj3EEjjjS8_jjjS8_jjjj.num_vgpr, 60
	.set _ZL13mul_mat_vec_qIL9ggml_type19ELi6ELb0ELb0EEvPKvS2_PKi31ggml_cuda_mm_fusion_args_devicePfj15HIP_vector_typeIjLj3EEjjjS8_jjjS8_jjjj.num_agpr, 0
	.set _ZL13mul_mat_vec_qIL9ggml_type19ELi6ELb0ELb0EEvPKvS2_PKi31ggml_cuda_mm_fusion_args_devicePfj15HIP_vector_typeIjLj3EEjjjS8_jjjS8_jjjj.numbered_sgpr, 28
	.set _ZL13mul_mat_vec_qIL9ggml_type19ELi6ELb0ELb0EEvPKvS2_PKi31ggml_cuda_mm_fusion_args_devicePfj15HIP_vector_typeIjLj3EEjjjS8_jjjS8_jjjj.num_named_barrier, 0
	.set _ZL13mul_mat_vec_qIL9ggml_type19ELi6ELb0ELb0EEvPKvS2_PKi31ggml_cuda_mm_fusion_args_devicePfj15HIP_vector_typeIjLj3EEjjjS8_jjjS8_jjjj.private_seg_size, 0
	.set _ZL13mul_mat_vec_qIL9ggml_type19ELi6ELb0ELb0EEvPKvS2_PKi31ggml_cuda_mm_fusion_args_devicePfj15HIP_vector_typeIjLj3EEjjjS8_jjjS8_jjjj.uses_vcc, 1
	.set _ZL13mul_mat_vec_qIL9ggml_type19ELi6ELb0ELb0EEvPKvS2_PKi31ggml_cuda_mm_fusion_args_devicePfj15HIP_vector_typeIjLj3EEjjjS8_jjjS8_jjjj.uses_flat_scratch, 0
	.set _ZL13mul_mat_vec_qIL9ggml_type19ELi6ELb0ELb0EEvPKvS2_PKi31ggml_cuda_mm_fusion_args_devicePfj15HIP_vector_typeIjLj3EEjjjS8_jjjS8_jjjj.has_dyn_sized_stack, 0
	.set _ZL13mul_mat_vec_qIL9ggml_type19ELi6ELb0ELb0EEvPKvS2_PKi31ggml_cuda_mm_fusion_args_devicePfj15HIP_vector_typeIjLj3EEjjjS8_jjjS8_jjjj.has_recursion, 0
	.set _ZL13mul_mat_vec_qIL9ggml_type19ELi6ELb0ELb0EEvPKvS2_PKi31ggml_cuda_mm_fusion_args_devicePfj15HIP_vector_typeIjLj3EEjjjS8_jjjS8_jjjj.has_indirect_call, 0
	.section	.AMDGPU.csdata,"",@progbits
; Kernel info:
; codeLenInByte = 2332
; TotalNumSgprs: 30
; NumVgprs: 60
; ScratchSize: 0
; MemoryBound: 0
; FloatMode: 240
; IeeeMode: 1
; LDSByteSize: 0 bytes/workgroup (compile time only)
; SGPRBlocks: 0
; VGPRBlocks: 7
; NumSGPRsForWavesPerEU: 30
; NumVGPRsForWavesPerEU: 60
; Occupancy: 16
; WaveLimiterHint : 0
; COMPUTE_PGM_RSRC2:SCRATCH_EN: 0
; COMPUTE_PGM_RSRC2:USER_SGPR: 6
; COMPUTE_PGM_RSRC2:TRAP_HANDLER: 0
; COMPUTE_PGM_RSRC2:TGID_X_EN: 1
; COMPUTE_PGM_RSRC2:TGID_Y_EN: 1
; COMPUTE_PGM_RSRC2:TGID_Z_EN: 1
; COMPUTE_PGM_RSRC2:TIDIG_COMP_CNT: 1
	.section	.text._ZL13mul_mat_vec_qIL9ggml_type19ELi7ELb0ELb0EEvPKvS2_PKi31ggml_cuda_mm_fusion_args_devicePfj15HIP_vector_typeIjLj3EEjjjS8_jjjS8_jjjj,"axG",@progbits,_ZL13mul_mat_vec_qIL9ggml_type19ELi7ELb0ELb0EEvPKvS2_PKi31ggml_cuda_mm_fusion_args_devicePfj15HIP_vector_typeIjLj3EEjjjS8_jjjS8_jjjj,comdat
	.globl	_ZL13mul_mat_vec_qIL9ggml_type19ELi7ELb0ELb0EEvPKvS2_PKi31ggml_cuda_mm_fusion_args_devicePfj15HIP_vector_typeIjLj3EEjjjS8_jjjS8_jjjj ; -- Begin function _ZL13mul_mat_vec_qIL9ggml_type19ELi7ELb0ELb0EEvPKvS2_PKi31ggml_cuda_mm_fusion_args_devicePfj15HIP_vector_typeIjLj3EEjjjS8_jjjS8_jjjj
	.p2align	8
	.type	_ZL13mul_mat_vec_qIL9ggml_type19ELi7ELb0ELb0EEvPKvS2_PKi31ggml_cuda_mm_fusion_args_devicePfj15HIP_vector_typeIjLj3EEjjjS8_jjjS8_jjjj,@function
_ZL13mul_mat_vec_qIL9ggml_type19ELi7ELb0ELb0EEvPKvS2_PKi31ggml_cuda_mm_fusion_args_devicePfj15HIP_vector_typeIjLj3EEjjjS8_jjjS8_jjjj: ; @_ZL13mul_mat_vec_qIL9ggml_type19ELi7ELb0ELb0EEvPKvS2_PKi31ggml_cuda_mm_fusion_args_devicePfj15HIP_vector_typeIjLj3EEjjjS8_jjjS8_jjjj
; %bb.0:
	s_clause 0x5
	s_load_dword s9, s[4:5], 0x40
	s_load_dwordx4 s[0:3], s[4:5], 0x50
	s_load_dword s11, s[4:5], 0x60
	s_load_dwordx4 s[12:15], s[4:5], 0x68
	;; [unrolled: 2-line block ×3, first 2 shown]
	v_lshl_or_b32 v2, v1, 5, v0
	v_mov_b32_e32 v9, 0
	v_mov_b32_e32 v10, 0
	;; [unrolled: 1-line block ×4, first 2 shown]
	v_lshrrev_b32_e32 v15, 3, v2
	v_mov_b32_e32 v13, 0
	v_mov_b32_e32 v14, 0
	;; [unrolled: 1-line block ×3, first 2 shown]
	s_waitcnt lgkmcnt(0)
	s_lshr_b32 s10, s9, 8
	s_mov_b32 s9, exec_lo
	v_cmpx_gt_u32_e64 s10, v15
	s_cbranch_execz .LBB214_4
; %bb.1:
	s_mul_i32 s13, s13, s7
	s_load_dwordx4 s[20:23], s[4:5], 0x0
	s_mul_hi_u32 s27, s13, 36
	s_mul_i32 s26, s13, 36
	s_mul_i32 s17, s17, s8
	v_mad_u64_u32 v[2:3], null, 0x120, v15, s[26:27]
	v_and_b32_e32 v12, 7, v0
	v_lshlrev_b32_e32 v8, 3, v15
	v_mov_b32_e32 v9, 0
	s_mul_hi_u32 s3, s3, s7
	s_mul_hi_u32 s15, s15, s8
	s_add_i32 s3, s7, s3
	v_mad_u64_u32 v[4:5], null, s17, 36, v[2:3]
	s_add_i32 s15, s8, s15
	s_mul_i32 s25, s17, 36
	s_lshr_b32 s3, s3, s11
	s_mul_hi_u32 s19, s17, 36
	s_lshr_b32 s11, s15, s24
	s_mul_i32 s3, s3, s12
	v_mad_u64_u32 v[10:11], null, v12, 36, v[4:5]
	v_mad_u64_u32 v[4:5], null, s1, 6, v[8:9]
	;; [unrolled: 1-line block ×3, first 2 shown]
	s_waitcnt lgkmcnt(0)
	s_add_u32 s12, s22, s25
	v_mad_u64_u32 v[6:7], null, s1, 3, v[8:9]
	s_addc_u32 s13, s23, s19
	v_add_co_u32 v7, vcc_lo, s22, v10
	s_add_u32 s12, s12, s26
	s_addc_u32 s13, s13, s27
	v_lshlrev_b32_e32 v13, 1, v12
	v_add_co_ci_u32_e64 v10, null, s23, v11, vcc_lo
	v_mad_u64_u32 v[2:3], null, v12, 36, s[12:13]
	v_add_co_u32 v7, vcc_lo, v7, 16
	s_mul_i32 s0, s0, s6
	v_add_nc_u32_e32 v17, s1, v8
	v_lshl_add_u32 v18, s1, 2, v8
	v_lshl_add_u32 v19, s1, 1, v8
	v_add_co_ci_u32_e64 v8, null, 0, v10, vcc_lo
	v_lshlrev_b32_e32 v20, 1, v13
	v_lshlrev_b32_e32 v21, 1, v12
	v_mov_b32_e32 v10, 0
	v_mov_b32_e32 v11, 0
	;; [unrolled: 1-line block ×6, first 2 shown]
	s_mul_i32 s11, s11, s16
	s_add_i32 s3, s3, s0
	s_mov_b32 s12, 0xb7000000
	s_add_i32 s11, s11, s3
	s_mov_b32 s3, 0
.LBB214_2:                              ; =>This Inner Loop Header: Depth=1
	v_add_nc_u32_e32 v30, s11, v15
	v_mad_u64_u32 v[38:39], null, v17, 36, v[2:3]
	s_clause 0x1
	global_load_dwordx4 v[22:25], v[7:8], off offset:-16
	global_load_dwordx4 v[26:29], v[7:8], off
	s_getpc_b64 s[0:1]
	s_add_u32 s0, s0, _ZL13iq1s_grid_gpu@rel32@lo+4
	s_addc_u32 s1, s1, _ZL13iq1s_grid_gpu@rel32@hi+12
	v_mad_i64_i32 v[44:45], null, v30, 50, s[20:21]
	v_mov_b32_e32 v50, 0
	s_clause 0x1
	global_load_dwordx4 v[30:33], v[38:39], off
	global_load_dwordx4 v[34:37], v[38:39], off offset:16
	v_mad_u64_u32 v[40:41], null, v19, 36, v[2:3]
	v_mov_b32_e32 v51, 0
	v_add_co_u32 v46, vcc_lo, v44, v20
	v_add_co_ci_u32_e64 v47, null, 0, v45, vcc_lo
	v_add_co_u32 v48, vcc_lo, v44, v21
	v_add_co_ci_u32_e64 v49, null, 0, v45, vcc_lo
	s_clause 0x2
	global_load_dword v46, v[46:47], off offset:2
	global_load_ushort v47, v[48:49], off offset:34
	global_load_ushort v48, v[44:45], off
	v_mov_b32_e32 v52, 0
	v_mad_u64_u32 v[42:43], null, v6, 36, v[2:3]
	v_mov_b32_e32 v53, 0
	v_mov_b32_e32 v60, 0
	;; [unrolled: 1-line block ×3, first 2 shown]
	v_add_nc_u32_e32 v15, 4, v15
	v_add_nc_u32_e32 v17, 32, v17
	v_add_nc_u32_e32 v6, 32, v6
	v_add_nc_u32_e32 v19, 32, v19
	s_waitcnt vmcnt(2)
	v_and_b32_e32 v45, 0xff, v46
	s_waitcnt vmcnt(1)
	v_lshlrev_b32_e32 v49, 8, v47
	v_bfe_u32 v54, v46, 8, 8
	v_lshlrev_b32_e32 v55, 5, v47
	v_lshrrev_b32_e32 v44, 24, v46
	v_bfe_u32 v46, v46, 16, 8
	v_lshlrev_b32_e32 v56, 2, v47
	v_lshrrev_b32_e32 v57, 1, v47
	v_and_or_b32 v45, 0x700, v49, v45
	v_and_or_b32 v49, 0x700, v55, v54
	;; [unrolled: 1-line block ×4, first 2 shown]
	v_lshlrev_b32_e32 v45, 2, v45
	v_lshlrev_b32_e32 v49, 2, v49
	;; [unrolled: 1-line block ×4, first 2 shown]
	s_clause 0x3
	global_load_dword v45, v45, s[0:1]
	global_load_dword v49, v49, s[0:1]
	;; [unrolled: 1-line block ×4, first 2 shown]
	s_waitcnt vmcnt(3)
	v_and_b32_e32 v55, 0xf0f0f0f, v45
	v_lshrrev_b32_e32 v44, 4, v45
	s_waitcnt vmcnt(2)
	v_and_b32_e32 v56, 0xf0f0f0f, v49
	v_lshrrev_b32_e32 v45, 4, v49
	s_waitcnt vmcnt(1)
	v_and_b32_e32 v49, 0xf0f0f0f, v46
	v_dot4c_i32_i8 v50, v55, v23
	v_and_b32_e32 v58, 0xf0f0f0f, v44
	v_dot4c_i32_i8 v51, v55, v31
	v_and_b32_e32 v59, 0xf0f0f0f, v45
	v_lshrrev_b32_e32 v46, 4, v46
	s_waitcnt vmcnt(0)
	v_and_b32_e32 v57, 0xf0f0f0f, v54
	v_dot4c_i32_i8 v50, v58, v24
	v_dot4c_i32_i8 v51, v58, v32
	v_mad_u64_u32 v[44:45], null, v5, 36, v[2:3]
	v_and_b32_e32 v46, 0xf0f0f0f, v46
	v_dot4c_i32_i8 v50, v56, v25
	v_dot4c_i32_i8 v51, v56, v33
	v_add_nc_u32_e32 v5, 32, v5
	v_dot4c_i32_i8 v50, v59, v26
	global_load_dwordx4 v[23:26], v[40:41], off
	v_dot4c_i32_i8 v51, v59, v34
	global_load_dwordx4 v[31:34], v[40:41], off offset:16
	v_dot4c_i32_i8 v50, v49, v27
	v_dot4c_i32_i8 v51, v49, v35
	;; [unrolled: 1-line block ×6, first 2 shown]
	v_mad_u64_u32 v[36:37], null, v18, 36, v[2:3]
	v_add_nc_u32_e32 v18, 32, v18
	s_waitcnt vmcnt(1)
	v_dot4c_i32_i8 v52, v55, v24
	v_dot4c_i32_i8 v52, v58, v25
	;; [unrolled: 1-line block ×3, first 2 shown]
	s_waitcnt vmcnt(0)
	v_dot4c_i32_i8 v52, v59, v31
	v_dot4c_i32_i8 v52, v49, v32
	v_dot4c_i32_i8 v52, v46, v33
	v_dot4c_i32_i8 v52, v57, v34
	s_clause 0x1
	global_load_dwordx4 v[24:27], v[42:43], off
	global_load_dwordx4 v[31:34], v[42:43], off offset:16
	s_waitcnt vmcnt(1)
	v_dot4c_i32_i8 v53, v55, v25
	v_dot4c_i32_i8 v53, v58, v26
	v_dot4c_i32_i8 v53, v56, v27
	global_load_dwordx4 v[25:28], v[36:37], off
	s_waitcnt vmcnt(1)
	v_dot4c_i32_i8 v53, v59, v31
	v_dot4c_i32_i8 v53, v49, v32
	;; [unrolled: 1-line block ×4, first 2 shown]
	s_waitcnt vmcnt(0)
	v_dot4c_i32_i8 v60, v55, v26
	v_dot4c_i32_i8 v60, v58, v27
	;; [unrolled: 1-line block ×3, first 2 shown]
	global_load_dwordx4 v[26:29], v[36:37], off offset:16
	s_waitcnt vmcnt(0)
	v_dot4c_i32_i8 v60, v59, v26
	v_dot4c_i32_i8 v60, v49, v27
	;; [unrolled: 1-line block ×4, first 2 shown]
	s_clause 0x1
	global_load_dwordx4 v[26:29], v[44:45], off
	global_load_dwordx4 v[31:34], v[44:45], off offset:16
	s_waitcnt vmcnt(1)
	v_dot4c_i32_i8 v61, v55, v27
	v_dot4c_i32_i8 v61, v58, v28
	v_mad_u64_u32 v[27:28], null, v4, 36, v[2:3]
	v_add_nc_u32_e32 v4, 32, v4
	v_dot4c_i32_i8 v61, v56, v29
	v_mov_b32_e32 v29, 0
	s_waitcnt vmcnt(0)
	v_dot4c_i32_i8 v61, v59, v31
	v_dot4c_i32_i8 v61, v49, v32
	;; [unrolled: 1-line block ×4, first 2 shown]
	global_load_dwordx4 v[31:34], v[27:28], off
	s_waitcnt vmcnt(0)
	v_dot4c_i32_i8 v29, v55, v32
	v_dot4c_i32_i8 v29, v58, v33
	;; [unrolled: 1-line block ×3, first 2 shown]
	global_load_dwordx4 v[32:35], v[27:28], off offset:16
	s_waitcnt vmcnt(0)
	v_dot4c_i32_i8 v29, v59, v32
	v_lshrrev_b32_e32 v32, 4, v54
	v_dot4c_i32_i8 v29, v49, v33
	global_load_dword v33, v[7:8], off offset:16
	v_and_b32_e32 v32, 0xf0f0f0f, v32
	v_add_co_u32 v7, vcc_lo, 0x480, v7
	v_dot4c_i32_i8 v29, v46, v34
	v_cvt_f32_f16_sdwa v34, v22 dst_sel:DWORD dst_unused:UNUSED_PAD src0_sel:WORD_1
	v_add_co_ci_u32_e64 v8, null, 0, v8, vcc_lo
	v_cmp_le_u32_e32 vcc_lo, s10, v15
	v_dot4c_i32_i8 v29, v57, v35
	s_or_b32 s3, vcc_lo, s3
	s_waitcnt vmcnt(0)
	v_dot4c_i32_i8 v50, v32, v33
	v_and_b32_e32 v33, 0x8000, v47
	v_cvt_f32_i32_e32 v35, v50
	v_cvt_f32_u32_e32 v33, v33
	v_fmaak_f32 v33, s12, v33, 0xbf600000
	v_mul_f32_e32 v34, v33, v34
	v_fma_mix_f32 v22, v35, v22, v34 op_sel_hi:[0,1,0]
	global_load_dword v34, v[38:39], off offset:32
	v_cvt_f32_f16_e32 v39, v48
	s_waitcnt vmcnt(0)
	v_dot4c_i32_i8 v51, v32, v34
	v_cvt_f32_f16_sdwa v34, v30 dst_sel:DWORD dst_unused:UNUSED_PAD src0_sel:WORD_1
	v_cvt_f32_i32_e32 v35, v51
	v_mul_f32_e32 v34, v33, v34
	v_fma_mix_f32 v30, v35, v30, v34 op_sel_hi:[0,1,0]
	s_clause 0x4
	global_load_dword v34, v[42:43], off offset:32
	global_load_dword v35, v[44:45], off offset:32
	;; [unrolled: 1-line block ×5, first 2 shown]
	v_lshrrev_b32_e32 v37, 11, v47
	v_cvt_f32_f16_sdwa v28, v23 dst_sel:DWORD dst_unused:UNUSED_PAD src0_sel:WORD_1
	v_cvt_f32_f16_sdwa v40, v25 dst_sel:DWORD dst_unused:UNUSED_PAD src0_sel:WORD_1
	;; [unrolled: 1-line block ×4, first 2 shown]
	v_and_or_b32 v37, v37, 14, 1
	v_mul_f32_e32 v28, v33, v28
	v_mul_f32_e32 v40, v33, v40
	;; [unrolled: 1-line block ×3, first 2 shown]
	v_cvt_f32_ubyte0_e32 v37, v37
	v_mul_f32_e32 v37, v37, v39
	v_cvt_f32_f16_sdwa v39, v24 dst_sel:DWORD dst_unused:UNUSED_PAD src0_sel:WORD_1
	v_fmac_f32_e32 v16, v37, v22
	v_mul_f32_e32 v39, v33, v39
	v_mul_f32_e32 v33, v33, v42
	v_fmac_f32_e32 v14, v37, v30
	s_waitcnt vmcnt(4)
	v_dot4c_i32_i8 v53, v32, v34
	s_waitcnt vmcnt(3)
	v_dot4c_i32_i8 v61, v32, v35
	s_waitcnt vmcnt(2)
	v_dot4c_i32_i8 v52, v32, v38
	s_waitcnt vmcnt(1)
	v_dot4c_i32_i8 v60, v32, v36
	s_waitcnt vmcnt(0)
	v_dot4c_i32_i8 v29, v32, v27
	v_cvt_f32_i32_e32 v32, v53
	v_cvt_f32_i32_e32 v35, v61
	;; [unrolled: 1-line block ×5, first 2 shown]
	v_fma_mix_f32 v24, v32, v24, v39 op_sel_hi:[0,1,0]
	v_fma_mix_f32 v26, v35, v26, v41 op_sel_hi:[0,1,0]
	;; [unrolled: 1-line block ×5, first 2 shown]
	v_fmac_f32_e32 v12, v37, v24
	v_fmac_f32_e32 v10, v37, v26
	;; [unrolled: 1-line block ×5, first 2 shown]
	s_andn2_b32 exec_lo, exec_lo, s3
	s_cbranch_execnz .LBB214_2
; %bb.3:
	s_or_b32 exec_lo, exec_lo, s3
.LBB214_4:
	s_or_b32 exec_lo, exec_lo, s9
	s_mov_b32 s1, 0
	; wave barrier
	buffer_gl0_inv
	s_mov_b32 s0, exec_lo
	v_cmpx_eq_u32_e32 0, v1
	s_cbranch_execz .LBB214_19
; %bb.5:
	v_mbcnt_lo_u32_b32 v5, -1, 0
	s_load_dwordx2 s[4:5], s[4:5], 0x38
	s_mul_i32 s0, s14, s7
	s_mul_i32 s3, s18, s8
	s_add_i32 s0, s0, s6
	v_xor_b32_e32 v1, 16, v5
	v_xor_b32_e32 v2, 8, v5
	;; [unrolled: 1-line block ×3, first 2 shown]
	s_add_i32 s0, s0, s3
	s_lshl_b64 s[0:1], s[0:1], 2
	v_cmp_gt_i32_e32 vcc_lo, 32, v1
	v_cndmask_b32_e32 v1, v5, v1, vcc_lo
	v_cmp_gt_i32_e32 vcc_lo, 32, v2
	v_lshlrev_b32_e32 v1, 2, v1
	v_cndmask_b32_e32 v2, v5, v2, vcc_lo
	s_waitcnt lgkmcnt(0)
	s_add_u32 s0, s4, s0
	s_addc_u32 s1, s5, s1
	ds_bpermute_b32 v3, v1, v16
	v_lshlrev_b32_e32 v2, 2, v2
	s_waitcnt lgkmcnt(0)
	v_add_f32_e32 v4, v16, v3
	v_xor_b32_e32 v3, 4, v5
	ds_bpermute_b32 v6, v2, v4
	v_cmp_gt_i32_e32 vcc_lo, 32, v3
	v_cndmask_b32_e32 v3, v5, v3, vcc_lo
	v_lshlrev_b32_e32 v3, 2, v3
	s_waitcnt lgkmcnt(0)
	v_add_f32_e32 v6, v4, v6
	v_xor_b32_e32 v4, 2, v5
	ds_bpermute_b32 v7, v3, v6
	v_cmp_gt_i32_e32 vcc_lo, 32, v4
	v_cndmask_b32_e32 v4, v5, v4, vcc_lo
	v_cmp_gt_i32_e32 vcc_lo, 32, v8
	v_lshlrev_b32_e32 v4, 2, v4
	v_cndmask_b32_e32 v5, v5, v8, vcc_lo
	v_cmp_eq_u32_e32 vcc_lo, 0, v0
	v_lshlrev_b32_e32 v5, 2, v5
	s_waitcnt lgkmcnt(0)
	v_add_f32_e32 v6, v6, v7
	ds_bpermute_b32 v7, v4, v6
	s_waitcnt lgkmcnt(0)
	v_add_f32_e32 v6, v6, v7
	ds_bpermute_b32 v7, v5, v6
	s_and_saveexec_b32 s3, vcc_lo
	s_cbranch_execz .LBB214_7
; %bb.6:
	s_waitcnt lgkmcnt(0)
	v_add_f32_e32 v0, v6, v7
	v_mov_b32_e32 v6, 0
	global_store_dword v6, v0, s[0:1]
.LBB214_7:
	s_or_b32 exec_lo, exec_lo, s3
	ds_bpermute_b32 v0, v1, v14
	s_waitcnt lgkmcnt(0)
	v_add_f32_e32 v0, v14, v0
	ds_bpermute_b32 v6, v2, v0
	s_waitcnt lgkmcnt(0)
	v_add_f32_e32 v0, v0, v6
	;; [unrolled: 3-line block ×4, first 2 shown]
	ds_bpermute_b32 v6, v5, v0
	s_and_saveexec_b32 s4, vcc_lo
	s_cbranch_execz .LBB214_9
; %bb.8:
	s_mov_b32 s3, 0
	s_waitcnt lgkmcnt(0)
	v_add_f32_e32 v0, v0, v6
	s_lshl_b64 s[6:7], s[2:3], 2
	v_mov_b32_e32 v6, 0
	s_add_u32 s6, s0, s6
	s_addc_u32 s7, s1, s7
	global_store_dword v6, v0, s[6:7]
.LBB214_9:
	s_or_b32 exec_lo, exec_lo, s4
	ds_bpermute_b32 v0, v1, v13
	s_waitcnt lgkmcnt(0)
	v_add_f32_e32 v0, v13, v0
	ds_bpermute_b32 v6, v2, v0
	s_waitcnt lgkmcnt(0)
	v_add_f32_e32 v0, v0, v6
	;; [unrolled: 3-line block ×4, first 2 shown]
	ds_bpermute_b32 v6, v5, v0
	s_and_saveexec_b32 s3, vcc_lo
	s_cbranch_execz .LBB214_11
; %bb.10:
	s_lshl_b32 s4, s2, 1
	s_mov_b32 s5, 0
	s_waitcnt lgkmcnt(0)
	v_add_f32_e32 v0, v0, v6
	s_lshl_b64 s[4:5], s[4:5], 2
	v_mov_b32_e32 v6, 0
	s_add_u32 s4, s0, s4
	s_addc_u32 s5, s1, s5
	global_store_dword v6, v0, s[4:5]
.LBB214_11:
	s_or_b32 exec_lo, exec_lo, s3
	ds_bpermute_b32 v0, v1, v12
	s_waitcnt lgkmcnt(0)
	v_add_f32_e32 v0, v12, v0
	ds_bpermute_b32 v6, v2, v0
	s_waitcnt lgkmcnt(0)
	v_add_f32_e32 v0, v0, v6
	;; [unrolled: 3-line block ×4, first 2 shown]
	ds_bpermute_b32 v6, v5, v0
	s_and_saveexec_b32 s3, vcc_lo
	s_cbranch_execz .LBB214_13
; %bb.12:
	s_mul_i32 s4, s2, 3
	s_mov_b32 s5, 0
	s_waitcnt lgkmcnt(0)
	v_add_f32_e32 v0, v0, v6
	s_lshl_b64 s[4:5], s[4:5], 2
	v_mov_b32_e32 v6, 0
	s_add_u32 s4, s0, s4
	s_addc_u32 s5, s1, s5
	global_store_dword v6, v0, s[4:5]
.LBB214_13:
	s_or_b32 exec_lo, exec_lo, s3
	ds_bpermute_b32 v0, v1, v11
	s_waitcnt lgkmcnt(0)
	v_add_f32_e32 v0, v11, v0
	ds_bpermute_b32 v6, v2, v0
	s_waitcnt lgkmcnt(0)
	v_add_f32_e32 v0, v0, v6
	;; [unrolled: 3-line block ×4, first 2 shown]
	ds_bpermute_b32 v6, v5, v0
	s_and_saveexec_b32 s3, vcc_lo
	s_cbranch_execz .LBB214_15
; %bb.14:
	s_lshl_b32 s4, s2, 2
	s_mov_b32 s5, 0
	s_waitcnt lgkmcnt(0)
	v_add_f32_e32 v0, v0, v6
	s_lshl_b64 s[4:5], s[4:5], 2
	v_mov_b32_e32 v6, 0
	s_add_u32 s4, s0, s4
	s_addc_u32 s5, s1, s5
	global_store_dword v6, v0, s[4:5]
.LBB214_15:
	s_or_b32 exec_lo, exec_lo, s3
	ds_bpermute_b32 v0, v1, v10
	s_waitcnt lgkmcnt(0)
	v_add_f32_e32 v0, v10, v0
	ds_bpermute_b32 v6, v2, v0
	s_waitcnt lgkmcnt(0)
	v_add_f32_e32 v0, v0, v6
	;; [unrolled: 3-line block ×4, first 2 shown]
	ds_bpermute_b32 v6, v5, v0
	s_and_saveexec_b32 s3, vcc_lo
	s_cbranch_execz .LBB214_17
; %bb.16:
	s_mul_i32 s4, s2, 5
	s_mov_b32 s5, 0
	s_waitcnt lgkmcnt(0)
	v_add_f32_e32 v0, v0, v6
	s_lshl_b64 s[4:5], s[4:5], 2
	v_mov_b32_e32 v6, 0
	s_add_u32 s4, s0, s4
	s_addc_u32 s5, s1, s5
	global_store_dword v6, v0, s[4:5]
.LBB214_17:
	s_or_b32 exec_lo, exec_lo, s3
	ds_bpermute_b32 v0, v1, v9
	s_waitcnt lgkmcnt(0)
	v_add_f32_e32 v0, v9, v0
	ds_bpermute_b32 v1, v2, v0
	s_waitcnt lgkmcnt(0)
	v_add_f32_e32 v0, v0, v1
	;; [unrolled: 3-line block ×4, first 2 shown]
	ds_bpermute_b32 v1, v5, v0
	s_and_b32 exec_lo, exec_lo, vcc_lo
	s_cbranch_execz .LBB214_19
; %bb.18:
	s_mul_i32 s2, s2, 6
	s_mov_b32 s3, 0
	s_waitcnt lgkmcnt(0)
	v_add_f32_e32 v0, v0, v1
	s_lshl_b64 s[2:3], s[2:3], 2
	v_mov_b32_e32 v1, 0
	s_add_u32 s0, s0, s2
	s_addc_u32 s1, s1, s3
	global_store_dword v1, v0, s[0:1]
.LBB214_19:
	s_endpgm
	.section	.rodata,"a",@progbits
	.p2align	6, 0x0
	.amdhsa_kernel _ZL13mul_mat_vec_qIL9ggml_type19ELi7ELb0ELb0EEvPKvS2_PKi31ggml_cuda_mm_fusion_args_devicePfj15HIP_vector_typeIjLj3EEjjjS8_jjjS8_jjjj
		.amdhsa_group_segment_fixed_size 0
		.amdhsa_private_segment_fixed_size 0
		.amdhsa_kernarg_size 144
		.amdhsa_user_sgpr_count 6
		.amdhsa_user_sgpr_private_segment_buffer 1
		.amdhsa_user_sgpr_dispatch_ptr 0
		.amdhsa_user_sgpr_queue_ptr 0
		.amdhsa_user_sgpr_kernarg_segment_ptr 1
		.amdhsa_user_sgpr_dispatch_id 0
		.amdhsa_user_sgpr_flat_scratch_init 0
		.amdhsa_user_sgpr_private_segment_size 0
		.amdhsa_wavefront_size32 1
		.amdhsa_uses_dynamic_stack 0
		.amdhsa_system_sgpr_private_segment_wavefront_offset 0
		.amdhsa_system_sgpr_workgroup_id_x 1
		.amdhsa_system_sgpr_workgroup_id_y 1
		.amdhsa_system_sgpr_workgroup_id_z 1
		.amdhsa_system_sgpr_workgroup_info 0
		.amdhsa_system_vgpr_workitem_id 1
		.amdhsa_next_free_vgpr 62
		.amdhsa_next_free_sgpr 28
		.amdhsa_reserve_vcc 1
		.amdhsa_reserve_flat_scratch 0
		.amdhsa_float_round_mode_32 0
		.amdhsa_float_round_mode_16_64 0
		.amdhsa_float_denorm_mode_32 3
		.amdhsa_float_denorm_mode_16_64 3
		.amdhsa_dx10_clamp 1
		.amdhsa_ieee_mode 1
		.amdhsa_fp16_overflow 0
		.amdhsa_workgroup_processor_mode 1
		.amdhsa_memory_ordered 1
		.amdhsa_forward_progress 1
		.amdhsa_shared_vgpr_count 0
		.amdhsa_exception_fp_ieee_invalid_op 0
		.amdhsa_exception_fp_denorm_src 0
		.amdhsa_exception_fp_ieee_div_zero 0
		.amdhsa_exception_fp_ieee_overflow 0
		.amdhsa_exception_fp_ieee_underflow 0
		.amdhsa_exception_fp_ieee_inexact 0
		.amdhsa_exception_int_div_zero 0
	.end_amdhsa_kernel
	.section	.text._ZL13mul_mat_vec_qIL9ggml_type19ELi7ELb0ELb0EEvPKvS2_PKi31ggml_cuda_mm_fusion_args_devicePfj15HIP_vector_typeIjLj3EEjjjS8_jjjS8_jjjj,"axG",@progbits,_ZL13mul_mat_vec_qIL9ggml_type19ELi7ELb0ELb0EEvPKvS2_PKi31ggml_cuda_mm_fusion_args_devicePfj15HIP_vector_typeIjLj3EEjjjS8_jjjS8_jjjj,comdat
.Lfunc_end214:
	.size	_ZL13mul_mat_vec_qIL9ggml_type19ELi7ELb0ELb0EEvPKvS2_PKi31ggml_cuda_mm_fusion_args_devicePfj15HIP_vector_typeIjLj3EEjjjS8_jjjS8_jjjj, .Lfunc_end214-_ZL13mul_mat_vec_qIL9ggml_type19ELi7ELb0ELb0EEvPKvS2_PKi31ggml_cuda_mm_fusion_args_devicePfj15HIP_vector_typeIjLj3EEjjjS8_jjjS8_jjjj
                                        ; -- End function
	.set _ZL13mul_mat_vec_qIL9ggml_type19ELi7ELb0ELb0EEvPKvS2_PKi31ggml_cuda_mm_fusion_args_devicePfj15HIP_vector_typeIjLj3EEjjjS8_jjjS8_jjjj.num_vgpr, 62
	.set _ZL13mul_mat_vec_qIL9ggml_type19ELi7ELb0ELb0EEvPKvS2_PKi31ggml_cuda_mm_fusion_args_devicePfj15HIP_vector_typeIjLj3EEjjjS8_jjjS8_jjjj.num_agpr, 0
	.set _ZL13mul_mat_vec_qIL9ggml_type19ELi7ELb0ELb0EEvPKvS2_PKi31ggml_cuda_mm_fusion_args_devicePfj15HIP_vector_typeIjLj3EEjjjS8_jjjS8_jjjj.numbered_sgpr, 28
	.set _ZL13mul_mat_vec_qIL9ggml_type19ELi7ELb0ELb0EEvPKvS2_PKi31ggml_cuda_mm_fusion_args_devicePfj15HIP_vector_typeIjLj3EEjjjS8_jjjS8_jjjj.num_named_barrier, 0
	.set _ZL13mul_mat_vec_qIL9ggml_type19ELi7ELb0ELb0EEvPKvS2_PKi31ggml_cuda_mm_fusion_args_devicePfj15HIP_vector_typeIjLj3EEjjjS8_jjjS8_jjjj.private_seg_size, 0
	.set _ZL13mul_mat_vec_qIL9ggml_type19ELi7ELb0ELb0EEvPKvS2_PKi31ggml_cuda_mm_fusion_args_devicePfj15HIP_vector_typeIjLj3EEjjjS8_jjjS8_jjjj.uses_vcc, 1
	.set _ZL13mul_mat_vec_qIL9ggml_type19ELi7ELb0ELb0EEvPKvS2_PKi31ggml_cuda_mm_fusion_args_devicePfj15HIP_vector_typeIjLj3EEjjjS8_jjjS8_jjjj.uses_flat_scratch, 0
	.set _ZL13mul_mat_vec_qIL9ggml_type19ELi7ELb0ELb0EEvPKvS2_PKi31ggml_cuda_mm_fusion_args_devicePfj15HIP_vector_typeIjLj3EEjjjS8_jjjS8_jjjj.has_dyn_sized_stack, 0
	.set _ZL13mul_mat_vec_qIL9ggml_type19ELi7ELb0ELb0EEvPKvS2_PKi31ggml_cuda_mm_fusion_args_devicePfj15HIP_vector_typeIjLj3EEjjjS8_jjjS8_jjjj.has_recursion, 0
	.set _ZL13mul_mat_vec_qIL9ggml_type19ELi7ELb0ELb0EEvPKvS2_PKi31ggml_cuda_mm_fusion_args_devicePfj15HIP_vector_typeIjLj3EEjjjS8_jjjS8_jjjj.has_indirect_call, 0
	.section	.AMDGPU.csdata,"",@progbits
; Kernel info:
; codeLenInByte = 2592
; TotalNumSgprs: 30
; NumVgprs: 62
; ScratchSize: 0
; MemoryBound: 0
; FloatMode: 240
; IeeeMode: 1
; LDSByteSize: 0 bytes/workgroup (compile time only)
; SGPRBlocks: 0
; VGPRBlocks: 7
; NumSGPRsForWavesPerEU: 30
; NumVGPRsForWavesPerEU: 62
; Occupancy: 16
; WaveLimiterHint : 0
; COMPUTE_PGM_RSRC2:SCRATCH_EN: 0
; COMPUTE_PGM_RSRC2:USER_SGPR: 6
; COMPUTE_PGM_RSRC2:TRAP_HANDLER: 0
; COMPUTE_PGM_RSRC2:TGID_X_EN: 1
; COMPUTE_PGM_RSRC2:TGID_Y_EN: 1
; COMPUTE_PGM_RSRC2:TGID_Z_EN: 1
; COMPUTE_PGM_RSRC2:TIDIG_COMP_CNT: 1
	.section	.text._ZL13mul_mat_vec_qIL9ggml_type19ELi8ELb0ELb0EEvPKvS2_PKi31ggml_cuda_mm_fusion_args_devicePfj15HIP_vector_typeIjLj3EEjjjS8_jjjS8_jjjj,"axG",@progbits,_ZL13mul_mat_vec_qIL9ggml_type19ELi8ELb0ELb0EEvPKvS2_PKi31ggml_cuda_mm_fusion_args_devicePfj15HIP_vector_typeIjLj3EEjjjS8_jjjS8_jjjj,comdat
	.globl	_ZL13mul_mat_vec_qIL9ggml_type19ELi8ELb0ELb0EEvPKvS2_PKi31ggml_cuda_mm_fusion_args_devicePfj15HIP_vector_typeIjLj3EEjjjS8_jjjS8_jjjj ; -- Begin function _ZL13mul_mat_vec_qIL9ggml_type19ELi8ELb0ELb0EEvPKvS2_PKi31ggml_cuda_mm_fusion_args_devicePfj15HIP_vector_typeIjLj3EEjjjS8_jjjS8_jjjj
	.p2align	8
	.type	_ZL13mul_mat_vec_qIL9ggml_type19ELi8ELb0ELb0EEvPKvS2_PKi31ggml_cuda_mm_fusion_args_devicePfj15HIP_vector_typeIjLj3EEjjjS8_jjjS8_jjjj,@function
_ZL13mul_mat_vec_qIL9ggml_type19ELi8ELb0ELb0EEvPKvS2_PKi31ggml_cuda_mm_fusion_args_devicePfj15HIP_vector_typeIjLj3EEjjjS8_jjjS8_jjjj: ; @_ZL13mul_mat_vec_qIL9ggml_type19ELi8ELb0ELb0EEvPKvS2_PKi31ggml_cuda_mm_fusion_args_devicePfj15HIP_vector_typeIjLj3EEjjjS8_jjjS8_jjjj
; %bb.0:
	s_clause 0x5
	s_load_dword s9, s[4:5], 0x40
	s_load_dwordx4 s[0:3], s[4:5], 0x50
	s_load_dword s24, s[4:5], 0x60
	s_load_dwordx4 s[12:15], s[4:5], 0x68
	;; [unrolled: 2-line block ×3, first 2 shown]
	v_lshl_or_b32 v2, v1, 5, v0
	v_mov_b32_e32 v6, 0
	v_mov_b32_e32 v7, 0
	v_mov_b32_e32 v8, 0
	v_mov_b32_e32 v9, 0
	v_lshrrev_b32_e32 v13, 3, v2
	v_mov_b32_e32 v10, 0
	v_mov_b32_e32 v11, 0
	;; [unrolled: 1-line block ×4, first 2 shown]
	s_waitcnt lgkmcnt(0)
	s_lshr_b32 s10, s9, 8
	s_mov_b32 s9, exec_lo
	v_cmpx_gt_u32_e64 s10, v13
	s_cbranch_execz .LBB215_4
; %bb.1:
	s_mul_i32 s13, s13, s7
	s_load_dwordx4 s[20:23], s[4:5], 0x0
	s_mul_hi_u32 s27, s13, 36
	s_mul_i32 s26, s13, 36
	s_mul_i32 s17, s17, s8
	v_mad_u64_u32 v[2:3], null, 0x120, v13, s[26:27]
	v_and_b32_e32 v7, 7, v0
	s_mul_hi_u32 s3, s3, s7
	s_mul_hi_u32 s15, s15, s8
	s_add_i32 s3, s7, s3
	s_add_i32 s15, s8, s15
	s_mul_i32 s25, s17, 36
	v_mad_u64_u32 v[2:3], null, s17, 36, v[2:3]
	s_lshr_b32 s3, s3, s24
	s_mul_hi_u32 s19, s17, 36
	s_lshr_b32 s11, s15, s11
	s_mul_i32 s3, s3, s12
	v_lshlrev_b32_e32 v8, 1, v7
	s_mul_i32 s0, s0, s6
	v_mad_u64_u32 v[4:5], null, v7, 36, v[2:3]
	s_waitcnt lgkmcnt(0)
	s_add_u32 s12, s22, s25
	s_addc_u32 s13, s23, s19
	s_add_u32 s12, s12, s26
	s_addc_u32 s13, s13, s27
	v_mov_b32_e32 v6, 0
	v_mad_u64_u32 v[2:3], null, v7, 36, s[12:13]
	v_add_co_u32 v4, vcc_lo, s22, v4
	v_add_co_ci_u32_e64 v5, null, s23, v5, vcc_lo
	v_lshlrev_b32_e32 v15, 3, v13
	v_add_co_u32 v4, vcc_lo, v4, 16
	v_add_co_ci_u32_e64 v5, null, 0, v5, vcc_lo
	v_lshlrev_b32_e32 v16, 1, v8
	v_lshlrev_b32_e32 v17, 1, v7
	v_mov_b32_e32 v7, 0
	v_mov_b32_e32 v8, 0
	;; [unrolled: 1-line block ×7, first 2 shown]
	s_mul_i32 s11, s11, s16
	s_add_i32 s3, s3, s0
	s_mul_i32 s12, s1, 5
	s_add_i32 s0, s11, s3
	s_mul_i32 s3, s1, 7
	s_mul_i32 s11, s1, 6
	s_lshl_b32 s13, s1, 2
	s_mul_i32 s15, s1, 3
	s_lshl_b32 s17, s1, 1
	s_mov_b32 s16, 0
	s_mov_b32 s19, 0xb7000000
.LBB215_2:                              ; =>This Inner Loop Header: Depth=1
	v_add_nc_u32_e32 v18, s0, v13
	s_getpc_b64 s[22:23]
	s_add_u32 s22, s22, _ZL13iq1s_grid_gpu@rel32@lo+4
	s_addc_u32 s23, s23, _ZL13iq1s_grid_gpu@rel32@hi+12
	v_mov_b32_e32 v37, 0
	v_add_nc_u32_e32 v13, 4, v13
	v_mad_i64_i32 v[18:19], null, v18, 50, s[20:21]
	v_add_co_u32 v20, vcc_lo, v18, v16
	v_add_co_ci_u32_e64 v21, null, 0, v19, vcc_lo
	global_load_dword v22, v[20:21], off offset:2
	v_add_co_u32 v20, vcc_lo, v18, v17
	v_add_co_ci_u32_e64 v21, null, 0, v19, vcc_lo
	s_clause 0x1
	global_load_ushort v18, v[18:19], off
	global_load_ushort v20, v[20:21], off offset:34
	s_waitcnt vmcnt(2)
	v_and_b32_e32 v21, 0xff, v22
	v_lshrrev_b32_e32 v23, 24, v22
	s_waitcnt vmcnt(1)
	v_cvt_f32_f16_e32 v18, v18
	s_waitcnt vmcnt(0)
	v_lshlrev_b32_e32 v24, 8, v20
	v_lshrrev_b32_e32 v19, 11, v20
	v_and_or_b32 v21, 0x700, v24, v21
	v_lshlrev_b32_e32 v24, 5, v20
	v_and_or_b32 v19, v19, 14, 1
	v_lshlrev_b32_e32 v21, 2, v21
	v_cvt_f32_ubyte0_e32 v19, v19
	global_load_dword v21, v21, s[22:23]
	v_mul_f32_e32 v34, v19, v18
	v_and_b32_e32 v18, 0x8000, v20
	v_cvt_f32_u32_e32 v18, v18
	v_fmaak_f32 v35, s19, v18, 0xbf600000
	s_waitcnt vmcnt(0)
	v_and_b32_e32 v26, 0xf0f0f0f, v21
	v_lshrrev_b32_e32 v21, 4, v21
	v_and_b32_e32 v27, 0xf0f0f0f, v21
	v_bfe_u32 v21, v22, 8, 8
	v_and_or_b32 v21, 0x700, v24, v21
	v_lshlrev_b32_e32 v21, 2, v21
	global_load_dword v21, v21, s[22:23]
	s_waitcnt vmcnt(0)
	v_and_b32_e32 v28, 0xf0f0f0f, v21
	v_lshrrev_b32_e32 v21, 4, v21
	v_and_b32_e32 v29, 0xf0f0f0f, v21
	v_bfe_u32 v21, v22, 16, 8
	v_lshlrev_b32_e32 v22, 2, v20
	v_and_or_b32 v21, 0x700, v22, v21
	v_lshlrev_b32_e32 v21, 2, v21
	global_load_dword v21, v21, s[22:23]
	s_waitcnt vmcnt(0)
	v_and_b32_e32 v30, 0xf0f0f0f, v21
	v_lshrrev_b32_e32 v21, 4, v21
	v_and_b32_e32 v31, 0xf0f0f0f, v21
	v_lshrrev_b32_e32 v21, 1, v20
	v_and_or_b32 v21, 0x700, v21, v23
	v_lshlrev_b32_e32 v21, 2, v21
	global_load_dword v21, v21, s[22:23]
	s_waitcnt vmcnt(0)
	v_and_b32_e32 v32, 0xf0f0f0f, v21
	v_lshrrev_b32_e32 v21, 4, v21
	v_and_b32_e32 v33, 0xf0f0f0f, v21
	s_clause 0x2
	global_load_dwordx4 v[18:21], v[4:5], off offset:-16
	global_load_dword v36, v[4:5], off offset:16
	global_load_dwordx4 v[22:25], v[4:5], off
	v_add_co_u32 v4, vcc_lo, 0x480, v4
	v_add_co_ci_u32_e64 v5, null, 0, v5, vcc_lo
	v_cmp_le_u32_e32 vcc_lo, s10, v13
	s_or_b32 s16, vcc_lo, s16
	s_waitcnt vmcnt(2)
	v_dot4c_i32_i8 v37, v26, v19
	v_cvt_f32_f16_sdwa v19, v18 dst_sel:DWORD dst_unused:UNUSED_PAD src0_sel:WORD_1
	v_dot4c_i32_i8 v37, v27, v20
	v_mul_f32_e32 v19, v35, v19
	v_dot4c_i32_i8 v37, v28, v21
	s_waitcnt vmcnt(0)
	v_dot4c_i32_i8 v37, v29, v22
	v_dot4c_i32_i8 v37, v30, v23
	v_dot4c_i32_i8 v37, v31, v24
	v_dot4c_i32_i8 v37, v32, v25
	v_dot4c_i32_i8 v37, v33, v36
	v_cvt_f32_i32_e32 v20, v37
	v_mov_b32_e32 v37, 0
	v_fma_mix_f32 v18, v20, v18, v19 op_sel_hi:[0,1,0]
	v_fmac_f32_e32 v14, v34, v18
	v_add_nc_u32_e32 v18, s1, v15
	v_mad_u64_u32 v[22:23], null, v18, 36, v[2:3]
	s_clause 0x2
	global_load_dwordx4 v[18:21], v[22:23], off
	global_load_dword v36, v[22:23], off offset:32
	global_load_dwordx4 v[22:25], v[22:23], off offset:16
	s_waitcnt vmcnt(2)
	v_dot4c_i32_i8 v37, v26, v19
	v_cvt_f32_f16_sdwa v19, v18 dst_sel:DWORD dst_unused:UNUSED_PAD src0_sel:WORD_1
	v_dot4c_i32_i8 v37, v27, v20
	v_mul_f32_e32 v19, v35, v19
	v_dot4c_i32_i8 v37, v28, v21
	s_waitcnt vmcnt(0)
	v_dot4c_i32_i8 v37, v29, v22
	v_dot4c_i32_i8 v37, v30, v23
	v_dot4c_i32_i8 v37, v31, v24
	v_dot4c_i32_i8 v37, v32, v25
	v_dot4c_i32_i8 v37, v33, v36
	v_cvt_f32_i32_e32 v20, v37
	v_mov_b32_e32 v37, 0
	v_fma_mix_f32 v18, v20, v18, v19 op_sel_hi:[0,1,0]
	v_fmac_f32_e32 v12, v34, v18
	v_add_nc_u32_e32 v18, s17, v15
	v_mad_u64_u32 v[22:23], null, v18, 36, v[2:3]
	s_clause 0x2
	global_load_dwordx4 v[18:21], v[22:23], off
	global_load_dword v36, v[22:23], off offset:32
	global_load_dwordx4 v[22:25], v[22:23], off offset:16
	s_waitcnt vmcnt(2)
	v_dot4c_i32_i8 v37, v26, v19
	v_cvt_f32_f16_sdwa v19, v18 dst_sel:DWORD dst_unused:UNUSED_PAD src0_sel:WORD_1
	v_dot4c_i32_i8 v37, v27, v20
	v_mul_f32_e32 v19, v35, v19
	v_dot4c_i32_i8 v37, v28, v21
	s_waitcnt vmcnt(0)
	v_dot4c_i32_i8 v37, v29, v22
	v_dot4c_i32_i8 v37, v30, v23
	v_dot4c_i32_i8 v37, v31, v24
	v_dot4c_i32_i8 v37, v32, v25
	v_dot4c_i32_i8 v37, v33, v36
	v_cvt_f32_i32_e32 v20, v37
	v_mov_b32_e32 v37, 0
	v_fma_mix_f32 v18, v20, v18, v19 op_sel_hi:[0,1,0]
	v_fmac_f32_e32 v11, v34, v18
	v_add_nc_u32_e32 v18, s15, v15
	v_mad_u64_u32 v[22:23], null, v18, 36, v[2:3]
	s_clause 0x2
	global_load_dwordx4 v[18:21], v[22:23], off
	global_load_dword v36, v[22:23], off offset:32
	global_load_dwordx4 v[22:25], v[22:23], off offset:16
	s_waitcnt vmcnt(2)
	v_dot4c_i32_i8 v37, v26, v19
	v_cvt_f32_f16_sdwa v19, v18 dst_sel:DWORD dst_unused:UNUSED_PAD src0_sel:WORD_1
	v_dot4c_i32_i8 v37, v27, v20
	v_mul_f32_e32 v19, v35, v19
	v_dot4c_i32_i8 v37, v28, v21
	s_waitcnt vmcnt(0)
	v_dot4c_i32_i8 v37, v29, v22
	v_dot4c_i32_i8 v37, v30, v23
	v_dot4c_i32_i8 v37, v31, v24
	v_dot4c_i32_i8 v37, v32, v25
	v_dot4c_i32_i8 v37, v33, v36
	v_cvt_f32_i32_e32 v20, v37
	v_mov_b32_e32 v37, 0
	v_fma_mix_f32 v18, v20, v18, v19 op_sel_hi:[0,1,0]
	v_fmac_f32_e32 v10, v34, v18
	v_add_nc_u32_e32 v18, s13, v15
	v_mad_u64_u32 v[22:23], null, v18, 36, v[2:3]
	s_clause 0x2
	global_load_dwordx4 v[18:21], v[22:23], off
	global_load_dword v36, v[22:23], off offset:32
	global_load_dwordx4 v[22:25], v[22:23], off offset:16
	s_waitcnt vmcnt(2)
	v_dot4c_i32_i8 v37, v26, v19
	v_cvt_f32_f16_sdwa v19, v18 dst_sel:DWORD dst_unused:UNUSED_PAD src0_sel:WORD_1
	v_dot4c_i32_i8 v37, v27, v20
	v_mul_f32_e32 v19, v35, v19
	v_dot4c_i32_i8 v37, v28, v21
	s_waitcnt vmcnt(0)
	v_dot4c_i32_i8 v37, v29, v22
	v_dot4c_i32_i8 v37, v30, v23
	v_dot4c_i32_i8 v37, v31, v24
	v_dot4c_i32_i8 v37, v32, v25
	v_dot4c_i32_i8 v37, v33, v36
	v_cvt_f32_i32_e32 v20, v37
	v_mov_b32_e32 v37, 0
	v_fma_mix_f32 v18, v20, v18, v19 op_sel_hi:[0,1,0]
	v_fmac_f32_e32 v9, v34, v18
	v_add_nc_u32_e32 v18, s12, v15
	v_mad_u64_u32 v[22:23], null, v18, 36, v[2:3]
	s_clause 0x2
	global_load_dwordx4 v[18:21], v[22:23], off
	global_load_dword v36, v[22:23], off offset:32
	global_load_dwordx4 v[22:25], v[22:23], off offset:16
	s_waitcnt vmcnt(2)
	v_dot4c_i32_i8 v37, v26, v19
	v_cvt_f32_f16_sdwa v19, v18 dst_sel:DWORD dst_unused:UNUSED_PAD src0_sel:WORD_1
	v_dot4c_i32_i8 v37, v27, v20
	v_mul_f32_e32 v19, v35, v19
	v_dot4c_i32_i8 v37, v28, v21
	s_waitcnt vmcnt(0)
	v_dot4c_i32_i8 v37, v29, v22
	v_dot4c_i32_i8 v37, v30, v23
	v_dot4c_i32_i8 v37, v31, v24
	v_dot4c_i32_i8 v37, v32, v25
	v_dot4c_i32_i8 v37, v33, v36
	v_cvt_f32_i32_e32 v20, v37
	v_mov_b32_e32 v37, 0
	v_fma_mix_f32 v18, v20, v18, v19 op_sel_hi:[0,1,0]
	v_fmac_f32_e32 v8, v34, v18
	v_add_nc_u32_e32 v18, s11, v15
	v_mad_u64_u32 v[22:23], null, v18, 36, v[2:3]
	s_clause 0x2
	global_load_dwordx4 v[18:21], v[22:23], off
	global_load_dword v36, v[22:23], off offset:32
	global_load_dwordx4 v[22:25], v[22:23], off offset:16
	s_waitcnt vmcnt(2)
	v_dot4c_i32_i8 v37, v26, v19
	v_cvt_f32_f16_sdwa v19, v18 dst_sel:DWORD dst_unused:UNUSED_PAD src0_sel:WORD_1
	v_dot4c_i32_i8 v37, v27, v20
	v_mul_f32_e32 v19, v35, v19
	v_dot4c_i32_i8 v37, v28, v21
	s_waitcnt vmcnt(0)
	v_dot4c_i32_i8 v37, v29, v22
	v_dot4c_i32_i8 v37, v30, v23
	;; [unrolled: 1-line block ×5, first 2 shown]
	v_cvt_f32_i32_e32 v20, v37
	v_mov_b32_e32 v37, 0
	v_fma_mix_f32 v18, v20, v18, v19 op_sel_hi:[0,1,0]
	v_fmac_f32_e32 v7, v34, v18
	v_add_nc_u32_e32 v18, s3, v15
	v_add_nc_u32_e32 v15, 32, v15
	v_mad_u64_u32 v[22:23], null, v18, 36, v[2:3]
	s_clause 0x2
	global_load_dwordx4 v[18:21], v[22:23], off
	global_load_dword v36, v[22:23], off offset:32
	global_load_dwordx4 v[22:25], v[22:23], off offset:16
	s_waitcnt vmcnt(2)
	v_dot4c_i32_i8 v37, v26, v19
	v_cvt_f32_f16_sdwa v19, v18 dst_sel:DWORD dst_unused:UNUSED_PAD src0_sel:WORD_1
	v_dot4c_i32_i8 v37, v27, v20
	v_mul_f32_e32 v19, v35, v19
	v_dot4c_i32_i8 v37, v28, v21
	s_waitcnt vmcnt(0)
	v_dot4c_i32_i8 v37, v29, v22
	v_dot4c_i32_i8 v37, v30, v23
	;; [unrolled: 1-line block ×5, first 2 shown]
	v_cvt_f32_i32_e32 v20, v37
	v_fma_mix_f32 v18, v20, v18, v19 op_sel_hi:[0,1,0]
	v_fmac_f32_e32 v6, v34, v18
	s_andn2_b32 exec_lo, exec_lo, s16
	s_cbranch_execnz .LBB215_2
; %bb.3:
	s_or_b32 exec_lo, exec_lo, s16
.LBB215_4:
	s_or_b32 exec_lo, exec_lo, s9
	s_mov_b32 s1, 0
	; wave barrier
	buffer_gl0_inv
	s_mov_b32 s0, exec_lo
	v_cmpx_eq_u32_e32 0, v1
	s_cbranch_execz .LBB215_21
; %bb.5:
	v_mbcnt_lo_u32_b32 v5, -1, 0
	s_load_dwordx2 s[4:5], s[4:5], 0x38
	s_mul_i32 s0, s14, s7
	s_mul_i32 s3, s18, s8
	s_add_i32 s0, s0, s6
	v_xor_b32_e32 v1, 16, v5
	v_xor_b32_e32 v2, 8, v5
	;; [unrolled: 1-line block ×3, first 2 shown]
	s_add_i32 s0, s0, s3
	s_lshl_b64 s[0:1], s[0:1], 2
	v_cmp_gt_i32_e32 vcc_lo, 32, v1
	v_cndmask_b32_e32 v1, v5, v1, vcc_lo
	v_cmp_gt_i32_e32 vcc_lo, 32, v2
	v_lshlrev_b32_e32 v1, 2, v1
	v_cndmask_b32_e32 v2, v5, v2, vcc_lo
	s_waitcnt lgkmcnt(0)
	s_add_u32 s0, s4, s0
	s_addc_u32 s1, s5, s1
	ds_bpermute_b32 v3, v1, v14
	v_lshlrev_b32_e32 v2, 2, v2
	s_waitcnt lgkmcnt(0)
	v_add_f32_e32 v4, v14, v3
	v_xor_b32_e32 v3, 4, v5
	ds_bpermute_b32 v13, v2, v4
	v_cmp_gt_i32_e32 vcc_lo, 32, v3
	v_cndmask_b32_e32 v3, v5, v3, vcc_lo
	v_lshlrev_b32_e32 v3, 2, v3
	s_waitcnt lgkmcnt(0)
	v_add_f32_e32 v13, v4, v13
	v_xor_b32_e32 v4, 2, v5
	ds_bpermute_b32 v14, v3, v13
	v_cmp_gt_i32_e32 vcc_lo, 32, v4
	v_cndmask_b32_e32 v4, v5, v4, vcc_lo
	v_cmp_gt_i32_e32 vcc_lo, 32, v15
	v_lshlrev_b32_e32 v4, 2, v4
	v_cndmask_b32_e32 v5, v5, v15, vcc_lo
	v_cmp_eq_u32_e32 vcc_lo, 0, v0
	v_lshlrev_b32_e32 v5, 2, v5
	s_waitcnt lgkmcnt(0)
	v_add_f32_e32 v13, v13, v14
	ds_bpermute_b32 v14, v4, v13
	s_waitcnt lgkmcnt(0)
	v_add_f32_e32 v13, v13, v14
	ds_bpermute_b32 v14, v5, v13
	s_and_saveexec_b32 s3, vcc_lo
	s_cbranch_execz .LBB215_7
; %bb.6:
	s_waitcnt lgkmcnt(0)
	v_add_f32_e32 v0, v13, v14
	v_mov_b32_e32 v13, 0
	global_store_dword v13, v0, s[0:1]
.LBB215_7:
	s_or_b32 exec_lo, exec_lo, s3
	ds_bpermute_b32 v0, v1, v12
	s_waitcnt lgkmcnt(0)
	v_add_f32_e32 v0, v12, v0
	ds_bpermute_b32 v12, v2, v0
	s_waitcnt lgkmcnt(0)
	v_add_f32_e32 v0, v0, v12
	;; [unrolled: 3-line block ×4, first 2 shown]
	ds_bpermute_b32 v12, v5, v0
	s_and_saveexec_b32 s4, vcc_lo
	s_cbranch_execz .LBB215_9
; %bb.8:
	s_mov_b32 s3, 0
	s_waitcnt lgkmcnt(0)
	v_add_f32_e32 v0, v0, v12
	s_lshl_b64 s[6:7], s[2:3], 2
	v_mov_b32_e32 v12, 0
	s_add_u32 s6, s0, s6
	s_addc_u32 s7, s1, s7
	global_store_dword v12, v0, s[6:7]
.LBB215_9:
	s_or_b32 exec_lo, exec_lo, s4
	ds_bpermute_b32 v0, v1, v11
	s_waitcnt lgkmcnt(0)
	v_add_f32_e32 v0, v11, v0
	ds_bpermute_b32 v11, v2, v0
	s_waitcnt lgkmcnt(0)
	v_add_f32_e32 v0, v0, v11
	;; [unrolled: 3-line block ×4, first 2 shown]
	ds_bpermute_b32 v11, v5, v0
	s_and_saveexec_b32 s3, vcc_lo
	s_cbranch_execz .LBB215_11
; %bb.10:
	s_lshl_b32 s4, s2, 1
	s_mov_b32 s5, 0
	s_waitcnt lgkmcnt(0)
	v_add_f32_e32 v0, v0, v11
	s_lshl_b64 s[4:5], s[4:5], 2
	v_mov_b32_e32 v11, 0
	s_add_u32 s4, s0, s4
	s_addc_u32 s5, s1, s5
	global_store_dword v11, v0, s[4:5]
.LBB215_11:
	s_or_b32 exec_lo, exec_lo, s3
	ds_bpermute_b32 v0, v1, v10
	s_waitcnt lgkmcnt(0)
	v_add_f32_e32 v0, v10, v0
	ds_bpermute_b32 v10, v2, v0
	s_waitcnt lgkmcnt(0)
	v_add_f32_e32 v0, v0, v10
	;; [unrolled: 3-line block ×4, first 2 shown]
	ds_bpermute_b32 v10, v5, v0
	s_and_saveexec_b32 s3, vcc_lo
	s_cbranch_execz .LBB215_13
; %bb.12:
	s_mul_i32 s4, s2, 3
	s_mov_b32 s5, 0
	s_waitcnt lgkmcnt(0)
	v_add_f32_e32 v0, v0, v10
	s_lshl_b64 s[4:5], s[4:5], 2
	v_mov_b32_e32 v10, 0
	s_add_u32 s4, s0, s4
	s_addc_u32 s5, s1, s5
	global_store_dword v10, v0, s[4:5]
.LBB215_13:
	s_or_b32 exec_lo, exec_lo, s3
	ds_bpermute_b32 v0, v1, v9
	s_waitcnt lgkmcnt(0)
	v_add_f32_e32 v0, v9, v0
	ds_bpermute_b32 v9, v2, v0
	s_waitcnt lgkmcnt(0)
	v_add_f32_e32 v0, v0, v9
	;; [unrolled: 3-line block ×4, first 2 shown]
	ds_bpermute_b32 v9, v5, v0
	s_and_saveexec_b32 s3, vcc_lo
	s_cbranch_execz .LBB215_15
; %bb.14:
	s_lshl_b32 s4, s2, 2
	s_mov_b32 s5, 0
	s_waitcnt lgkmcnt(0)
	v_add_f32_e32 v0, v0, v9
	s_lshl_b64 s[4:5], s[4:5], 2
	v_mov_b32_e32 v9, 0
	s_add_u32 s4, s0, s4
	s_addc_u32 s5, s1, s5
	global_store_dword v9, v0, s[4:5]
.LBB215_15:
	s_or_b32 exec_lo, exec_lo, s3
	ds_bpermute_b32 v0, v1, v8
	s_waitcnt lgkmcnt(0)
	v_add_f32_e32 v0, v8, v0
	ds_bpermute_b32 v8, v2, v0
	s_waitcnt lgkmcnt(0)
	v_add_f32_e32 v0, v0, v8
	;; [unrolled: 3-line block ×4, first 2 shown]
	ds_bpermute_b32 v8, v5, v0
	s_and_saveexec_b32 s3, vcc_lo
	s_cbranch_execz .LBB215_17
; %bb.16:
	s_mul_i32 s4, s2, 5
	s_mov_b32 s5, 0
	s_waitcnt lgkmcnt(0)
	v_add_f32_e32 v0, v0, v8
	s_lshl_b64 s[4:5], s[4:5], 2
	v_mov_b32_e32 v8, 0
	s_add_u32 s4, s0, s4
	s_addc_u32 s5, s1, s5
	global_store_dword v8, v0, s[4:5]
.LBB215_17:
	s_or_b32 exec_lo, exec_lo, s3
	ds_bpermute_b32 v0, v1, v7
	s_waitcnt lgkmcnt(0)
	v_add_f32_e32 v0, v7, v0
	ds_bpermute_b32 v7, v2, v0
	s_waitcnt lgkmcnt(0)
	v_add_f32_e32 v0, v0, v7
	;; [unrolled: 3-line block ×4, first 2 shown]
	ds_bpermute_b32 v7, v5, v0
	s_and_saveexec_b32 s3, vcc_lo
	s_cbranch_execz .LBB215_19
; %bb.18:
	s_mul_i32 s4, s2, 6
	s_mov_b32 s5, 0
	s_waitcnt lgkmcnt(0)
	v_add_f32_e32 v0, v0, v7
	s_lshl_b64 s[4:5], s[4:5], 2
	v_mov_b32_e32 v7, 0
	s_add_u32 s4, s0, s4
	s_addc_u32 s5, s1, s5
	global_store_dword v7, v0, s[4:5]
.LBB215_19:
	s_or_b32 exec_lo, exec_lo, s3
	ds_bpermute_b32 v0, v1, v6
	s_waitcnt lgkmcnt(0)
	v_add_f32_e32 v0, v6, v0
	ds_bpermute_b32 v1, v2, v0
	s_waitcnt lgkmcnt(0)
	v_add_f32_e32 v0, v0, v1
	;; [unrolled: 3-line block ×4, first 2 shown]
	ds_bpermute_b32 v1, v5, v0
	s_and_b32 exec_lo, exec_lo, vcc_lo
	s_cbranch_execz .LBB215_21
; %bb.20:
	s_mul_i32 s2, s2, 7
	s_mov_b32 s3, 0
	s_waitcnt lgkmcnt(0)
	v_add_f32_e32 v0, v0, v1
	s_lshl_b64 s[2:3], s[2:3], 2
	v_mov_b32_e32 v1, 0
	s_add_u32 s0, s0, s2
	s_addc_u32 s1, s1, s3
	global_store_dword v1, v0, s[0:1]
.LBB215_21:
	s_endpgm
	.section	.rodata,"a",@progbits
	.p2align	6, 0x0
	.amdhsa_kernel _ZL13mul_mat_vec_qIL9ggml_type19ELi8ELb0ELb0EEvPKvS2_PKi31ggml_cuda_mm_fusion_args_devicePfj15HIP_vector_typeIjLj3EEjjjS8_jjjS8_jjjj
		.amdhsa_group_segment_fixed_size 0
		.amdhsa_private_segment_fixed_size 0
		.amdhsa_kernarg_size 144
		.amdhsa_user_sgpr_count 6
		.amdhsa_user_sgpr_private_segment_buffer 1
		.amdhsa_user_sgpr_dispatch_ptr 0
		.amdhsa_user_sgpr_queue_ptr 0
		.amdhsa_user_sgpr_kernarg_segment_ptr 1
		.amdhsa_user_sgpr_dispatch_id 0
		.amdhsa_user_sgpr_flat_scratch_init 0
		.amdhsa_user_sgpr_private_segment_size 0
		.amdhsa_wavefront_size32 1
		.amdhsa_uses_dynamic_stack 0
		.amdhsa_system_sgpr_private_segment_wavefront_offset 0
		.amdhsa_system_sgpr_workgroup_id_x 1
		.amdhsa_system_sgpr_workgroup_id_y 1
		.amdhsa_system_sgpr_workgroup_id_z 1
		.amdhsa_system_sgpr_workgroup_info 0
		.amdhsa_system_vgpr_workitem_id 1
		.amdhsa_next_free_vgpr 38
		.amdhsa_next_free_sgpr 28
		.amdhsa_reserve_vcc 1
		.amdhsa_reserve_flat_scratch 0
		.amdhsa_float_round_mode_32 0
		.amdhsa_float_round_mode_16_64 0
		.amdhsa_float_denorm_mode_32 3
		.amdhsa_float_denorm_mode_16_64 3
		.amdhsa_dx10_clamp 1
		.amdhsa_ieee_mode 1
		.amdhsa_fp16_overflow 0
		.amdhsa_workgroup_processor_mode 1
		.amdhsa_memory_ordered 1
		.amdhsa_forward_progress 1
		.amdhsa_shared_vgpr_count 0
		.amdhsa_exception_fp_ieee_invalid_op 0
		.amdhsa_exception_fp_denorm_src 0
		.amdhsa_exception_fp_ieee_div_zero 0
		.amdhsa_exception_fp_ieee_overflow 0
		.amdhsa_exception_fp_ieee_underflow 0
		.amdhsa_exception_fp_ieee_inexact 0
		.amdhsa_exception_int_div_zero 0
	.end_amdhsa_kernel
	.section	.text._ZL13mul_mat_vec_qIL9ggml_type19ELi8ELb0ELb0EEvPKvS2_PKi31ggml_cuda_mm_fusion_args_devicePfj15HIP_vector_typeIjLj3EEjjjS8_jjjS8_jjjj,"axG",@progbits,_ZL13mul_mat_vec_qIL9ggml_type19ELi8ELb0ELb0EEvPKvS2_PKi31ggml_cuda_mm_fusion_args_devicePfj15HIP_vector_typeIjLj3EEjjjS8_jjjS8_jjjj,comdat
.Lfunc_end215:
	.size	_ZL13mul_mat_vec_qIL9ggml_type19ELi8ELb0ELb0EEvPKvS2_PKi31ggml_cuda_mm_fusion_args_devicePfj15HIP_vector_typeIjLj3EEjjjS8_jjjS8_jjjj, .Lfunc_end215-_ZL13mul_mat_vec_qIL9ggml_type19ELi8ELb0ELb0EEvPKvS2_PKi31ggml_cuda_mm_fusion_args_devicePfj15HIP_vector_typeIjLj3EEjjjS8_jjjS8_jjjj
                                        ; -- End function
	.set _ZL13mul_mat_vec_qIL9ggml_type19ELi8ELb0ELb0EEvPKvS2_PKi31ggml_cuda_mm_fusion_args_devicePfj15HIP_vector_typeIjLj3EEjjjS8_jjjS8_jjjj.num_vgpr, 38
	.set _ZL13mul_mat_vec_qIL9ggml_type19ELi8ELb0ELb0EEvPKvS2_PKi31ggml_cuda_mm_fusion_args_devicePfj15HIP_vector_typeIjLj3EEjjjS8_jjjS8_jjjj.num_agpr, 0
	.set _ZL13mul_mat_vec_qIL9ggml_type19ELi8ELb0ELb0EEvPKvS2_PKi31ggml_cuda_mm_fusion_args_devicePfj15HIP_vector_typeIjLj3EEjjjS8_jjjS8_jjjj.numbered_sgpr, 28
	.set _ZL13mul_mat_vec_qIL9ggml_type19ELi8ELb0ELb0EEvPKvS2_PKi31ggml_cuda_mm_fusion_args_devicePfj15HIP_vector_typeIjLj3EEjjjS8_jjjS8_jjjj.num_named_barrier, 0
	.set _ZL13mul_mat_vec_qIL9ggml_type19ELi8ELb0ELb0EEvPKvS2_PKi31ggml_cuda_mm_fusion_args_devicePfj15HIP_vector_typeIjLj3EEjjjS8_jjjS8_jjjj.private_seg_size, 0
	.set _ZL13mul_mat_vec_qIL9ggml_type19ELi8ELb0ELb0EEvPKvS2_PKi31ggml_cuda_mm_fusion_args_devicePfj15HIP_vector_typeIjLj3EEjjjS8_jjjS8_jjjj.uses_vcc, 1
	.set _ZL13mul_mat_vec_qIL9ggml_type19ELi8ELb0ELb0EEvPKvS2_PKi31ggml_cuda_mm_fusion_args_devicePfj15HIP_vector_typeIjLj3EEjjjS8_jjjS8_jjjj.uses_flat_scratch, 0
	.set _ZL13mul_mat_vec_qIL9ggml_type19ELi8ELb0ELb0EEvPKvS2_PKi31ggml_cuda_mm_fusion_args_devicePfj15HIP_vector_typeIjLj3EEjjjS8_jjjS8_jjjj.has_dyn_sized_stack, 0
	.set _ZL13mul_mat_vec_qIL9ggml_type19ELi8ELb0ELb0EEvPKvS2_PKi31ggml_cuda_mm_fusion_args_devicePfj15HIP_vector_typeIjLj3EEjjjS8_jjjS8_jjjj.has_recursion, 0
	.set _ZL13mul_mat_vec_qIL9ggml_type19ELi8ELb0ELb0EEvPKvS2_PKi31ggml_cuda_mm_fusion_args_devicePfj15HIP_vector_typeIjLj3EEjjjS8_jjjS8_jjjj.has_indirect_call, 0
	.section	.AMDGPU.csdata,"",@progbits
; Kernel info:
; codeLenInByte = 2816
; TotalNumSgprs: 30
; NumVgprs: 38
; ScratchSize: 0
; MemoryBound: 0
; FloatMode: 240
; IeeeMode: 1
; LDSByteSize: 0 bytes/workgroup (compile time only)
; SGPRBlocks: 0
; VGPRBlocks: 4
; NumSGPRsForWavesPerEU: 30
; NumVGPRsForWavesPerEU: 38
; Occupancy: 16
; WaveLimiterHint : 0
; COMPUTE_PGM_RSRC2:SCRATCH_EN: 0
; COMPUTE_PGM_RSRC2:USER_SGPR: 6
; COMPUTE_PGM_RSRC2:TRAP_HANDLER: 0
; COMPUTE_PGM_RSRC2:TGID_X_EN: 1
; COMPUTE_PGM_RSRC2:TGID_Y_EN: 1
; COMPUTE_PGM_RSRC2:TGID_Z_EN: 1
; COMPUTE_PGM_RSRC2:TIDIG_COMP_CNT: 1
	.section	.text._ZL17mul_mat_vec_q_moeIL9ggml_type29ELi2EEvPKvS2_PKiPfj15HIP_vector_typeIjLj3EEjjjjjjjjj,"axG",@progbits,_ZL17mul_mat_vec_q_moeIL9ggml_type29ELi2EEvPKvS2_PKiPfj15HIP_vector_typeIjLj3EEjjjjjjjjj,comdat
	.globl	_ZL17mul_mat_vec_q_moeIL9ggml_type29ELi2EEvPKvS2_PKiPfj15HIP_vector_typeIjLj3EEjjjjjjjjj ; -- Begin function _ZL17mul_mat_vec_q_moeIL9ggml_type29ELi2EEvPKvS2_PKiPfj15HIP_vector_typeIjLj3EEjjjjjjjjj
	.p2align	8
	.type	_ZL17mul_mat_vec_q_moeIL9ggml_type29ELi2EEvPKvS2_PKiPfj15HIP_vector_typeIjLj3EEjjjjjjjjj,@function
_ZL17mul_mat_vec_q_moeIL9ggml_type29ELi2EEvPKvS2_PKiPfj15HIP_vector_typeIjLj3EEjjjjjjjjj: ; @_ZL17mul_mat_vec_q_moeIL9ggml_type29ELi2EEvPKvS2_PKiPfj15HIP_vector_typeIjLj3EEjjjjjjjjj
; %bb.0:
	s_load_dwordx8 s[16:23], s[4:5], 0x30
	s_mov_b32 s0, exec_lo
	s_waitcnt lgkmcnt(0)
	v_cmpx_gt_u32_e64 s23, v1
	s_cbranch_execz .LBB216_7
; %bb.1:
	s_clause 0x2
	s_load_dword s1, s[4:5], 0x20
	s_load_dword s0, s[4:5], 0x50
	s_load_dwordx8 s[8:15], s[4:5], 0x0
	v_lshrrev_b32_e32 v9, 3, v0
	v_mov_b32_e32 v2, 0
	v_mov_b32_e32 v3, 0
	s_mov_b32 s2, s7
	s_waitcnt lgkmcnt(0)
	s_lshr_b32 s3, s1, 8
	s_lshl_b32 s1, s6, 1
	s_mov_b32 s6, exec_lo
	v_cmpx_gt_u32_e64 s3, v9
	s_cbranch_execz .LBB216_5
; %bb.2:
	v_mad_u64_u32 v[2:3], null, s0, v1, s[2:3]
	v_mov_b32_e32 v3, 0
	s_load_dwordx4 s[24:27], s[4:5], 0x24
	v_lshrrev_b32_e32 v6, 3, v0
	v_and_b32_e32 v8, 1, v0
	v_bfe_u32 v7, v0, 1, 2
	v_mov_b32_e32 v14, 0xfffff000
	v_lshlrev_b64 v[4:5], 2, v[2:3]
	v_mov_b32_e32 v15, 8
	s_mov_b32 s4, 0
	v_lshlrev_b32_e32 v13, 1, v7
	s_mov_b32 s5, 0xbd000000
	v_add_co_u32 v4, vcc_lo, s12, v4
	v_add_co_ci_u32_e64 v5, null, s13, v5, vcc_lo
	v_cmp_eq_u32_e32 vcc_lo, 1, v8
	global_load_dword v2, v[4:5], off
	v_mul_lo_u32 v4, s18, v1
	s_waitcnt lgkmcnt(0)
	s_mul_hi_u32 s0, s24, s2
	v_cndmask_b32_e64 v11, 0, 6, vcc_lo
	s_add_i32 s0, s2, s0
	s_lshr_b32 s0, s0, s25
	s_mul_i32 s0, s0, s26
	v_mad_u64_u32 v[4:5], null, v4, 36, 0
	s_sub_i32 s0, s2, s0
	s_mul_i32 s0, s0, s21
	v_mad_u64_u32 v[4:5], null, 0x120, v6, v[4:5]
	v_and_b32_e32 v6, 7, v0
	v_lshlrev_b32_e32 v10, 1, v6
	v_mad_u64_u32 v[4:5], null, s0, 36, v[4:5]
	s_add_i32 s0, s1, 1
	v_lshlrev_b32_e32 v12, 2, v6
	v_mad_u64_u32 v[4:5], null, v6, 36, v[4:5]
	v_add_co_u32 v4, vcc_lo, s10, v4
	v_add_co_ci_u32_e64 v5, null, s11, v5, vcc_lo
	v_add_co_u32 v4, vcc_lo, v4, 32
	v_add_co_ci_u32_e64 v5, null, 0, v5, vcc_lo
	s_waitcnt vmcnt(0)
	v_mul_lo_u32 v2, v2, s20
	v_mad_u64_u32 v[6:7], null, s1, s17, v[2:3]
	v_mad_u64_u32 v[7:8], null, s17, s0, v[2:3]
	v_mov_b32_e32 v8, 0xffff
	v_mov_b32_e32 v2, v3
.LBB216_3:                              ; =>This Inner Loop Header: Depth=1
	v_add_nc_u32_e32 v16, v6, v9
	v_add_nc_u32_e32 v17, v7, v9
	s_getpc_b64 s[10:11]
	s_add_u32 s10, s10, _ZL13iq1s_grid_gpu@rel32@lo+4
	s_addc_u32 s11, s11, _ZL13iq1s_grid_gpu@rel32@hi+12
	v_mov_b32_e32 v47, 0
	v_mov_b32_e32 v48, 0
	v_mad_i64_i32 v[24:25], null, v16, 56, s[8:9]
	v_mad_i64_i32 v[26:27], null, v17, 56, s[8:9]
	v_mov_b32_e32 v49, 0
	v_mov_b32_e32 v50, 0
	v_add_nc_u32_e32 v9, 4, v9
	v_add_co_u32 v16, vcc_lo, v24, v12
	v_add_co_ci_u32_e64 v17, null, 0, v25, vcc_lo
	v_add_co_u32 v18, vcc_lo, v24, v10
	v_add_co_ci_u32_e64 v19, null, 0, v25, vcc_lo
	;; [unrolled: 2-line block ×5, first 2 shown]
	s_clause 0x4
	global_load_dword v30, v[16:17], off
	global_load_ushort v31, v[18:19], off offset:32
	global_load_dword v32, v[20:21], off
	global_load_ushort v33, v[22:23], off offset:32
	global_load_ushort v34, v[28:29], off offset:48
	s_clause 0x2
	global_load_dwordx4 v[16:19], v[4:5], off offset:-16
	global_load_dwordx4 v[20:23], v[4:5], off offset:-32
	global_load_dword v35, v[4:5], off
	v_add_co_u32 v28, vcc_lo, v24, v13
	v_add_co_ci_u32_e64 v29, null, 0, v25, vcc_lo
	s_clause 0x2
	global_load_ushort v28, v[28:29], off offset:48
	global_load_dwordx2 v[24:25], v[24:25], off offset:48
	global_load_dwordx2 v[26:27], v[26:27], off offset:48
	v_add_co_u32 v4, vcc_lo, 0x480, v4
	v_cmp_le_u32_e64 s0, s3, v9
	v_add_co_ci_u32_e64 v5, null, 0, v5, vcc_lo
	s_or_b32 s4, s0, s4
	s_waitcnt vmcnt(10)
	v_and_b32_e32 v36, 0xff, v30
	s_waitcnt vmcnt(9)
	v_lshlrev_b32_e32 v37, 8, v31
	v_bfe_u32 v38, v30, 8, 8
	v_lshlrev_b32_e32 v39, 4, v31
	v_and_b32_sdwa v40, v8, v31 dst_sel:DWORD dst_unused:UNUSED_PAD src0_sel:DWORD src1_sel:BYTE_1
	s_waitcnt vmcnt(8)
	v_and_b32_e32 v41, 0xff, v32
	s_waitcnt vmcnt(7)
	v_lshlrev_b32_e32 v45, 8, v33
	v_and_b32_sdwa v44, v8, v33 dst_sel:DWORD dst_unused:UNUSED_PAD src0_sel:DWORD src1_sel:BYTE_1
	v_bfe_u32 v42, v32, 8, 8
	v_lshlrev_b32_e32 v46, 4, v33
	v_and_or_b32 v36, 0x700, v37, v36
	v_lshrrev_b32_e32 v29, 24, v30
	v_bfe_u32 v30, v30, 16, 8
	v_and_or_b32 v37, 0x700, v39, v38
	v_lshlrev_b32_e32 v38, 8, v40
	v_lshlrev_b32_e32 v39, 4, v40
	v_and_or_b32 v41, 0x700, v45, v41
	v_bfe_u32 v43, v32, 16, 8
	v_lshrrev_b32_e32 v45, 4, v44
	v_lshlrev_b32_e32 v44, 8, v44
	v_and_or_b32 v42, 0x700, v46, v42
	v_lshlrev_b32_e32 v36, 2, v36
	v_lshlrev_b32_e32 v37, 2, v37
	v_and_or_b32 v30, 0x700, v38, v30
	v_and_or_b32 v29, 0x700, v39, v29
	v_lshlrev_b32_e32 v38, 2, v41
	v_and_or_b32 v41, 0x700, v44, v43
	v_lshlrev_b32_e32 v39, 2, v42
	s_clause 0x2
	global_load_dword v36, v36, s[10:11]
	global_load_dword v37, v37, s[10:11]
	;; [unrolled: 1-line block ×3, first 2 shown]
	v_lshlrev_b32_e32 v30, 2, v30
	v_lshlrev_b32_e32 v29, 2, v29
	;; [unrolled: 1-line block ×3, first 2 shown]
	v_alignbit_b32 v32, v45, v32, 24
	s_clause 0x3
	global_load_dword v39, v39, s[10:11]
	global_load_dword v30, v30, s[10:11]
	;; [unrolled: 1-line block ×4, first 2 shown]
	v_mov_b32_e32 v42, 0
	v_mov_b32_e32 v43, 0
	v_and_b32_e32 v32, 0x7ff, v32
	v_mov_b32_e32 v44, 0
	v_and_b32_e32 v51, 8, v31
	s_waitcnt vmcnt(11)
	v_dot4c_i32_i8 v42, 0x1010101, v21
	v_lshrrev_b32_e32 v31, 4, v31
	v_lshlrev_b32_e32 v32, 2, v32
	v_mov_b32_e32 v46, 0
	v_dot4c_i32_i8 v44, 0x1010101, v17
	v_dot4c_i32_i8 v43, 0x1010101, v23
	;; [unrolled: 1-line block ×3, first 2 shown]
	global_load_dword v32, v32, s[10:11]
	s_waitcnt vmcnt(9)
	v_lshrrev_b16 v52, 12, v24
	v_lshrrev_b32_e32 v24, 24, v24
	v_lshrrev_b16 v53, 4, v25
	s_waitcnt vmcnt(8)
	v_pk_lshrrev_b16 v26, 0x8000c, v26
	v_pk_lshrrev_b16 v27, 4, v27
	v_bfe_u32 v54, v33, 4, 4
	v_and_b32_e32 v55, 8, v33
	v_and_b32_sdwa v33, v33, v15 dst_sel:DWORD dst_unused:UNUSED_PAD src0_sel:BYTE_1 src1_sel:DWORD
	v_cvt_f32_ubyte0_e32 v51, v51
	v_and_b32_e32 v31, 8, v31
	v_and_b32_e32 v56, 8, v40
	v_lshrrev_b32_e32 v40, 4, v40
	v_dot4c_i32_i8 v46, 0x1010101, v19
	v_dot4c_i32_i8 v44, 0x1010101, v18
	;; [unrolled: 1-line block ×3, first 2 shown]
	v_cvt_f32_i32_e32 v42, v42
	v_and_b32_sdwa v25, v25, v14 dst_sel:DWORD dst_unused:UNUSED_PAD src0_sel:WORD_1 src1_sel:DWORD
	v_and_b32_e32 v53, 0xf00, v53
	v_and_b32_e32 v27, 0xf0000f00, v27
	v_bfi_b32 v24, 0xffff, v24, v26
	v_perm_b32 v26, v26, v52, 0x5040100
	v_cvt_f32_ubyte0_e32 v33, v33
	v_fmaak_f32 v51, s5, v51, 0xbf600000
	v_cvt_f32_ubyte0_e32 v31, v31
	v_cvt_f32_ubyte0_e32 v56, v56
	v_and_b32_e32 v40, 8, v40
	v_and_b32_e32 v45, 8, v45
	v_dot4c_i32_i8 v46, 0x1010101, v35
	v_cvt_f32_i32_e32 v44, v44
	v_cvt_f32_i32_e32 v43, v43
	v_cvt_f32_ubyte0_e32 v55, v55
	v_and_b32_e32 v54, 8, v54
	v_fmaak_f32 v33, s5, v33, 0xbf600000
	v_and_or_b32 v24, 0xf000f0, v24, v26
	v_perm_b32 v26, v27, v53, 0x5040100
	v_bfi_b32 v25, 0xffff, v25, v27
	v_fmaak_f32 v27, s5, v31, 0xbf600000
	v_fmaak_f32 v31, s5, v56, 0xbf600000
	v_cvt_f32_ubyte0_e32 v40, v40
	v_fma_f32 v51, v51, v42, 0
	v_cvt_f32_ubyte0_e32 v45, v45
	v_cvt_f32_i32_e32 v46, v46
	v_fmaak_f32 v55, s5, v55, 0xbf600000
	v_cvt_f32_ubyte0_e32 v54, v54
	v_fma_f32 v33, v33, v44, 0
	v_or3_b32 v24, v24, v26, v25
	v_fmaak_f32 v25, s5, v40, 0xbf600000
	v_fmac_f32_e32 v51, v27, v43
	v_fma_f32 v26, v31, v44, 0
	v_fmaak_f32 v27, s5, v45, 0xbf600000
	v_fma_f32 v42, v55, v42, 0
	v_fmaak_f32 v54, s5, v54, 0xbf600000
	v_lshrrev_b32_e32 v34, v11, v34
	v_fmac_f32_e32 v26, v25, v46
	v_fmac_f32_e32 v33, v27, v46
	v_lshrrev_b32_e32 v28, v11, v28
	v_fmac_f32_e32 v42, v54, v43
	v_lshlrev_b32_e32 v52, 1, v34
	v_lshrrev_b32_e32 v34, 2, v34
	v_cvt_f32_f16_e32 v20, v20
	v_lshlrev_b32_e32 v57, 1, v28
	v_lshrrev_b32_e32 v28, 2, v28
	v_and_b32_e32 v52, 14, v52
	v_and_b32_e32 v34, 14, v34
	v_cvt_f32_f16_sdwa v40, v24 dst_sel:DWORD dst_unused:UNUSED_PAD src0_sel:WORD_1
	v_and_or_b32 v57, v57, 14, 1
	v_and_or_b32 v28, v28, 14, 1
	v_or_b32_e32 v52, 1, v52
	v_or_b32_e32 v34, 1, v34
	v_cvt_f32_f16_e32 v24, v24
	v_cvt_f32_ubyte0_e32 v53, v57
	v_cvt_f32_ubyte0_e32 v28, v28
	v_cvt_f32_ubyte0_e32 v31, v34
	v_cvt_f32_ubyte0_e32 v34, v52
	s_waitcnt vmcnt(7)
	v_and_b32_e32 v25, 0xf0f0f0f, v36
	v_lshrrev_b32_e32 v27, 4, v36
	s_waitcnt vmcnt(6)
	v_and_b32_e32 v36, 0xf0f0f0f, v37
	v_lshrrev_b32_e32 v37, 4, v37
	;; [unrolled: 3-line block ×3, first 2 shown]
	v_and_b32_e32 v27, 0xf0f0f0f, v27
	s_waitcnt vmcnt(4)
	v_and_b32_e32 v44, 0xf0f0f0f, v39
	v_lshrrev_b32_e32 v39, 4, v39
	v_dot4c_i32_i8 v47, v25, v21
	v_and_b32_e32 v25, 0xf0f0f0f, v37
	s_waitcnt vmcnt(3)
	v_and_b32_e32 v37, 0xf0f0f0f, v30
	v_lshrrev_b32_e32 v30, 4, v30
	v_and_b32_e32 v38, 0xf0f0f0f, v38
	v_dot4c_i32_i8 v49, v43, v21
	v_and_b32_e32 v21, 0xf0f0f0f, v39
	s_waitcnt vmcnt(1)
	v_and_b32_e32 v39, 0xf0f0f0f, v41
	v_lshrrev_b32_e32 v41, 4, v41
	v_dot4c_i32_i8 v47, v27, v22
	v_and_b32_e32 v27, 0xf0f0f0f, v30
	v_dot4c_i32_i8 v48, v37, v17
	v_and_b32_e32 v45, 0xf0f0f0f, v29
	v_lshrrev_b32_e32 v29, 4, v29
	v_dot4c_i32_i8 v49, v38, v22
	v_and_b32_e32 v22, 0xf0f0f0f, v41
	v_dot4c_i32_i8 v50, v39, v17
	v_dot4c_i32_i8 v48, v27, v18
	v_and_b32_e32 v29, 0xf0f0f0f, v29
	s_waitcnt vmcnt(0)
	v_and_b32_e32 v17, 0xf0f0f0f, v32
	v_lshrrev_b32_e32 v30, 4, v32
	v_dot4c_i32_i8 v50, v22, v18
	v_dot4c_i32_i8 v49, v44, v23
	;; [unrolled: 1-line block ×4, first 2 shown]
	v_and_b32_e32 v18, 0xf0f0f0f, v30
	v_dot4c_i32_i8 v50, v17, v19
	v_dot4c_i32_i8 v49, v21, v16
	;; [unrolled: 1-line block ×4, first 2 shown]
	v_mul_f32_e32 v21, v20, v24
	v_dot4c_i32_i8 v50, v18, v35
	v_cvt_f32_i32_e32 v16, v49
	v_cvt_f32_i32_e32 v17, v48
	;; [unrolled: 1-line block ×3, first 2 shown]
	v_mul_f32_e32 v20, v20, v40
	v_cvt_f32_i32_e32 v19, v50
	v_add_f32_e32 v16, v42, v16
	v_add_f32_e32 v17, v26, v17
	;; [unrolled: 1-line block ×4, first 2 shown]
	v_mul_f32_e32 v16, v16, v34
	v_mul_f32_e32 v17, v17, v28
	v_fmac_f32_e32 v16, v19, v31
	v_fmac_f32_e32 v17, v18, v53
	;; [unrolled: 1-line block ×4, first 2 shown]
	s_andn2_b32 exec_lo, exec_lo, s4
	s_cbranch_execnz .LBB216_3
; %bb.4:
	s_or_b32 exec_lo, exec_lo, s4
.LBB216_5:
	s_or_b32 exec_lo, exec_lo, s6
	v_mbcnt_lo_u32_b32 v4, -1, 0
	v_xor_b32_e32 v5, 16, v4
	v_xor_b32_e32 v7, 8, v4
	v_cmp_gt_i32_e32 vcc_lo, 32, v5
	v_cndmask_b32_e32 v5, v4, v5, vcc_lo
	v_cmp_gt_i32_e32 vcc_lo, 32, v7
	v_lshlrev_b32_e32 v5, 2, v5
	v_cndmask_b32_e32 v7, v4, v7, vcc_lo
	ds_bpermute_b32 v6, v5, v3
	ds_bpermute_b32 v5, v5, v2
	v_lshlrev_b32_e32 v7, 2, v7
	s_waitcnt lgkmcnt(1)
	v_add_f32_e32 v3, v3, v6
	s_waitcnt lgkmcnt(0)
	v_add_f32_e32 v2, v2, v5
	ds_bpermute_b32 v5, v7, v3
	ds_bpermute_b32 v6, v7, v2
	v_xor_b32_e32 v7, 4, v4
	v_cmp_gt_i32_e32 vcc_lo, 32, v7
	v_cndmask_b32_e32 v7, v4, v7, vcc_lo
	v_lshlrev_b32_e32 v7, 2, v7
	s_waitcnt lgkmcnt(1)
	v_add_f32_e32 v3, v3, v5
	s_waitcnt lgkmcnt(0)
	v_add_f32_e32 v2, v2, v6
	ds_bpermute_b32 v5, v7, v3
	ds_bpermute_b32 v6, v7, v2
	v_xor_b32_e32 v7, 2, v4
	v_cmp_gt_i32_e32 vcc_lo, 32, v7
	v_cndmask_b32_e32 v7, v4, v7, vcc_lo
	;; [unrolled: 10-line block ×3, first 2 shown]
	v_cmp_gt_u32_e32 vcc_lo, 2, v0
	v_lshlrev_b32_e32 v7, 2, v4
	s_waitcnt lgkmcnt(1)
	v_add_f32_e32 v2, v3, v2
	s_waitcnt lgkmcnt(0)
	v_add_f32_e32 v3, v5, v6
	v_add_nc_u32_e32 v6, s1, v0
	ds_bpermute_b32 v4, v7, v2
	ds_bpermute_b32 v5, v7, v3
	v_cmp_gt_u32_e64 s0, s16, v6
	s_and_b32 s0, vcc_lo, s0
	s_and_b32 exec_lo, exec_lo, s0
	s_cbranch_execz .LBB216_7
; %bb.6:
	v_mul_lo_u32 v1, s19, v1
	v_or_b32_e32 v6, s1, v0
	s_mul_i32 s0, s22, s2
	v_mov_b32_e32 v7, 0
	s_waitcnt lgkmcnt(1)
	v_add_f32_e32 v4, v2, v4
	s_waitcnt lgkmcnt(0)
	v_add_f32_e32 v3, v3, v5
	v_cmp_eq_u32_e32 vcc_lo, 1, v0
	v_add3_u32 v6, v6, v1, s0
	v_cndmask_b32_e32 v3, v4, v3, vcc_lo
	v_lshlrev_b64 v[1:2], 2, v[6:7]
	v_add_co_u32 v0, vcc_lo, s14, v1
	v_add_co_ci_u32_e64 v1, null, s15, v2, vcc_lo
	global_store_dword v[0:1], v3, off
.LBB216_7:
	s_endpgm
	.section	.rodata,"a",@progbits
	.p2align	6, 0x0
	.amdhsa_kernel _ZL17mul_mat_vec_q_moeIL9ggml_type29ELi2EEvPKvS2_PKiPfj15HIP_vector_typeIjLj3EEjjjjjjjjj
		.amdhsa_group_segment_fixed_size 0
		.amdhsa_private_segment_fixed_size 0
		.amdhsa_kernarg_size 84
		.amdhsa_user_sgpr_count 6
		.amdhsa_user_sgpr_private_segment_buffer 1
		.amdhsa_user_sgpr_dispatch_ptr 0
		.amdhsa_user_sgpr_queue_ptr 0
		.amdhsa_user_sgpr_kernarg_segment_ptr 1
		.amdhsa_user_sgpr_dispatch_id 0
		.amdhsa_user_sgpr_flat_scratch_init 0
		.amdhsa_user_sgpr_private_segment_size 0
		.amdhsa_wavefront_size32 1
		.amdhsa_uses_dynamic_stack 0
		.amdhsa_system_sgpr_private_segment_wavefront_offset 0
		.amdhsa_system_sgpr_workgroup_id_x 1
		.amdhsa_system_sgpr_workgroup_id_y 1
		.amdhsa_system_sgpr_workgroup_id_z 0
		.amdhsa_system_sgpr_workgroup_info 0
		.amdhsa_system_vgpr_workitem_id 1
		.amdhsa_next_free_vgpr 58
		.amdhsa_next_free_sgpr 28
		.amdhsa_reserve_vcc 1
		.amdhsa_reserve_flat_scratch 0
		.amdhsa_float_round_mode_32 0
		.amdhsa_float_round_mode_16_64 0
		.amdhsa_float_denorm_mode_32 3
		.amdhsa_float_denorm_mode_16_64 3
		.amdhsa_dx10_clamp 1
		.amdhsa_ieee_mode 1
		.amdhsa_fp16_overflow 0
		.amdhsa_workgroup_processor_mode 1
		.amdhsa_memory_ordered 1
		.amdhsa_forward_progress 1
		.amdhsa_shared_vgpr_count 0
		.amdhsa_exception_fp_ieee_invalid_op 0
		.amdhsa_exception_fp_denorm_src 0
		.amdhsa_exception_fp_ieee_div_zero 0
		.amdhsa_exception_fp_ieee_overflow 0
		.amdhsa_exception_fp_ieee_underflow 0
		.amdhsa_exception_fp_ieee_inexact 0
		.amdhsa_exception_int_div_zero 0
	.end_amdhsa_kernel
	.section	.text._ZL17mul_mat_vec_q_moeIL9ggml_type29ELi2EEvPKvS2_PKiPfj15HIP_vector_typeIjLj3EEjjjjjjjjj,"axG",@progbits,_ZL17mul_mat_vec_q_moeIL9ggml_type29ELi2EEvPKvS2_PKiPfj15HIP_vector_typeIjLj3EEjjjjjjjjj,comdat
.Lfunc_end216:
	.size	_ZL17mul_mat_vec_q_moeIL9ggml_type29ELi2EEvPKvS2_PKiPfj15HIP_vector_typeIjLj3EEjjjjjjjjj, .Lfunc_end216-_ZL17mul_mat_vec_q_moeIL9ggml_type29ELi2EEvPKvS2_PKiPfj15HIP_vector_typeIjLj3EEjjjjjjjjj
                                        ; -- End function
	.set _ZL17mul_mat_vec_q_moeIL9ggml_type29ELi2EEvPKvS2_PKiPfj15HIP_vector_typeIjLj3EEjjjjjjjjj.num_vgpr, 58
	.set _ZL17mul_mat_vec_q_moeIL9ggml_type29ELi2EEvPKvS2_PKiPfj15HIP_vector_typeIjLj3EEjjjjjjjjj.num_agpr, 0
	.set _ZL17mul_mat_vec_q_moeIL9ggml_type29ELi2EEvPKvS2_PKiPfj15HIP_vector_typeIjLj3EEjjjjjjjjj.numbered_sgpr, 28
	.set _ZL17mul_mat_vec_q_moeIL9ggml_type29ELi2EEvPKvS2_PKiPfj15HIP_vector_typeIjLj3EEjjjjjjjjj.num_named_barrier, 0
	.set _ZL17mul_mat_vec_q_moeIL9ggml_type29ELi2EEvPKvS2_PKiPfj15HIP_vector_typeIjLj3EEjjjjjjjjj.private_seg_size, 0
	.set _ZL17mul_mat_vec_q_moeIL9ggml_type29ELi2EEvPKvS2_PKiPfj15HIP_vector_typeIjLj3EEjjjjjjjjj.uses_vcc, 1
	.set _ZL17mul_mat_vec_q_moeIL9ggml_type29ELi2EEvPKvS2_PKiPfj15HIP_vector_typeIjLj3EEjjjjjjjjj.uses_flat_scratch, 0
	.set _ZL17mul_mat_vec_q_moeIL9ggml_type29ELi2EEvPKvS2_PKiPfj15HIP_vector_typeIjLj3EEjjjjjjjjj.has_dyn_sized_stack, 0
	.set _ZL17mul_mat_vec_q_moeIL9ggml_type29ELi2EEvPKvS2_PKiPfj15HIP_vector_typeIjLj3EEjjjjjjjjj.has_recursion, 0
	.set _ZL17mul_mat_vec_q_moeIL9ggml_type29ELi2EEvPKvS2_PKiPfj15HIP_vector_typeIjLj3EEjjjjjjjjj.has_indirect_call, 0
	.section	.AMDGPU.csdata,"",@progbits
; Kernel info:
; codeLenInByte = 2184
; TotalNumSgprs: 30
; NumVgprs: 58
; ScratchSize: 0
; MemoryBound: 0
; FloatMode: 240
; IeeeMode: 1
; LDSByteSize: 0 bytes/workgroup (compile time only)
; SGPRBlocks: 0
; VGPRBlocks: 7
; NumSGPRsForWavesPerEU: 30
; NumVGPRsForWavesPerEU: 58
; Occupancy: 16
; WaveLimiterHint : 1
; COMPUTE_PGM_RSRC2:SCRATCH_EN: 0
; COMPUTE_PGM_RSRC2:USER_SGPR: 6
; COMPUTE_PGM_RSRC2:TRAP_HANDLER: 0
; COMPUTE_PGM_RSRC2:TGID_X_EN: 1
; COMPUTE_PGM_RSRC2:TGID_Y_EN: 1
; COMPUTE_PGM_RSRC2:TGID_Z_EN: 0
; COMPUTE_PGM_RSRC2:TIDIG_COMP_CNT: 1
	.section	.text._ZL13mul_mat_vec_qIL9ggml_type29ELi1ELb1ELb1EEvPKvS2_PKi31ggml_cuda_mm_fusion_args_devicePfj15HIP_vector_typeIjLj3EEjjjS8_jjjS8_jjjj,"axG",@progbits,_ZL13mul_mat_vec_qIL9ggml_type29ELi1ELb1ELb1EEvPKvS2_PKi31ggml_cuda_mm_fusion_args_devicePfj15HIP_vector_typeIjLj3EEjjjS8_jjjS8_jjjj,comdat
	.globl	_ZL13mul_mat_vec_qIL9ggml_type29ELi1ELb1ELb1EEvPKvS2_PKi31ggml_cuda_mm_fusion_args_devicePfj15HIP_vector_typeIjLj3EEjjjS8_jjjS8_jjjj ; -- Begin function _ZL13mul_mat_vec_qIL9ggml_type29ELi1ELb1ELb1EEvPKvS2_PKi31ggml_cuda_mm_fusion_args_devicePfj15HIP_vector_typeIjLj3EEjjjS8_jjjS8_jjjj
	.p2align	8
	.type	_ZL13mul_mat_vec_qIL9ggml_type29ELi1ELb1ELb1EEvPKvS2_PKi31ggml_cuda_mm_fusion_args_devicePfj15HIP_vector_typeIjLj3EEjjjS8_jjjS8_jjjj,@function
_ZL13mul_mat_vec_qIL9ggml_type29ELi1ELb1ELb1EEvPKvS2_PKi31ggml_cuda_mm_fusion_args_devicePfj15HIP_vector_typeIjLj3EEjjjS8_jjjS8_jjjj: ; @_ZL13mul_mat_vec_qIL9ggml_type29ELi1ELb1ELb1EEvPKvS2_PKi31ggml_cuda_mm_fusion_args_devicePfj15HIP_vector_typeIjLj3EEjjjS8_jjjS8_jjjj
; %bb.0:
	s_clause 0x3
	s_load_dwordx8 s[12:19], s[4:5], 0x0
	s_load_dwordx4 s[28:31], s[4:5], 0x20
	s_load_dwordx4 s[36:39], s[4:5], 0x40
	s_load_dwordx4 s[20:23], s[4:5], 0x68
	s_mov_b32 s10, s7
	s_waitcnt lgkmcnt(0)
	s_cmp_lg_u64 s[16:17], 0
	s_cselect_b32 s0, -1, 0
	s_cmp_eq_u64 s[16:17], 0
	s_cbranch_scc1 .LBB217_5
; %bb.1:
	s_mov_b32 s11, 0
	s_lshl_b64 s[2:3], s[10:11], 2
	s_add_u32 s2, s16, s2
	s_addc_u32 s3, s17, s3
	s_load_dword s34, s[2:3], 0x0
	s_clause 0x1
	s_load_dword s35, s[4:5], 0x50
	s_load_dword s33, s[4:5], 0x78
	s_cbranch_execnz .LBB217_3
.LBB217_2:
	s_load_dwordx2 s[2:3], s[4:5], 0x5c
	s_waitcnt lgkmcnt(0)
	s_mul_hi_u32 s1, s2, s10
	s_add_i32 s1, s10, s1
	s_lshr_b32 s34, s1, s3
.LBB217_3:
	s_andn2_b32 vcc_lo, exec_lo, s0
	s_cbranch_vccnz .LBB217_6
; %bb.4:
	s_mul_hi_u32 s0, s37, s10
	s_waitcnt lgkmcnt(0)
	s_mov_b32 s1, s34
	s_add_i32 s0, s10, s0
	s_lshr_b32 s0, s0, s38
	s_mul_i32 s0, s0, s39
	s_sub_i32 s37, s10, s0
	s_branch .LBB217_7
.LBB217_5:
                                        ; implicit-def: $sgpr34
	s_clause 0x1
	s_load_dword s35, s[4:5], 0x50
	s_load_dword s33, s[4:5], 0x78
	s_branch .LBB217_2
.LBB217_6:
	s_mov_b32 s1, s10
	s_mov_b32 s37, s10
.LBB217_7:
	s_load_dwordx4 s[24:27], s[4:5], 0x80
	v_or_b32_e32 v2, v0, v1
	s_cmp_lg_u64 s[18:19], 0
	v_mov_b32_e32 v14, 0
	v_mov_b32_e32 v15, 0
	s_cselect_b32 s0, -1, 0
	v_cmp_eq_u32_e32 vcc_lo, 0, v2
	s_mov_b32 s17, 0
	s_mul_i32 s2, s1, s22
	s_and_b32 s3, s0, vcc_lo
	s_and_saveexec_b32 s1, s3
	s_cbranch_execz .LBB217_9
; %bb.8:
	s_waitcnt lgkmcnt(0)
	s_mul_i32 s16, s26, s8
	s_mov_b32 s3, s17
	s_lshl_b64 s[38:39], s[16:17], 2
	v_lshlrev_b32_e32 v2, 2, v0
	s_add_u32 s7, s18, s38
	s_addc_u32 s9, s19, s39
	s_lshl_b64 s[16:17], s[2:3], 2
	s_add_u32 s3, s7, s16
	s_addc_u32 s9, s9, s17
	s_ashr_i32 s7, s6, 31
	s_lshl_b64 s[16:17], s[6:7], 2
	s_add_u32 s16, s3, s16
	s_addc_u32 s17, s9, s17
	global_load_dword v15, v2, s[16:17]
.LBB217_9:
	s_or_b32 exec_lo, exec_lo, s1
	s_cmp_lg_u64 s[28:29], 0
	s_cselect_b32 s9, -1, 0
	s_cmp_lg_u64 s[30:31], 0
	s_cselect_b32 s1, -1, 0
	s_and_b32 s3, s1, s9
	s_and_b32 s3, s3, vcc_lo
	s_and_saveexec_b32 s11, s3
	s_cbranch_execz .LBB217_11
; %bb.10:
	s_waitcnt lgkmcnt(0)
	s_mul_i32 s16, s26, s8
	s_mov_b32 s17, 0
	v_lshlrev_b32_e32 v2, 2, v0
	s_lshl_b64 s[18:19], s[16:17], 2
	s_mov_b32 s3, s17
	s_add_u32 s7, s30, s18
	s_addc_u32 s16, s31, s19
	s_lshl_b64 s[2:3], s[2:3], 2
	s_add_u32 s17, s7, s2
	s_addc_u32 s16, s16, s3
	s_ashr_i32 s7, s6, 31
	s_lshl_b64 s[2:3], s[6:7], 2
	s_add_u32 s2, s17, s2
	s_addc_u32 s3, s16, s3
	global_load_dword v14, v2, s[2:3]
.LBB217_11:
	s_or_b32 exec_lo, exec_lo, s11
	v_lshl_or_b32 v2, v1, 5, v0
	v_mov_b32_e32 v18, 0
	v_cndmask_b32_e64 v16, 0, 1, s9
	v_mov_b32_e32 v17, 0
	s_lshr_b32 s7, s36, 8
	v_lshrrev_b32_e32 v19, 3, v2
	s_mov_b32 s11, exec_lo
	v_cmpx_gt_u32_e64 s7, v19
	s_cbranch_execz .LBB217_17
; %bb.12:
	v_lshrrev_b32_e32 v2, 3, v2
	s_mul_i32 s2, s37, s21
	s_waitcnt lgkmcnt(0)
	s_mul_i32 s16, s25, s8
	s_mul_hi_u32 s3, s2, 36
	s_mul_i32 s2, s2, 36
	v_and_b32_e32 v4, 7, v0
	v_mad_u64_u32 v[2:3], null, 0x120, v2, s[2:3]
	v_and_b32_e32 v6, 1, v0
	s_mul_hi_u32 s2, s23, s8
	v_bfe_u32 v5, v0, 1, 2
	s_add_i32 s2, s8, s2
	s_mul_i32 s35, s35, s6
	v_cmp_eq_u32_e32 vcc_lo, 1, v6
	v_mad_u64_u32 v[2:3], null, s16, 36, v[2:3]
	s_lshr_b32 s2, s2, s33
	v_mov_b32_e32 v18, 0
	v_cndmask_b32_e64 v21, 0, 6, vcc_lo
	s_mul_i32 s2, s2, s24
	v_lshlrev_b32_e32 v20, 1, v4
	v_lshlrev_b32_e32 v22, 2, v4
	v_mad_u64_u32 v[2:3], null, v4, 36, v[2:3]
	v_lshlrev_b32_e32 v23, 1, v5
	v_mov_b32_e32 v24, 0xffff
	v_mov_b32_e32 v25, 0xf0
	;; [unrolled: 1-line block ×4, first 2 shown]
	s_mul_i32 s3, s34, s20
	v_add_co_u32 v2, vcc_lo, s14, v2
	v_add_co_ci_u32_e64 v3, null, s15, v3, vcc_lo
	s_add_i32 s2, s2, s35
	v_add_co_u32 v10, vcc_lo, v2, 32
	v_add_co_ci_u32_e64 v11, null, 0, v3, vcc_lo
	s_add_i32 s15, s3, s2
	s_mov_b32 s14, 0
	s_mov_b32 s16, 0xbd000000
	s_branch .LBB217_14
.LBB217_13:                             ;   in Loop: Header=BB217_14 Depth=1
	s_waitcnt vmcnt(3)
	v_and_b32_e32 v40, 0xf0f0f0f, v38
	v_lshrrev_b32_e32 v38, 4, v38
	v_mov_b32_e32 v42, 0
	v_pk_lshrrev_b16 v12, 0x8000c, v12
	v_pk_lshrrev_b16 v13, 4, v13
	v_bfe_u32 v39, v28, 4, 4
	v_and_b32_e32 v38, 0xf0f0f0f, v38
	v_dot4c_i32_i8 v42, v40, v7
	v_and_b32_sdwa v41, v12, v25 dst_sel:DWORD dst_unused:UNUSED_PAD src0_sel:WORD_1 src1_sel:DWORD
	s_waitcnt vmcnt(2)
	v_and_b32_e32 v7, 0xf0f0f0f, v36
	v_lshrrev_b32_e32 v36, 4, v36
	v_and_b32_e32 v13, 0xf0000f00, v13
	v_dot4c_i32_i8 v42, v38, v8
	v_or_b32_e32 v12, v41, v12
	s_waitcnt vmcnt(1)
	v_and_b32_e32 v40, 0xf0f0f0f, v35
	v_lshrrev_b32_e32 v8, 4, v35
	v_mov_b32_e32 v35, 0
	v_and_b32_e32 v36, 0xf0f0f0f, v36
	v_dot4c_i32_i8 v42, v7, v9
	v_or_b32_e32 v12, v12, v13
	v_and_b32_e32 v7, 0xf0f0f0f, v8
	v_dot4c_i32_i8 v35, v40, v3
	v_and_b32_e32 v8, 8, v28
	v_dot4c_i32_i8 v42, v36, v2
	v_and_b32_sdwa v2, v28, v26 dst_sel:DWORD dst_unused:UNUSED_PAD src0_sel:BYTE_1 src1_sel:DWORD
	v_lshrrev_b32_sdwa v37, v21, v37 dst_sel:DWORD dst_unused:UNUSED_PAD src0_sel:DWORD src1_sel:WORD_0
	v_or_b32_sdwa v12, v12, v13 dst_sel:DWORD dst_unused:UNUSED_PAD src0_sel:DWORD src1_sel:WORD_1
	v_dot4c_i32_i8 v35, v7, v4
	v_cvt_f32_ubyte0_e32 v4, v8
	s_waitcnt vmcnt(0)
	v_lshrrev_b32_e32 v7, 4, v34
	v_and_b32_e32 v8, 0xf0f0f0f, v34
	v_and_b32_e32 v13, 8, v29
	v_cvt_f32_ubyte0_e32 v2, v2
	v_and_b32_e32 v28, 8, v39
	v_lshrrev_b32_e32 v9, 2, v37
	v_and_b32_e32 v7, 0xf0f0f0f, v7
	v_dot4c_i32_i8 v35, v8, v5
	v_cvt_f32_ubyte0_e32 v5, v13
	v_fmaak_f32 v2, s16, v2, 0xbf600000
	v_cvt_f32_ubyte0_e32 v8, v28
	v_lshlrev_b32_e32 v3, 1, v37
	v_fmaak_f32 v4, s16, v4, 0xbf600000
	v_dot4c_i32_i8 v35, v7, v27
	v_fmaak_f32 v5, s16, v5, 0xbf600000
	v_fma_f32 v2, v2, v33, 0
	v_fmaak_f32 v7, s16, v8, 0xbf600000
	v_and_b32_e32 v8, 14, v9
	v_fma_f32 v4, v4, v31, 0
	v_and_b32_e32 v3, 14, v3
	v_fmac_f32_e32 v2, v5, v32
	v_cvt_f32_i32_e32 v5, v35
	v_or_b32_e32 v8, 1, v8
	v_fmac_f32_e32 v4, v7, v30
	v_or_b32_e32 v3, 1, v3
	v_cvt_f32_i32_e32 v7, v42
	v_add_f32_e32 v2, v2, v5
	v_cvt_f32_ubyte0_e32 v5, v8
	v_cvt_f32_f16_e32 v8, v12
	v_cvt_f32_ubyte0_e32 v3, v3
	v_add_f32_e32 v4, v4, v7
	v_add_nc_u32_e32 v19, 4, v19
	v_mul_f32_e32 v2, v2, v5
	v_mul_f32_e32 v5, v6, v8
	v_add_co_u32 v10, s2, 0x480, v10
	v_cmp_le_u32_e32 vcc_lo, s7, v19
	v_fmac_f32_e32 v2, v4, v3
	v_add_co_ci_u32_e64 v11, null, 0, v11, s2
	s_or_b32 s14, vcc_lo, s14
	v_fmac_f32_e32 v18, v5, v2
	s_andn2_b32 exec_lo, exec_lo, s14
	s_cbranch_execz .LBB217_16
.LBB217_14:                             ; =>This Inner Loop Header: Depth=1
	v_add_nc_u32_e32 v39, s15, v19
	s_getpc_b64 s[2:3]
	s_add_u32 s2, s2, _ZL13iq1s_grid_gpu@rel32@lo+4
	s_addc_u32 s3, s3, _ZL13iq1s_grid_gpu@rel32@hi+12
	v_mov_b32_e32 v40, 0
	v_mad_i64_i32 v[30:31], null, v39, 56, s[12:13]
	v_add_co_u32 v2, vcc_lo, v30, v20
	v_add_co_ci_u32_e64 v3, null, 0, v31, vcc_lo
	v_add_co_u32 v4, vcc_lo, v30, v22
	v_add_co_ci_u32_e64 v5, null, 0, v31, vcc_lo
	s_clause 0x1
	global_load_ushort v28, v[2:3], off offset:32
	global_load_dword v32, v[4:5], off
	s_clause 0x2
	global_load_dword v27, v[10:11], off
	global_load_dwordx4 v[6:9], v[10:11], off offset:-32
	global_load_dwordx4 v[2:5], v[10:11], off offset:-16
	global_load_dwordx2 v[12:13], v[30:31], off offset:48
	v_add_co_u32 v30, vcc_lo, v30, v23
	v_add_co_ci_u32_e64 v31, null, 0, v31, vcc_lo
	s_andn2_b32 vcc_lo, exec_lo, s9
	s_waitcnt vmcnt(5)
	v_and_b32_sdwa v33, v24, v28 dst_sel:DWORD dst_unused:UNUSED_PAD src0_sel:DWORD src1_sel:BYTE_1
	s_waitcnt vmcnt(4)
	v_and_b32_e32 v34, 0xff, v32
	v_lshlrev_b32_e32 v35, 8, v28
	v_bfe_u32 v36, v32, 8, 8
	v_lshlrev_b32_e32 v38, 4, v28
	v_lshrrev_b32_e32 v29, 4, v33
	v_bfe_u32 v37, v32, 16, 8
	v_lshlrev_b32_e32 v33, 8, v33
	v_and_or_b32 v34, 0x700, v35, v34
	v_and_or_b32 v35, 0x700, v38, v36
	v_alignbit_b32 v32, v29, v32, 24
	s_waitcnt vmcnt(2)
	v_dot4c_i32_i8 v40, 0x1010101, v9
	v_and_or_b32 v33, 0x700, v33, v37
	v_lshlrev_b32_e32 v34, 2, v34
	v_lshlrev_b32_e32 v35, 2, v35
	v_and_b32_e32 v32, 0x7ff, v32
	s_waitcnt vmcnt(1)
	v_dot4c_i32_i8 v40, 0x1010101, v2
	v_lshlrev_b32_e32 v33, 2, v33
	v_cvt_f32_f16_e32 v6, v6
	v_lshlrev_b32_e32 v32, 2, v32
	global_load_ushort v37, v[30:31], off offset:48
	s_clause 0x3
	global_load_dword v38, v34, s[2:3]
	global_load_dword v36, v35, s[2:3]
	;; [unrolled: 1-line block ×4, first 2 shown]
	v_mov_b32_e32 v30, 0
	v_mov_b32_e32 v31, 0
	;; [unrolled: 1-line block ×3, first 2 shown]
	v_dot4c_i32_i8 v30, 0x1010101, v3
	v_dot4c_i32_i8 v31, 0x1010101, v7
	v_dot4c_i32_i8 v32, 0x1010101, v5
	v_dot4c_i32_i8 v30, 0x1010101, v4
	v_dot4c_i32_i8 v31, 0x1010101, v8
	v_dot4c_i32_i8 v32, 0x1010101, v27
	v_cvt_f32_i32_e32 v33, v30
	v_cvt_f32_i32_e32 v31, v31
	;; [unrolled: 1-line block ×4, first 2 shown]
	s_cbranch_vccnz .LBB217_13
; %bb.15:                               ;   in Loop: Header=BB217_14 Depth=1
	v_mad_i64_i32 v[39:40], null, v39, 56, s[28:29]
	v_mov_b32_e32 v49, 0
	v_add_co_u32 v41, vcc_lo, v39, v20
	v_add_co_ci_u32_e64 v42, null, 0, v40, vcc_lo
	v_add_co_u32 v43, vcc_lo, v39, v22
	v_add_co_ci_u32_e64 v44, null, 0, v40, vcc_lo
	s_clause 0x2
	global_load_ushort v45, v[41:42], off offset:32
	global_load_dword v43, v[43:44], off
	global_load_dwordx2 v[41:42], v[39:40], off offset:48
	v_add_co_u32 v39, vcc_lo, v39, v23
	v_add_co_ci_u32_e64 v40, null, 0, v40, vcc_lo
	global_load_ushort v39, v[39:40], off offset:48
	s_waitcnt vmcnt(3)
	v_and_b32_sdwa v44, v24, v45 dst_sel:DWORD dst_unused:UNUSED_PAD src0_sel:DWORD src1_sel:BYTE_1
	s_waitcnt vmcnt(2)
	v_bfe_u32 v40, v43, 16, 8
	v_and_b32_e32 v47, 0xff, v43
	v_lshlrev_b32_e32 v48, 8, v45
	s_waitcnt vmcnt(1)
	v_pk_lshrrev_b16 v41, 0x8000c, v41
	v_lshlrev_b32_e32 v46, 8, v44
	v_lshrrev_b32_e32 v44, 4, v44
	v_pk_lshrrev_b16 v42, 4, v42
	v_and_b32_sdwa v51, v45, v26 dst_sel:DWORD dst_unused:UNUSED_PAD src0_sel:BYTE_1 src1_sel:DWORD
	v_and_b32_sdwa v50, v41, v25 dst_sel:DWORD dst_unused:UNUSED_PAD src0_sel:WORD_1 src1_sel:DWORD
	v_and_or_b32 v40, 0x700, v46, v40
	v_and_or_b32 v46, 0x700, v48, v47
	v_bfe_u32 v47, v43, 8, 8
	v_alignbit_b32 v43, v44, v43, 24
	v_lshlrev_b32_e32 v48, 4, v45
	v_lshlrev_b32_e32 v40, 2, v40
	;; [unrolled: 1-line block ×3, first 2 shown]
	v_and_b32_e32 v42, 0xf0000f00, v42
	v_and_b32_e32 v43, 0x7ff, v43
	v_and_or_b32 v47, 0x700, v48, v47
	s_clause 0x1
	global_load_dword v40, v40, s[2:3]
	global_load_dword v46, v46, s[2:3]
	v_or_b32_e32 v41, v50, v41
	v_lshlrev_b32_e32 v43, 2, v43
	v_lshlrev_b32_e32 v47, 2, v47
	s_clause 0x1
	global_load_dword v43, v43, s[2:3]
	global_load_dword v47, v47, s[2:3]
	v_or_b32_e32 v41, v41, v42
	v_mov_b32_e32 v48, 0
	s_waitcnt vmcnt(4)
	v_lshrrev_b32_e32 v39, v21, v39
	v_and_b32_e32 v52, 8, v45
	v_bfe_u32 v45, v45, 4, 4
	v_or_b32_sdwa v41, v41, v42 dst_sel:DWORD dst_unused:UNUSED_PAD src0_sel:DWORD src1_sel:WORD_1
	v_cvt_f32_ubyte0_e32 v51, v51
	v_and_b32_e32 v44, 8, v44
	v_lshlrev_b32_e32 v50, 1, v39
	v_cvt_f32_ubyte0_e32 v52, v52
	v_lshrrev_b32_e32 v39, 2, v39
	v_and_b32_e32 v45, 8, v45
	v_fmaak_f32 v51, s16, v51, 0xbf600000
	v_cvt_f32_ubyte0_e32 v44, v44
	v_fmaak_f32 v52, s16, v52, 0xbf600000
	v_and_b32_e32 v39, 14, v39
	v_cvt_f32_ubyte0_e32 v45, v45
	v_and_b32_e32 v50, 14, v50
	v_fmaak_f32 v44, s16, v44, 0xbf600000
	v_cvt_f32_f16_e32 v41, v41
	v_or_b32_e32 v39, 1, v39
	v_mul_f32_e32 v41, v6, v41
	v_cvt_f32_ubyte0_e32 v39, v39
	s_waitcnt vmcnt(3)
	v_lshrrev_b32_e32 v42, 4, v40
	v_and_b32_e32 v40, 0xf0f0f0f, v40
	s_waitcnt vmcnt(2)
	v_lshrrev_b32_e32 v53, 4, v46
	v_and_b32_e32 v46, 0xf0f0f0f, v46
	v_and_b32_e32 v42, 0xf0f0f0f, v42
	v_dot4c_i32_i8 v49, v40, v3
	v_and_b32_e32 v40, 0xf0f0f0f, v53
	v_dot4c_i32_i8 v48, v46, v7
	s_waitcnt vmcnt(1)
	v_and_b32_e32 v46, 0xf0f0f0f, v43
	v_lshrrev_b32_e32 v43, 4, v43
	v_dot4c_i32_i8 v49, v42, v4
	s_waitcnt vmcnt(0)
	v_and_b32_e32 v42, 0xf0f0f0f, v47
	v_lshrrev_b32_e32 v47, 4, v47
	v_dot4c_i32_i8 v48, v40, v8
	v_and_b32_e32 v40, 0xf0f0f0f, v43
	v_dot4c_i32_i8 v49, v46, v5
	v_fma_f32 v43, v51, v33, 0
	v_and_b32_e32 v46, 0xf0f0f0f, v47
	v_dot4c_i32_i8 v48, v42, v9
	v_fmaak_f32 v42, s16, v45, 0xbf600000
	v_dot4c_i32_i8 v49, v40, v27
	v_fma_f32 v40, v52, v31, 0
	v_fmac_f32_e32 v43, v44, v32
	v_dot4c_i32_i8 v48, v46, v2
	v_or_b32_e32 v45, 1, v50
	v_cvt_f32_i32_e32 v44, v49
	v_fmac_f32_e32 v40, v42, v30
	v_cvt_f32_i32_e32 v42, v48
	v_add_f32_e32 v43, v43, v44
	v_add_f32_e32 v40, v40, v42
	v_cvt_f32_ubyte0_e32 v42, v45
	v_mul_f32_e32 v39, v43, v39
	v_fmac_f32_e32 v39, v40, v42
	v_fmac_f32_e32 v17, v41, v39
	s_branch .LBB217_13
.LBB217_16:
	s_or_b32 exec_lo, exec_lo, s14
.LBB217_17:
	s_or_b32 exec_lo, exec_lo, s11
	s_load_dword s2, s[4:5], 0x30
	s_waitcnt vmcnt(0) lgkmcnt(0)
	; wave barrier
	buffer_gl0_inv
	s_mov_b32 s3, exec_lo
	v_cmpx_eq_u32_e32 0, v1
	s_cbranch_execz .LBB217_44
; %bb.18:
	v_mbcnt_lo_u32_b32 v2, -1, 0
	v_xor_b32_e32 v1, 16, v2
	v_xor_b32_e32 v4, 8, v2
	;; [unrolled: 1-line block ×3, first 2 shown]
	v_cmp_gt_i32_e32 vcc_lo, 32, v1
	v_cndmask_b32_e32 v1, v2, v1, vcc_lo
	v_cmp_gt_i32_e32 vcc_lo, 32, v4
	v_lshlrev_b32_e32 v1, 2, v1
	v_cndmask_b32_e32 v4, v2, v4, vcc_lo
	v_cmp_gt_i32_e32 vcc_lo, 32, v5
	ds_bpermute_b32 v3, v1, v18
	v_lshlrev_b32_e32 v4, 2, v4
	v_cndmask_b32_e32 v5, v2, v5, vcc_lo
	v_lshlrev_b32_e32 v5, 2, v5
	s_waitcnt lgkmcnt(0)
	v_add_f32_e32 v3, v18, v3
	ds_bpermute_b32 v6, v4, v3
	s_waitcnt lgkmcnt(0)
	v_add_f32_e32 v3, v3, v6
	v_xor_b32_e32 v6, 2, v2
	ds_bpermute_b32 v7, v5, v3
	v_cmp_gt_i32_e32 vcc_lo, 32, v6
	v_cndmask_b32_e32 v6, v2, v6, vcc_lo
	v_lshlrev_b32_e32 v6, 2, v6
	s_waitcnt lgkmcnt(0)
	v_add_f32_e32 v3, v3, v7
	v_xor_b32_e32 v7, 1, v2
	ds_bpermute_b32 v8, v6, v3
	v_cmp_gt_i32_e32 vcc_lo, 32, v7
	v_cndmask_b32_e32 v2, v2, v7, vcc_lo
	v_cmp_ne_u32_e32 vcc_lo, 1, v16
	v_lshlrev_b32_e32 v7, 2, v2
	s_waitcnt lgkmcnt(0)
	v_add_f32_e32 v2, v3, v8
	ds_bpermute_b32 v3, v7, v2
	s_cbranch_vccnz .LBB217_20
; %bb.19:
	ds_bpermute_b32 v1, v1, v17
	s_waitcnt lgkmcnt(0)
	v_add_f32_e32 v1, v17, v1
	ds_bpermute_b32 v4, v4, v1
	s_waitcnt lgkmcnt(0)
	v_add_f32_e32 v1, v1, v4
	ds_bpermute_b32 v4, v5, v1
	s_waitcnt lgkmcnt(0)
	v_add_f32_e32 v1, v1, v4
	ds_bpermute_b32 v4, v6, v1
	s_waitcnt lgkmcnt(0)
	v_add_f32_e32 v1, v1, v4
	ds_bpermute_b32 v4, v7, v1
	s_waitcnt lgkmcnt(0)
	v_add_f32_e32 v17, v1, v4
.LBB217_20:
	v_cmp_eq_u32_e32 vcc_lo, 0, v0
	s_and_b32 exec_lo, exec_lo, vcc_lo
	s_cbranch_execz .LBB217_44
; %bb.21:
	s_waitcnt lgkmcnt(0)
	v_add_f32_e32 v1, v2, v3
	v_cmp_ne_u32_e32 vcc_lo, 1, v16
	v_add_f32_e32 v2, v15, v1
	v_cndmask_b32_e64 v1, v1, v2, s0
	s_cbranch_vccnz .LBB217_43
; %bb.22:
	v_add_f32_e32 v2, v14, v17
	s_cmp_lt_i32 s2, 2
	s_mov_b32 s0, 0
	v_cndmask_b32_e64 v2, v17, v2, s1
	s_cbranch_scc1 .LBB217_26
; %bb.23:
	s_cmp_gt_i32 s2, 2
	s_cbranch_scc0 .LBB217_27
; %bb.24:
	s_cmp_eq_u32 s2, 3
	s_cbranch_scc0 .LBB217_28
; %bb.25:
	v_max_f32_e32 v3, v2, v2
	s_mov_b32 s1, 0
	v_min_f32_e32 v3, 0x40e00000, v3
	v_mul_f32_e32 v4, 0xbfd9db23, v3
	v_mul_f32_e32 v5, 0x3fb8aa3b, v4
	v_cmp_ngt_f32_e32 vcc_lo, 0xc2ce8ed0, v4
	v_fma_f32 v6, 0x3fb8aa3b, v4, -v5
	v_rndne_f32_e32 v7, v5
	v_fmamk_f32 v6, v4, 0x32a5705f, v6
	v_sub_f32_e32 v5, v5, v7
	v_add_f32_e32 v5, v5, v6
	v_cvt_i32_f32_e32 v6, v7
	v_exp_f32_e32 v5, v5
	v_ldexp_f32 v5, v5, v6
	v_cndmask_b32_e32 v5, 0, v5, vcc_lo
	v_cmp_nlt_f32_e32 vcc_lo, 0x42b17218, v4
	v_cndmask_b32_e32 v4, 0x7f800000, v5, vcc_lo
	v_add_f32_e32 v4, 1.0, v4
	v_div_scale_f32 v5, null, v4, v4, v3
	v_div_scale_f32 v8, vcc_lo, v3, v4, v3
	v_rcp_f32_e32 v6, v5
	v_fma_f32 v7, -v5, v6, 1.0
	v_fmac_f32_e32 v6, v7, v6
	v_mul_f32_e32 v7, v8, v6
	v_fma_f32 v9, -v5, v7, v8
	v_fmac_f32_e32 v7, v9, v6
	v_max_f32_e32 v9, v1, v1
	v_fma_f32 v5, -v5, v7, v8
	v_min_f32_e32 v8, 0x40e00000, v9
	v_div_fmas_f32 v5, v5, v6, v7
	v_max_f32_e32 v6, 0xc0e00000, v8
	v_div_fixup_f32 v3, v5, v4, v3
	v_add_f32_e32 v4, 1.0, v6
	v_mul_f32_e32 v3, v4, v3
	s_branch .LBB217_29
.LBB217_26:
	s_mov_b32 s1, 0
                                        ; implicit-def: $vgpr3
	s_cbranch_execnz .LBB217_33
	s_branch .LBB217_34
.LBB217_27:
	s_mov_b32 s3, -1
	s_mov_b32 s1, 0
                                        ; implicit-def: $vgpr3
	s_branch .LBB217_30
.LBB217_28:
	s_mov_b32 s1, -1
                                        ; implicit-def: $vgpr3
.LBB217_29:
	s_mov_b32 s3, 0
.LBB217_30:
	s_and_b32 vcc_lo, exec_lo, s3
	s_cbranch_vccz .LBB217_32
; %bb.31:
	v_mul_f32_e32 v3, 0xbfb8aa3b, v2
	v_cmp_nlt_f32_e32 vcc_lo, 0x42ce8ed0, v2
	v_rndne_f32_e32 v4, v3
	v_fma_f32 v5, 0xbfb8aa3b, v2, -v3
	v_sub_f32_e32 v3, v3, v4
	v_fmamk_f32 v5, v2, 0xb2a5705f, v5
	v_cvt_i32_f32_e32 v4, v4
	v_add_f32_e32 v3, v3, v5
	v_exp_f32_e32 v3, v3
	v_ldexp_f32 v3, v3, v4
	v_cndmask_b32_e32 v3, 0, v3, vcc_lo
	v_cmp_ngt_f32_e32 vcc_lo, 0xc2b17218, v2
	v_cndmask_b32_e32 v3, 0x7f800000, v3, vcc_lo
	v_add_f32_e32 v3, 1.0, v3
	v_div_scale_f32 v4, null, v3, v3, v2
	v_rcp_f32_e32 v5, v4
	v_fma_f32 v6, -v4, v5, 1.0
	v_fmac_f32_e32 v5, v6, v5
	v_div_scale_f32 v6, vcc_lo, v2, v3, v2
	v_mul_f32_e32 v7, v6, v5
	v_fma_f32 v8, -v4, v7, v6
	v_fmac_f32_e32 v7, v8, v5
	v_fma_f32 v4, -v4, v7, v6
	v_div_fmas_f32 v4, v4, v5, v7
	v_div_fixup_f32 v3, v4, v3, v2
	v_mul_f32_e32 v3, v1, v3
.LBB217_32:
	s_branch .LBB217_34
.LBB217_33:
	s_cmp_lg_u32 s2, 1
	s_mov_b32 s0, -1
	s_cselect_b32 s1, -1, 0
.LBB217_34:
	s_andn2_b32 vcc_lo, exec_lo, s1
	s_cbranch_vccz .LBB217_36
; %bb.35:
	s_andn2_b32 vcc_lo, exec_lo, s0
	s_cbranch_vccz .LBB217_37
	s_branch .LBB217_42
.LBB217_36:
	v_mul_f32_e32 v3, v2, v1
	s_cbranch_execnz .LBB217_42
.LBB217_37:
	v_mul_f32_e32 v3, 0x3d372713, v2
	v_mul_f32_e32 v4, 0x3f4c422a, v2
	v_fma_f32 v3, v2, v3, 1.0
	v_mul_f32_e32 v3, v4, v3
                                        ; implicit-def: $vgpr4
	v_cmp_ngt_f32_e64 s0, 0x3f200000, |v3|
	s_and_saveexec_b32 s1, s0
	s_xor_b32 s0, exec_lo, s1
	s_cbranch_execz .LBB217_39
; %bb.38:
	v_add_f32_e64 v4, |v3|, |v3|
	v_mul_f32_e32 v5, 0x3fb8aa3b, v4
	v_cmp_ngt_f32_e32 vcc_lo, 0xc2ce8ed0, v4
	v_rndne_f32_e32 v6, v5
	v_fma_f32 v7, 0x3fb8aa3b, v4, -v5
	v_sub_f32_e32 v5, v5, v6
	v_fmamk_f32 v7, v4, 0x32a5705f, v7
	v_cvt_i32_f32_e32 v6, v6
	v_add_f32_e32 v5, v5, v7
	v_exp_f32_e32 v5, v5
	v_ldexp_f32 v5, v5, v6
	v_cndmask_b32_e32 v5, 0, v5, vcc_lo
	v_cmp_nlt_f32_e32 vcc_lo, 0x42b17218, v4
	v_cndmask_b32_e32 v4, 0x7f800000, v5, vcc_lo
	v_add_f32_e32 v4, 1.0, v4
	v_rcp_f32_e32 v4, v4
	v_fma_f32 v4, v4, -2.0, 1.0
.LBB217_39:
	s_andn2_saveexec_b32 s0, s0
	s_cbranch_execz .LBB217_41
; %bb.40:
	v_mul_f32_e32 v4, v3, v3
	s_mov_b32 s1, 0xbbbac73d
	v_fmaak_f32 v5, s1, v4, 0x3ca908c9
	v_fmaak_f32 v5, v4, v5, 0xbd5c1c4e
	;; [unrolled: 1-line block ×4, first 2 shown]
	v_mul_f32_e64 v5, |v3|, v5
	v_fma_f32 v4, v4, v5, |v3|
.LBB217_41:
	s_or_b32 exec_lo, exec_lo, s0
	v_bfi_b32 v3, 0x7fffffff, v4, v3
	v_mul_f32_e32 v2, 0.5, v2
	v_add_f32_e32 v3, 1.0, v3
	v_mul_f32_e32 v2, v2, v3
	v_mul_f32_e32 v3, v1, v2
.LBB217_42:
	v_mov_b32_e32 v1, v3
.LBB217_43:
	s_load_dwordx2 s[0:1], s[4:5], 0x38
	s_mul_i32 s2, s22, s10
	s_mul_i32 s3, s26, s8
	s_add_i32 s2, s2, s6
	v_lshlrev_b32_e32 v0, 2, v0
	s_add_i32 s2, s2, s3
	s_mov_b32 s3, 0
	s_lshl_b64 s[2:3], s[2:3], 2
	s_waitcnt lgkmcnt(0)
	s_add_u32 s0, s0, s2
	s_addc_u32 s1, s1, s3
	global_store_dword v0, v1, s[0:1]
.LBB217_44:
	s_endpgm
	.section	.rodata,"a",@progbits
	.p2align	6, 0x0
	.amdhsa_kernel _ZL13mul_mat_vec_qIL9ggml_type29ELi1ELb1ELb1EEvPKvS2_PKi31ggml_cuda_mm_fusion_args_devicePfj15HIP_vector_typeIjLj3EEjjjS8_jjjS8_jjjj
		.amdhsa_group_segment_fixed_size 0
		.amdhsa_private_segment_fixed_size 0
		.amdhsa_kernarg_size 144
		.amdhsa_user_sgpr_count 6
		.amdhsa_user_sgpr_private_segment_buffer 1
		.amdhsa_user_sgpr_dispatch_ptr 0
		.amdhsa_user_sgpr_queue_ptr 0
		.amdhsa_user_sgpr_kernarg_segment_ptr 1
		.amdhsa_user_sgpr_dispatch_id 0
		.amdhsa_user_sgpr_flat_scratch_init 0
		.amdhsa_user_sgpr_private_segment_size 0
		.amdhsa_wavefront_size32 1
		.amdhsa_uses_dynamic_stack 0
		.amdhsa_system_sgpr_private_segment_wavefront_offset 0
		.amdhsa_system_sgpr_workgroup_id_x 1
		.amdhsa_system_sgpr_workgroup_id_y 1
		.amdhsa_system_sgpr_workgroup_id_z 1
		.amdhsa_system_sgpr_workgroup_info 0
		.amdhsa_system_vgpr_workitem_id 1
		.amdhsa_next_free_vgpr 54
		.amdhsa_next_free_sgpr 40
		.amdhsa_reserve_vcc 1
		.amdhsa_reserve_flat_scratch 0
		.amdhsa_float_round_mode_32 0
		.amdhsa_float_round_mode_16_64 0
		.amdhsa_float_denorm_mode_32 3
		.amdhsa_float_denorm_mode_16_64 3
		.amdhsa_dx10_clamp 1
		.amdhsa_ieee_mode 1
		.amdhsa_fp16_overflow 0
		.amdhsa_workgroup_processor_mode 1
		.amdhsa_memory_ordered 1
		.amdhsa_forward_progress 1
		.amdhsa_shared_vgpr_count 0
		.amdhsa_exception_fp_ieee_invalid_op 0
		.amdhsa_exception_fp_denorm_src 0
		.amdhsa_exception_fp_ieee_div_zero 0
		.amdhsa_exception_fp_ieee_overflow 0
		.amdhsa_exception_fp_ieee_underflow 0
		.amdhsa_exception_fp_ieee_inexact 0
		.amdhsa_exception_int_div_zero 0
	.end_amdhsa_kernel
	.section	.text._ZL13mul_mat_vec_qIL9ggml_type29ELi1ELb1ELb1EEvPKvS2_PKi31ggml_cuda_mm_fusion_args_devicePfj15HIP_vector_typeIjLj3EEjjjS8_jjjS8_jjjj,"axG",@progbits,_ZL13mul_mat_vec_qIL9ggml_type29ELi1ELb1ELb1EEvPKvS2_PKi31ggml_cuda_mm_fusion_args_devicePfj15HIP_vector_typeIjLj3EEjjjS8_jjjS8_jjjj,comdat
.Lfunc_end217:
	.size	_ZL13mul_mat_vec_qIL9ggml_type29ELi1ELb1ELb1EEvPKvS2_PKi31ggml_cuda_mm_fusion_args_devicePfj15HIP_vector_typeIjLj3EEjjjS8_jjjS8_jjjj, .Lfunc_end217-_ZL13mul_mat_vec_qIL9ggml_type29ELi1ELb1ELb1EEvPKvS2_PKi31ggml_cuda_mm_fusion_args_devicePfj15HIP_vector_typeIjLj3EEjjjS8_jjjS8_jjjj
                                        ; -- End function
	.set _ZL13mul_mat_vec_qIL9ggml_type29ELi1ELb1ELb1EEvPKvS2_PKi31ggml_cuda_mm_fusion_args_devicePfj15HIP_vector_typeIjLj3EEjjjS8_jjjS8_jjjj.num_vgpr, 54
	.set _ZL13mul_mat_vec_qIL9ggml_type29ELi1ELb1ELb1EEvPKvS2_PKi31ggml_cuda_mm_fusion_args_devicePfj15HIP_vector_typeIjLj3EEjjjS8_jjjS8_jjjj.num_agpr, 0
	.set _ZL13mul_mat_vec_qIL9ggml_type29ELi1ELb1ELb1EEvPKvS2_PKi31ggml_cuda_mm_fusion_args_devicePfj15HIP_vector_typeIjLj3EEjjjS8_jjjS8_jjjj.numbered_sgpr, 40
	.set _ZL13mul_mat_vec_qIL9ggml_type29ELi1ELb1ELb1EEvPKvS2_PKi31ggml_cuda_mm_fusion_args_devicePfj15HIP_vector_typeIjLj3EEjjjS8_jjjS8_jjjj.num_named_barrier, 0
	.set _ZL13mul_mat_vec_qIL9ggml_type29ELi1ELb1ELb1EEvPKvS2_PKi31ggml_cuda_mm_fusion_args_devicePfj15HIP_vector_typeIjLj3EEjjjS8_jjjS8_jjjj.private_seg_size, 0
	.set _ZL13mul_mat_vec_qIL9ggml_type29ELi1ELb1ELb1EEvPKvS2_PKi31ggml_cuda_mm_fusion_args_devicePfj15HIP_vector_typeIjLj3EEjjjS8_jjjS8_jjjj.uses_vcc, 1
	.set _ZL13mul_mat_vec_qIL9ggml_type29ELi1ELb1ELb1EEvPKvS2_PKi31ggml_cuda_mm_fusion_args_devicePfj15HIP_vector_typeIjLj3EEjjjS8_jjjS8_jjjj.uses_flat_scratch, 0
	.set _ZL13mul_mat_vec_qIL9ggml_type29ELi1ELb1ELb1EEvPKvS2_PKi31ggml_cuda_mm_fusion_args_devicePfj15HIP_vector_typeIjLj3EEjjjS8_jjjS8_jjjj.has_dyn_sized_stack, 0
	.set _ZL13mul_mat_vec_qIL9ggml_type29ELi1ELb1ELb1EEvPKvS2_PKi31ggml_cuda_mm_fusion_args_devicePfj15HIP_vector_typeIjLj3EEjjjS8_jjjS8_jjjj.has_recursion, 0
	.set _ZL13mul_mat_vec_qIL9ggml_type29ELi1ELb1ELb1EEvPKvS2_PKi31ggml_cuda_mm_fusion_args_devicePfj15HIP_vector_typeIjLj3EEjjjS8_jjjS8_jjjj.has_indirect_call, 0
	.section	.AMDGPU.csdata,"",@progbits
; Kernel info:
; codeLenInByte = 3284
; TotalNumSgprs: 42
; NumVgprs: 54
; ScratchSize: 0
; MemoryBound: 0
; FloatMode: 240
; IeeeMode: 1
; LDSByteSize: 0 bytes/workgroup (compile time only)
; SGPRBlocks: 0
; VGPRBlocks: 6
; NumSGPRsForWavesPerEU: 42
; NumVGPRsForWavesPerEU: 54
; Occupancy: 16
; WaveLimiterHint : 0
; COMPUTE_PGM_RSRC2:SCRATCH_EN: 0
; COMPUTE_PGM_RSRC2:USER_SGPR: 6
; COMPUTE_PGM_RSRC2:TRAP_HANDLER: 0
; COMPUTE_PGM_RSRC2:TGID_X_EN: 1
; COMPUTE_PGM_RSRC2:TGID_Y_EN: 1
; COMPUTE_PGM_RSRC2:TGID_Z_EN: 1
; COMPUTE_PGM_RSRC2:TIDIG_COMP_CNT: 1
	.section	.text._ZL13mul_mat_vec_qIL9ggml_type29ELi1ELb0ELb1EEvPKvS2_PKi31ggml_cuda_mm_fusion_args_devicePfj15HIP_vector_typeIjLj3EEjjjS8_jjjS8_jjjj,"axG",@progbits,_ZL13mul_mat_vec_qIL9ggml_type29ELi1ELb0ELb1EEvPKvS2_PKi31ggml_cuda_mm_fusion_args_devicePfj15HIP_vector_typeIjLj3EEjjjS8_jjjS8_jjjj,comdat
	.globl	_ZL13mul_mat_vec_qIL9ggml_type29ELi1ELb0ELb1EEvPKvS2_PKi31ggml_cuda_mm_fusion_args_devicePfj15HIP_vector_typeIjLj3EEjjjS8_jjjS8_jjjj ; -- Begin function _ZL13mul_mat_vec_qIL9ggml_type29ELi1ELb0ELb1EEvPKvS2_PKi31ggml_cuda_mm_fusion_args_devicePfj15HIP_vector_typeIjLj3EEjjjS8_jjjS8_jjjj
	.p2align	8
	.type	_ZL13mul_mat_vec_qIL9ggml_type29ELi1ELb0ELb1EEvPKvS2_PKi31ggml_cuda_mm_fusion_args_devicePfj15HIP_vector_typeIjLj3EEjjjS8_jjjS8_jjjj,@function
_ZL13mul_mat_vec_qIL9ggml_type29ELi1ELb0ELb1EEvPKvS2_PKi31ggml_cuda_mm_fusion_args_devicePfj15HIP_vector_typeIjLj3EEjjjS8_jjjS8_jjjj: ; @_ZL13mul_mat_vec_qIL9ggml_type29ELi1ELb0ELb1EEvPKvS2_PKi31ggml_cuda_mm_fusion_args_devicePfj15HIP_vector_typeIjLj3EEjjjS8_jjjS8_jjjj
; %bb.0:
	s_clause 0x1
	s_load_dwordx2 s[0:1], s[4:5], 0x10
	s_load_dwordx4 s[16:19], s[4:5], 0x40
	s_mov_b32 s10, s7
	s_waitcnt lgkmcnt(0)
	s_cmp_lg_u64 s[0:1], 0
	s_cselect_b32 s7, -1, 0
	s_cmp_eq_u64 s[0:1], 0
	s_cbranch_scc1 .LBB218_5
; %bb.1:
	s_mov_b32 s11, 0
	s_lshl_b64 s[2:3], s[10:11], 2
	s_add_u32 s0, s0, s2
	s_addc_u32 s1, s1, s3
	s_load_dword s20, s[0:1], 0x0
	s_clause 0x1
	s_load_dwordx4 s[0:3], s[4:5], 0x68
	s_load_dword s21, s[4:5], 0x50
	s_cbranch_execnz .LBB218_3
.LBB218_2:
	s_load_dwordx2 s[12:13], s[4:5], 0x5c
	s_waitcnt lgkmcnt(0)
	s_mul_hi_u32 s9, s12, s10
	s_add_i32 s9, s10, s9
	s_lshr_b32 s20, s9, s13
.LBB218_3:
	s_load_dword s11, s[4:5], 0x78
	s_andn2_b32 vcc_lo, exec_lo, s7
	s_cbranch_vccnz .LBB218_6
; %bb.4:
	s_mul_hi_u32 s7, s17, s10
	s_add_i32 s7, s10, s7
	s_lshr_b32 s7, s7, s18
	s_mul_i32 s7, s7, s19
	s_sub_i32 s17, s10, s7
	s_branch .LBB218_7
.LBB218_5:
                                        ; implicit-def: $sgpr20
	s_clause 0x1
	s_load_dwordx4 s[0:3], s[4:5], 0x68
	s_load_dword s21, s[4:5], 0x50
	s_branch .LBB218_2
.LBB218_6:
	s_mov_b32 s17, s10
.LBB218_7:
	s_load_dwordx4 s[12:15], s[4:5], 0x80
	v_lshl_or_b32 v2, v1, 5, v0
	v_mov_b32_e32 v4, 0
	s_lshr_b32 s9, s16, 8
	s_mov_b32 s7, exec_lo
	v_lshrrev_b32_e32 v5, 3, v2
	v_cmpx_gt_u32_e64 s9, v5
	s_cbranch_execz .LBB218_11
; %bb.8:
	v_lshrrev_b32_e32 v2, 3, v2
	s_waitcnt lgkmcnt(0)
	s_mul_i32 s1, s17, s1
	v_and_b32_e32 v8, 7, v0
	s_mul_hi_u32 s17, s1, 36
	s_mul_i32 s16, s1, 36
	s_mul_i32 s1, s13, s8
	v_mad_u64_u32 v[2:3], null, 0x120, v2, s[16:17]
	s_load_dwordx4 s[16:19], s[4:5], 0x0
	v_and_b32_e32 v7, 1, v0
	v_bfe_u32 v9, v0, 1, 2
	s_mul_i32 s21, s21, s6
	v_mov_b32_e32 v4, 0
	v_lshlrev_b32_e32 v6, 1, v8
	v_mad_u64_u32 v[2:3], null, s1, 36, v[2:3]
	v_cmp_eq_u32_e32 vcc_lo, 1, v7
	s_mul_hi_u32 s1, s3, s8
	v_lshlrev_b32_e32 v9, 1, v9
	s_add_i32 s1, s8, s1
	v_mov_b32_e32 v10, 0xf0
	v_cndmask_b32_e64 v7, 0, 6, vcc_lo
	v_mad_u64_u32 v[2:3], null, v8, 36, v[2:3]
	s_lshr_b32 s1, s1, s11
	v_lshlrev_b32_e32 v8, 2, v8
	s_mul_i32 s1, s1, s12
	v_mov_b32_e32 v11, 0xffff
	v_mov_b32_e32 v12, 8
	s_mul_i32 s0, s20, s0
	s_waitcnt lgkmcnt(0)
	v_add_co_u32 v2, vcc_lo, s18, v2
	v_add_co_ci_u32_e64 v3, null, s19, v3, vcc_lo
	s_add_i32 s1, s1, s21
	v_add_co_u32 v2, vcc_lo, v2, 32
	v_add_co_ci_u32_e64 v3, null, 0, v3, vcc_lo
	s_add_i32 s3, s0, s1
	s_mov_b32 s1, 0
	s_mov_b32 s11, 0xbd000000
.LBB218_9:                              ; =>This Inner Loop Header: Depth=1
	v_add_nc_u32_e32 v13, s3, v5
	s_getpc_b64 s[12:13]
	s_add_u32 s12, s12, _ZL13iq1s_grid_gpu@rel32@lo+4
	s_addc_u32 s13, s13, _ZL13iq1s_grid_gpu@rel32@hi+12
	v_mov_b32_e32 v36, 0
	v_mov_b32_e32 v34, 0
	;; [unrolled: 1-line block ×3, first 2 shown]
	v_mad_i64_i32 v[21:22], null, v13, 56, s[16:17]
	v_mov_b32_e32 v33, 0
	v_add_nc_u32_e32 v5, 4, v5
	v_cmp_le_u32_e64 s0, s9, v5
	v_add_co_u32 v13, vcc_lo, v21, v8
	v_add_co_ci_u32_e64 v14, null, 0, v22, vcc_lo
	v_add_co_u32 v15, vcc_lo, v21, v6
	v_add_co_ci_u32_e64 v16, null, 0, v22, vcc_lo
	;; [unrolled: 2-line block ×3, first 2 shown]
	s_clause 0x2
	global_load_dword v23, v[13:14], off
	global_load_ushort v24, v[15:16], off offset:32
	global_load_ushort v25, v[17:18], off offset:48
	s_clause 0x1
	global_load_dwordx4 v[13:16], v[2:3], off offset:-32
	global_load_dwordx4 v[17:20], v[2:3], off offset:-16
	global_load_dwordx2 v[21:22], v[21:22], off offset:48
	s_or_b32 s1, s0, s1
	s_waitcnt vmcnt(5)
	v_and_b32_e32 v26, 0xff, v23
	s_waitcnt vmcnt(4)
	v_and_b32_sdwa v27, v11, v24 dst_sel:DWORD dst_unused:UNUSED_PAD src0_sel:DWORD src1_sel:BYTE_1
	v_lshlrev_b32_e32 v29, 8, v24
	v_bfe_u32 v31, v23, 16, 8
	v_bfe_u32 v28, v23, 8, 8
	v_lshlrev_b32_e32 v30, 4, v24
	v_lshrrev_b32_e32 v32, 4, v27
	v_lshlrev_b32_e32 v27, 8, v27
	v_and_or_b32 v26, 0x700, v29, v26
	s_waitcnt vmcnt(0)
	v_pk_lshrrev_b16 v21, 0x8000c, v21
	v_and_or_b32 v28, 0x700, v30, v28
	v_alignbit_b32 v23, v32, v23, 24
	v_and_or_b32 v27, 0x700, v27, v31
	v_lshlrev_b32_e32 v26, 2, v26
	v_mov_b32_e32 v30, 0
	v_lshlrev_b32_e32 v28, 2, v28
	v_and_b32_e32 v23, 0x7ff, v23
	v_lshlrev_b32_e32 v27, 2, v27
	s_clause 0x1
	global_load_dword v26, v26, s[12:13]
	global_load_dword v28, v28, s[12:13]
	v_mov_b32_e32 v31, 0
	v_lshlrev_b32_e32 v23, 2, v23
	s_clause 0x1
	global_load_dword v27, v27, s[12:13]
	global_load_dword v23, v23, s[12:13]
	global_load_dword v29, v[2:3], off
	v_dot4c_i32_i8 v31, 0x1010101, v18
	v_dot4c_i32_i8 v30, 0x1010101, v14
	v_lshrrev_b32_e32 v25, v7, v25
	v_bfe_u32 v37, v24, 4, 4
	v_and_b32_sdwa v38, v24, v12 dst_sel:DWORD dst_unused:UNUSED_PAD src0_sel:BYTE_1 src1_sel:DWORD
	v_and_b32_e32 v24, 8, v24
	v_dot4c_i32_i8 v31, 0x1010101, v19
	v_dot4c_i32_i8 v30, 0x1010101, v15
	v_and_b32_sdwa v39, v21, v10 dst_sel:DWORD dst_unused:UNUSED_PAD src0_sel:WORD_1 src1_sel:DWORD
	v_lshlrev_b32_e32 v40, 1, v25
	v_cvt_f32_ubyte0_e32 v38, v38
	v_cvt_f32_ubyte0_e32 v24, v24
	v_and_b32_e32 v37, 8, v37
	v_cvt_f32_i32_e32 v31, v31
	v_cvt_f32_i32_e32 v30, v30
	v_or_b32_e32 v21, v39, v21
	v_fmaak_f32 v38, s11, v38, 0xbf600000
	v_fmaak_f32 v24, s11, v24, 0xbf600000
	v_and_b32_e32 v32, 8, v32
	v_cvt_f32_ubyte0_e32 v37, v37
	v_and_b32_e32 v39, 14, v40
	v_dot4c_i32_i8 v34, 0x1010101, v20
	v_fma_f32 v24, v24, v30, 0
	v_fma_f32 v30, v38, v31, 0
	v_cvt_f32_ubyte0_e32 v31, v32
	v_fmaak_f32 v32, s11, v37, 0xbf600000
	v_or_b32_e32 v37, 1, v39
	v_dot4c_i32_i8 v33, 0x1010101, v16
	v_pk_lshrrev_b16 v22, 4, v22
	v_lshrrev_b32_e32 v25, 2, v25
	v_cvt_f32_f16_e32 v13, v13
	v_add_co_u32 v2, vcc_lo, 0x480, v2
	v_dot4c_i32_i8 v33, 0x1010101, v17
	v_and_b32_e32 v22, 0xf0000f00, v22
	v_and_b32_e32 v25, 14, v25
	v_add_co_ci_u32_e64 v3, null, 0, v3, vcc_lo
	v_cvt_f32_i32_e32 v33, v33
	v_or_b32_e32 v21, v21, v22
	v_or_b32_e32 v25, 1, v25
	v_fmac_f32_e32 v24, v32, v33
	s_waitcnt vmcnt(4)
	v_and_b32_e32 v38, 0xf0f0f0f, v26
	v_lshrrev_b32_e32 v26, 4, v26
	s_waitcnt vmcnt(3)
	v_and_b32_e32 v40, 0xf0f0f0f, v28
	s_waitcnt vmcnt(2)
	v_lshrrev_b32_e32 v39, 4, v27
	v_and_b32_e32 v27, 0xf0f0f0f, v27
	v_and_b32_e32 v26, 0xf0f0f0f, v26
	v_dot4c_i32_i8 v35, v38, v14
	s_waitcnt vmcnt(1)
	v_and_b32_e32 v14, 0xf0f0f0f, v23
	v_and_b32_e32 v39, 0xf0f0f0f, v39
	v_dot4c_i32_i8 v36, v27, v18
	v_lshrrev_b32_e32 v18, 4, v23
	s_waitcnt vmcnt(0)
	v_dot4c_i32_i8 v34, 0x1010101, v29
	v_dot4c_i32_i8 v35, v26, v15
	;; [unrolled: 1-line block ×3, first 2 shown]
	v_lshrrev_b32_e32 v19, 4, v28
	v_and_b32_e32 v15, 0xf0f0f0f, v18
	v_cvt_f32_i32_e32 v34, v34
	v_dot4c_i32_i8 v35, v40, v16
	v_dot4c_i32_i8 v36, v14, v20
	v_fmaak_f32 v14, s11, v31, 0xbf600000
	v_and_b32_e32 v18, 0xf0f0f0f, v19
	v_cvt_f32_ubyte0_e32 v16, v25
	v_dot4c_i32_i8 v36, v15, v29
	v_fmac_f32_e32 v30, v14, v34
	v_dot4c_i32_i8 v35, v18, v17
	v_or_b32_sdwa v15, v21, v22 dst_sel:DWORD dst_unused:UNUSED_PAD src0_sel:DWORD src1_sel:WORD_1
	v_cvt_f32_ubyte0_e32 v18, v37
	v_cvt_f32_i32_e32 v14, v36
	v_cvt_f32_i32_e32 v17, v35
	v_cvt_f32_f16_e32 v15, v15
	v_add_f32_e32 v14, v30, v14
	v_add_f32_e32 v17, v24, v17
	v_mul_f32_e32 v13, v13, v15
	v_mul_f32_e32 v14, v14, v16
	v_fmac_f32_e32 v14, v17, v18
	v_fmac_f32_e32 v4, v13, v14
	s_andn2_b32 exec_lo, exec_lo, s1
	s_cbranch_execnz .LBB218_9
; %bb.10:
	s_or_b32 exec_lo, exec_lo, s1
.LBB218_11:
	s_or_b32 exec_lo, exec_lo, s7
	s_waitcnt lgkmcnt(0)
	; wave barrier
	buffer_gl0_inv
	s_mov_b32 s0, exec_lo
	v_cmpx_eq_u32_e32 0, v1
	s_cbranch_execz .LBB218_14
; %bb.12:
	v_mbcnt_lo_u32_b32 v1, -1, 0
	v_xor_b32_e32 v2, 16, v1
	v_xor_b32_e32 v3, 8, v1
	v_cmp_gt_i32_e32 vcc_lo, 32, v2
	v_cndmask_b32_e32 v2, v1, v2, vcc_lo
	v_cmp_gt_i32_e32 vcc_lo, 32, v3
	v_lshlrev_b32_e32 v2, 2, v2
	v_cndmask_b32_e32 v3, v1, v3, vcc_lo
	ds_bpermute_b32 v2, v2, v4
	v_lshlrev_b32_e32 v3, 2, v3
	s_waitcnt lgkmcnt(0)
	v_add_f32_e32 v2, v4, v2
	v_xor_b32_e32 v4, 4, v1
	ds_bpermute_b32 v3, v3, v2
	v_cmp_gt_i32_e32 vcc_lo, 32, v4
	v_cndmask_b32_e32 v4, v1, v4, vcc_lo
	v_lshlrev_b32_e32 v4, 2, v4
	s_waitcnt lgkmcnt(0)
	v_add_f32_e32 v2, v2, v3
	ds_bpermute_b32 v3, v4, v2
	v_xor_b32_e32 v4, 2, v1
	v_cmp_gt_i32_e32 vcc_lo, 32, v4
	v_cndmask_b32_e32 v4, v1, v4, vcc_lo
	v_lshlrev_b32_e32 v4, 2, v4
	s_waitcnt lgkmcnt(0)
	v_add_f32_e32 v2, v2, v3
	ds_bpermute_b32 v3, v4, v2
	v_xor_b32_e32 v4, 1, v1
	v_cmp_gt_i32_e32 vcc_lo, 32, v4
	v_cndmask_b32_e32 v1, v1, v4, vcc_lo
	v_cmp_eq_u32_e32 vcc_lo, 0, v0
	v_lshlrev_b32_e32 v4, 2, v1
	s_waitcnt lgkmcnt(0)
	v_add_f32_e32 v1, v2, v3
	ds_bpermute_b32 v2, v4, v1
	s_and_b32 exec_lo, exec_lo, vcc_lo
	s_cbranch_execz .LBB218_14
; %bb.13:
	s_load_dwordx2 s[0:1], s[4:5], 0x38
	s_mul_i32 s2, s2, s10
	s_mul_i32 s3, s14, s8
	s_add_i32 s2, s2, s6
	s_waitcnt lgkmcnt(0)
	v_add_f32_e32 v0, v1, v2
	s_add_i32 s2, s2, s3
	s_mov_b32 s3, 0
	v_mov_b32_e32 v1, 0
	s_lshl_b64 s[2:3], s[2:3], 2
	s_add_u32 s0, s0, s2
	s_addc_u32 s1, s1, s3
	global_store_dword v1, v0, s[0:1]
.LBB218_14:
	s_endpgm
	.section	.rodata,"a",@progbits
	.p2align	6, 0x0
	.amdhsa_kernel _ZL13mul_mat_vec_qIL9ggml_type29ELi1ELb0ELb1EEvPKvS2_PKi31ggml_cuda_mm_fusion_args_devicePfj15HIP_vector_typeIjLj3EEjjjS8_jjjS8_jjjj
		.amdhsa_group_segment_fixed_size 0
		.amdhsa_private_segment_fixed_size 0
		.amdhsa_kernarg_size 144
		.amdhsa_user_sgpr_count 6
		.amdhsa_user_sgpr_private_segment_buffer 1
		.amdhsa_user_sgpr_dispatch_ptr 0
		.amdhsa_user_sgpr_queue_ptr 0
		.amdhsa_user_sgpr_kernarg_segment_ptr 1
		.amdhsa_user_sgpr_dispatch_id 0
		.amdhsa_user_sgpr_flat_scratch_init 0
		.amdhsa_user_sgpr_private_segment_size 0
		.amdhsa_wavefront_size32 1
		.amdhsa_uses_dynamic_stack 0
		.amdhsa_system_sgpr_private_segment_wavefront_offset 0
		.amdhsa_system_sgpr_workgroup_id_x 1
		.amdhsa_system_sgpr_workgroup_id_y 1
		.amdhsa_system_sgpr_workgroup_id_z 1
		.amdhsa_system_sgpr_workgroup_info 0
		.amdhsa_system_vgpr_workitem_id 1
		.amdhsa_next_free_vgpr 41
		.amdhsa_next_free_sgpr 22
		.amdhsa_reserve_vcc 1
		.amdhsa_reserve_flat_scratch 0
		.amdhsa_float_round_mode_32 0
		.amdhsa_float_round_mode_16_64 0
		.amdhsa_float_denorm_mode_32 3
		.amdhsa_float_denorm_mode_16_64 3
		.amdhsa_dx10_clamp 1
		.amdhsa_ieee_mode 1
		.amdhsa_fp16_overflow 0
		.amdhsa_workgroup_processor_mode 1
		.amdhsa_memory_ordered 1
		.amdhsa_forward_progress 1
		.amdhsa_shared_vgpr_count 0
		.amdhsa_exception_fp_ieee_invalid_op 0
		.amdhsa_exception_fp_denorm_src 0
		.amdhsa_exception_fp_ieee_div_zero 0
		.amdhsa_exception_fp_ieee_overflow 0
		.amdhsa_exception_fp_ieee_underflow 0
		.amdhsa_exception_fp_ieee_inexact 0
		.amdhsa_exception_int_div_zero 0
	.end_amdhsa_kernel
	.section	.text._ZL13mul_mat_vec_qIL9ggml_type29ELi1ELb0ELb1EEvPKvS2_PKi31ggml_cuda_mm_fusion_args_devicePfj15HIP_vector_typeIjLj3EEjjjS8_jjjS8_jjjj,"axG",@progbits,_ZL13mul_mat_vec_qIL9ggml_type29ELi1ELb0ELb1EEvPKvS2_PKi31ggml_cuda_mm_fusion_args_devicePfj15HIP_vector_typeIjLj3EEjjjS8_jjjS8_jjjj,comdat
.Lfunc_end218:
	.size	_ZL13mul_mat_vec_qIL9ggml_type29ELi1ELb0ELb1EEvPKvS2_PKi31ggml_cuda_mm_fusion_args_devicePfj15HIP_vector_typeIjLj3EEjjjS8_jjjS8_jjjj, .Lfunc_end218-_ZL13mul_mat_vec_qIL9ggml_type29ELi1ELb0ELb1EEvPKvS2_PKi31ggml_cuda_mm_fusion_args_devicePfj15HIP_vector_typeIjLj3EEjjjS8_jjjS8_jjjj
                                        ; -- End function
	.set _ZL13mul_mat_vec_qIL9ggml_type29ELi1ELb0ELb1EEvPKvS2_PKi31ggml_cuda_mm_fusion_args_devicePfj15HIP_vector_typeIjLj3EEjjjS8_jjjS8_jjjj.num_vgpr, 41
	.set _ZL13mul_mat_vec_qIL9ggml_type29ELi1ELb0ELb1EEvPKvS2_PKi31ggml_cuda_mm_fusion_args_devicePfj15HIP_vector_typeIjLj3EEjjjS8_jjjS8_jjjj.num_agpr, 0
	.set _ZL13mul_mat_vec_qIL9ggml_type29ELi1ELb0ELb1EEvPKvS2_PKi31ggml_cuda_mm_fusion_args_devicePfj15HIP_vector_typeIjLj3EEjjjS8_jjjS8_jjjj.numbered_sgpr, 22
	.set _ZL13mul_mat_vec_qIL9ggml_type29ELi1ELb0ELb1EEvPKvS2_PKi31ggml_cuda_mm_fusion_args_devicePfj15HIP_vector_typeIjLj3EEjjjS8_jjjS8_jjjj.num_named_barrier, 0
	.set _ZL13mul_mat_vec_qIL9ggml_type29ELi1ELb0ELb1EEvPKvS2_PKi31ggml_cuda_mm_fusion_args_devicePfj15HIP_vector_typeIjLj3EEjjjS8_jjjS8_jjjj.private_seg_size, 0
	.set _ZL13mul_mat_vec_qIL9ggml_type29ELi1ELb0ELb1EEvPKvS2_PKi31ggml_cuda_mm_fusion_args_devicePfj15HIP_vector_typeIjLj3EEjjjS8_jjjS8_jjjj.uses_vcc, 1
	.set _ZL13mul_mat_vec_qIL9ggml_type29ELi1ELb0ELb1EEvPKvS2_PKi31ggml_cuda_mm_fusion_args_devicePfj15HIP_vector_typeIjLj3EEjjjS8_jjjS8_jjjj.uses_flat_scratch, 0
	.set _ZL13mul_mat_vec_qIL9ggml_type29ELi1ELb0ELb1EEvPKvS2_PKi31ggml_cuda_mm_fusion_args_devicePfj15HIP_vector_typeIjLj3EEjjjS8_jjjS8_jjjj.has_dyn_sized_stack, 0
	.set _ZL13mul_mat_vec_qIL9ggml_type29ELi1ELb0ELb1EEvPKvS2_PKi31ggml_cuda_mm_fusion_args_devicePfj15HIP_vector_typeIjLj3EEjjjS8_jjjS8_jjjj.has_recursion, 0
	.set _ZL13mul_mat_vec_qIL9ggml_type29ELi1ELb0ELb1EEvPKvS2_PKi31ggml_cuda_mm_fusion_args_devicePfj15HIP_vector_typeIjLj3EEjjjS8_jjjS8_jjjj.has_indirect_call, 0
	.section	.AMDGPU.csdata,"",@progbits
; Kernel info:
; codeLenInByte = 1520
; TotalNumSgprs: 24
; NumVgprs: 41
; ScratchSize: 0
; MemoryBound: 0
; FloatMode: 240
; IeeeMode: 1
; LDSByteSize: 0 bytes/workgroup (compile time only)
; SGPRBlocks: 0
; VGPRBlocks: 5
; NumSGPRsForWavesPerEU: 24
; NumVGPRsForWavesPerEU: 41
; Occupancy: 16
; WaveLimiterHint : 0
; COMPUTE_PGM_RSRC2:SCRATCH_EN: 0
; COMPUTE_PGM_RSRC2:USER_SGPR: 6
; COMPUTE_PGM_RSRC2:TRAP_HANDLER: 0
; COMPUTE_PGM_RSRC2:TGID_X_EN: 1
; COMPUTE_PGM_RSRC2:TGID_Y_EN: 1
; COMPUTE_PGM_RSRC2:TGID_Z_EN: 1
; COMPUTE_PGM_RSRC2:TIDIG_COMP_CNT: 1
	.section	.text._ZL13mul_mat_vec_qIL9ggml_type29ELi1ELb1ELb0EEvPKvS2_PKi31ggml_cuda_mm_fusion_args_devicePfj15HIP_vector_typeIjLj3EEjjjS8_jjjS8_jjjj,"axG",@progbits,_ZL13mul_mat_vec_qIL9ggml_type29ELi1ELb1ELb0EEvPKvS2_PKi31ggml_cuda_mm_fusion_args_devicePfj15HIP_vector_typeIjLj3EEjjjS8_jjjS8_jjjj,comdat
	.globl	_ZL13mul_mat_vec_qIL9ggml_type29ELi1ELb1ELb0EEvPKvS2_PKi31ggml_cuda_mm_fusion_args_devicePfj15HIP_vector_typeIjLj3EEjjjS8_jjjS8_jjjj ; -- Begin function _ZL13mul_mat_vec_qIL9ggml_type29ELi1ELb1ELb0EEvPKvS2_PKi31ggml_cuda_mm_fusion_args_devicePfj15HIP_vector_typeIjLj3EEjjjS8_jjjS8_jjjj
	.p2align	8
	.type	_ZL13mul_mat_vec_qIL9ggml_type29ELi1ELb1ELb0EEvPKvS2_PKi31ggml_cuda_mm_fusion_args_devicePfj15HIP_vector_typeIjLj3EEjjjS8_jjjS8_jjjj,@function
_ZL13mul_mat_vec_qIL9ggml_type29ELi1ELb1ELb0EEvPKvS2_PKi31ggml_cuda_mm_fusion_args_devicePfj15HIP_vector_typeIjLj3EEjjjS8_jjjS8_jjjj: ; @_ZL13mul_mat_vec_qIL9ggml_type29ELi1ELb1ELb0EEvPKvS2_PKi31ggml_cuda_mm_fusion_args_devicePfj15HIP_vector_typeIjLj3EEjjjS8_jjjS8_jjjj
; %bb.0:
	s_clause 0x3
	s_load_dwordx8 s[12:19], s[4:5], 0x0
	s_load_dwordx4 s[28:31], s[4:5], 0x20
	s_load_dwordx4 s[36:39], s[4:5], 0x40
	;; [unrolled: 1-line block ×3, first 2 shown]
	s_mov_b32 s10, s7
	s_waitcnt lgkmcnt(0)
	s_cmp_lg_u64 s[16:17], 0
	s_cselect_b32 s0, -1, 0
	s_cmp_eq_u64 s[16:17], 0
	s_cbranch_scc1 .LBB219_5
; %bb.1:
	s_mov_b32 s11, 0
	s_lshl_b64 s[2:3], s[10:11], 2
	s_add_u32 s2, s16, s2
	s_addc_u32 s3, s17, s3
	s_load_dword s34, s[2:3], 0x0
	s_clause 0x1
	s_load_dword s35, s[4:5], 0x50
	s_load_dword s33, s[4:5], 0x78
	s_cbranch_execnz .LBB219_3
.LBB219_2:
	s_load_dwordx2 s[2:3], s[4:5], 0x5c
	s_waitcnt lgkmcnt(0)
	s_mul_hi_u32 s1, s2, s10
	s_add_i32 s1, s10, s1
	s_lshr_b32 s34, s1, s3
.LBB219_3:
	s_andn2_b32 vcc_lo, exec_lo, s0
	s_cbranch_vccnz .LBB219_6
; %bb.4:
	s_mul_hi_u32 s0, s37, s10
	s_waitcnt lgkmcnt(0)
	s_mov_b32 s1, s34
	s_add_i32 s0, s10, s0
	s_lshr_b32 s0, s0, s38
	s_mul_i32 s0, s0, s39
	s_sub_i32 s37, s10, s0
	s_branch .LBB219_7
.LBB219_5:
                                        ; implicit-def: $sgpr34
	s_clause 0x1
	s_load_dword s35, s[4:5], 0x50
	s_load_dword s33, s[4:5], 0x78
	s_branch .LBB219_2
.LBB219_6:
	s_mov_b32 s1, s10
	s_mov_b32 s37, s10
.LBB219_7:
	s_load_dwordx4 s[24:27], s[4:5], 0x80
	v_or_b32_e32 v2, v0, v1
	s_cmp_lg_u64 s[18:19], 0
	v_mov_b32_e32 v14, 0
	v_mov_b32_e32 v15, 0
	s_cselect_b32 s0, -1, 0
	v_cmp_eq_u32_e32 vcc_lo, 0, v2
	s_mov_b32 s17, 0
	s_mul_i32 s2, s1, s22
	s_and_b32 s3, s0, vcc_lo
	s_and_saveexec_b32 s1, s3
	s_cbranch_execz .LBB219_9
; %bb.8:
	s_waitcnt lgkmcnt(0)
	s_mul_i32 s16, s26, s8
	s_mov_b32 s3, s17
	s_lshl_b64 s[38:39], s[16:17], 2
	v_lshlrev_b32_e32 v2, 2, v0
	s_add_u32 s7, s18, s38
	s_addc_u32 s9, s19, s39
	s_lshl_b64 s[16:17], s[2:3], 2
	s_add_u32 s3, s7, s16
	s_addc_u32 s9, s9, s17
	s_ashr_i32 s7, s6, 31
	s_lshl_b64 s[16:17], s[6:7], 2
	s_add_u32 s16, s3, s16
	s_addc_u32 s17, s9, s17
	global_load_dword v15, v2, s[16:17]
.LBB219_9:
	s_or_b32 exec_lo, exec_lo, s1
	s_cmp_lg_u64 s[28:29], 0
	s_cselect_b32 s9, -1, 0
	s_cmp_lg_u64 s[30:31], 0
	s_cselect_b32 s1, -1, 0
	s_and_b32 s3, s1, s9
	s_and_b32 s3, s3, vcc_lo
	s_and_saveexec_b32 s11, s3
	s_cbranch_execz .LBB219_11
; %bb.10:
	s_waitcnt lgkmcnt(0)
	s_mul_i32 s16, s26, s8
	s_mov_b32 s17, 0
	v_lshlrev_b32_e32 v2, 2, v0
	s_lshl_b64 s[18:19], s[16:17], 2
	s_mov_b32 s3, s17
	s_add_u32 s7, s30, s18
	s_addc_u32 s16, s31, s19
	s_lshl_b64 s[2:3], s[2:3], 2
	s_add_u32 s17, s7, s2
	s_addc_u32 s16, s16, s3
	s_ashr_i32 s7, s6, 31
	s_lshl_b64 s[2:3], s[6:7], 2
	s_add_u32 s2, s17, s2
	s_addc_u32 s3, s16, s3
	global_load_dword v14, v2, s[2:3]
.LBB219_11:
	s_or_b32 exec_lo, exec_lo, s11
	v_lshl_or_b32 v2, v1, 5, v0
	v_mov_b32_e32 v18, 0
	v_cndmask_b32_e64 v16, 0, 1, s9
	v_mov_b32_e32 v17, 0
	s_lshr_b32 s7, s36, 8
	v_lshrrev_b32_e32 v19, 3, v2
	s_mov_b32 s11, exec_lo
	v_cmpx_gt_u32_e64 s7, v19
	s_cbranch_execz .LBB219_17
; %bb.12:
	v_lshrrev_b32_e32 v2, 3, v2
	s_mul_i32 s2, s37, s21
	s_waitcnt lgkmcnt(0)
	s_mul_i32 s16, s25, s8
	s_mul_hi_u32 s3, s2, 36
	s_mul_i32 s2, s2, 36
	v_and_b32_e32 v4, 7, v0
	v_mad_u64_u32 v[2:3], null, 0x120, v2, s[2:3]
	v_and_b32_e32 v6, 1, v0
	s_mul_hi_u32 s2, s23, s8
	v_bfe_u32 v5, v0, 1, 2
	s_add_i32 s2, s8, s2
	s_mul_i32 s35, s35, s6
	v_cmp_eq_u32_e32 vcc_lo, 1, v6
	v_mad_u64_u32 v[2:3], null, s16, 36, v[2:3]
	s_lshr_b32 s2, s2, s33
	v_mov_b32_e32 v18, 0
	v_cndmask_b32_e64 v21, 0, 6, vcc_lo
	s_mul_i32 s2, s2, s24
	v_lshlrev_b32_e32 v20, 1, v4
	v_lshlrev_b32_e32 v22, 2, v4
	v_mad_u64_u32 v[2:3], null, v4, 36, v[2:3]
	v_lshlrev_b32_e32 v23, 1, v5
	v_mov_b32_e32 v24, 0xffff
	v_mov_b32_e32 v25, 0xf0
	;; [unrolled: 1-line block ×4, first 2 shown]
	s_mul_i32 s3, s34, s20
	v_add_co_u32 v2, vcc_lo, s14, v2
	v_add_co_ci_u32_e64 v3, null, s15, v3, vcc_lo
	s_add_i32 s2, s2, s35
	v_add_co_u32 v10, vcc_lo, v2, 32
	v_add_co_ci_u32_e64 v11, null, 0, v3, vcc_lo
	s_add_i32 s15, s3, s2
	s_mov_b32 s14, 0
	s_mov_b32 s16, 0xbd000000
	s_branch .LBB219_14
.LBB219_13:                             ;   in Loop: Header=BB219_14 Depth=1
	s_waitcnt vmcnt(3)
	v_and_b32_e32 v40, 0xf0f0f0f, v38
	v_lshrrev_b32_e32 v38, 4, v38
	v_mov_b32_e32 v42, 0
	v_pk_lshrrev_b16 v12, 0x8000c, v12
	v_pk_lshrrev_b16 v13, 4, v13
	v_bfe_u32 v39, v28, 4, 4
	v_and_b32_e32 v38, 0xf0f0f0f, v38
	v_dot4c_i32_i8 v42, v40, v7
	v_and_b32_sdwa v41, v12, v25 dst_sel:DWORD dst_unused:UNUSED_PAD src0_sel:WORD_1 src1_sel:DWORD
	s_waitcnt vmcnt(2)
	v_and_b32_e32 v7, 0xf0f0f0f, v36
	v_lshrrev_b32_e32 v36, 4, v36
	v_and_b32_e32 v13, 0xf0000f00, v13
	v_dot4c_i32_i8 v42, v38, v8
	v_or_b32_e32 v12, v41, v12
	s_waitcnt vmcnt(1)
	v_and_b32_e32 v40, 0xf0f0f0f, v35
	v_lshrrev_b32_e32 v8, 4, v35
	v_mov_b32_e32 v35, 0
	v_and_b32_e32 v36, 0xf0f0f0f, v36
	v_dot4c_i32_i8 v42, v7, v9
	v_or_b32_e32 v12, v12, v13
	v_and_b32_e32 v7, 0xf0f0f0f, v8
	v_dot4c_i32_i8 v35, v40, v3
	v_and_b32_e32 v8, 8, v28
	v_dot4c_i32_i8 v42, v36, v2
	v_and_b32_sdwa v2, v28, v26 dst_sel:DWORD dst_unused:UNUSED_PAD src0_sel:BYTE_1 src1_sel:DWORD
	v_lshrrev_b32_sdwa v37, v21, v37 dst_sel:DWORD dst_unused:UNUSED_PAD src0_sel:DWORD src1_sel:WORD_0
	v_or_b32_sdwa v12, v12, v13 dst_sel:DWORD dst_unused:UNUSED_PAD src0_sel:DWORD src1_sel:WORD_1
	v_dot4c_i32_i8 v35, v7, v4
	v_cvt_f32_ubyte0_e32 v4, v8
	s_waitcnt vmcnt(0)
	v_lshrrev_b32_e32 v7, 4, v34
	v_and_b32_e32 v8, 0xf0f0f0f, v34
	v_and_b32_e32 v13, 8, v29
	v_cvt_f32_ubyte0_e32 v2, v2
	v_and_b32_e32 v28, 8, v39
	v_lshrrev_b32_e32 v9, 2, v37
	v_and_b32_e32 v7, 0xf0f0f0f, v7
	v_dot4c_i32_i8 v35, v8, v5
	v_cvt_f32_ubyte0_e32 v5, v13
	v_fmaak_f32 v2, s16, v2, 0xbf600000
	v_cvt_f32_ubyte0_e32 v8, v28
	v_lshlrev_b32_e32 v3, 1, v37
	v_fmaak_f32 v4, s16, v4, 0xbf600000
	v_dot4c_i32_i8 v35, v7, v27
	v_fmaak_f32 v5, s16, v5, 0xbf600000
	v_fma_f32 v2, v2, v33, 0
	v_fmaak_f32 v7, s16, v8, 0xbf600000
	v_and_b32_e32 v8, 14, v9
	v_fma_f32 v4, v4, v31, 0
	v_and_b32_e32 v3, 14, v3
	v_fmac_f32_e32 v2, v5, v32
	v_cvt_f32_i32_e32 v5, v35
	v_or_b32_e32 v8, 1, v8
	v_fmac_f32_e32 v4, v7, v30
	v_or_b32_e32 v3, 1, v3
	v_cvt_f32_i32_e32 v7, v42
	v_add_f32_e32 v2, v2, v5
	v_cvt_f32_ubyte0_e32 v5, v8
	v_cvt_f32_f16_e32 v8, v12
	v_cvt_f32_ubyte0_e32 v3, v3
	v_add_f32_e32 v4, v4, v7
	v_add_nc_u32_e32 v19, 4, v19
	v_mul_f32_e32 v2, v2, v5
	v_mul_f32_e32 v5, v6, v8
	v_add_co_u32 v10, s2, 0x480, v10
	v_cmp_le_u32_e32 vcc_lo, s7, v19
	v_fmac_f32_e32 v2, v4, v3
	v_add_co_ci_u32_e64 v11, null, 0, v11, s2
	s_or_b32 s14, vcc_lo, s14
	v_fmac_f32_e32 v18, v5, v2
	s_andn2_b32 exec_lo, exec_lo, s14
	s_cbranch_execz .LBB219_16
.LBB219_14:                             ; =>This Inner Loop Header: Depth=1
	v_add_nc_u32_e32 v39, s15, v19
	s_getpc_b64 s[2:3]
	s_add_u32 s2, s2, _ZL13iq1s_grid_gpu@rel32@lo+4
	s_addc_u32 s3, s3, _ZL13iq1s_grid_gpu@rel32@hi+12
	v_mov_b32_e32 v40, 0
	v_mad_i64_i32 v[30:31], null, v39, 56, s[12:13]
	v_add_co_u32 v2, vcc_lo, v30, v20
	v_add_co_ci_u32_e64 v3, null, 0, v31, vcc_lo
	v_add_co_u32 v4, vcc_lo, v30, v22
	v_add_co_ci_u32_e64 v5, null, 0, v31, vcc_lo
	s_clause 0x1
	global_load_ushort v28, v[2:3], off offset:32
	global_load_dword v32, v[4:5], off
	s_clause 0x2
	global_load_dword v27, v[10:11], off
	global_load_dwordx4 v[6:9], v[10:11], off offset:-32
	global_load_dwordx4 v[2:5], v[10:11], off offset:-16
	global_load_dwordx2 v[12:13], v[30:31], off offset:48
	v_add_co_u32 v30, vcc_lo, v30, v23
	v_add_co_ci_u32_e64 v31, null, 0, v31, vcc_lo
	s_andn2_b32 vcc_lo, exec_lo, s9
	s_waitcnt vmcnt(5)
	v_and_b32_sdwa v33, v24, v28 dst_sel:DWORD dst_unused:UNUSED_PAD src0_sel:DWORD src1_sel:BYTE_1
	s_waitcnt vmcnt(4)
	v_and_b32_e32 v34, 0xff, v32
	v_lshlrev_b32_e32 v35, 8, v28
	v_bfe_u32 v36, v32, 8, 8
	v_lshlrev_b32_e32 v38, 4, v28
	v_lshrrev_b32_e32 v29, 4, v33
	v_bfe_u32 v37, v32, 16, 8
	v_lshlrev_b32_e32 v33, 8, v33
	v_and_or_b32 v34, 0x700, v35, v34
	v_and_or_b32 v35, 0x700, v38, v36
	v_alignbit_b32 v32, v29, v32, 24
	s_waitcnt vmcnt(2)
	v_dot4c_i32_i8 v40, 0x1010101, v9
	v_and_or_b32 v33, 0x700, v33, v37
	v_lshlrev_b32_e32 v34, 2, v34
	v_lshlrev_b32_e32 v35, 2, v35
	v_and_b32_e32 v32, 0x7ff, v32
	s_waitcnt vmcnt(1)
	v_dot4c_i32_i8 v40, 0x1010101, v2
	v_lshlrev_b32_e32 v33, 2, v33
	v_cvt_f32_f16_e32 v6, v6
	v_lshlrev_b32_e32 v32, 2, v32
	global_load_ushort v37, v[30:31], off offset:48
	s_clause 0x3
	global_load_dword v38, v34, s[2:3]
	global_load_dword v36, v35, s[2:3]
	;; [unrolled: 1-line block ×4, first 2 shown]
	v_mov_b32_e32 v30, 0
	v_mov_b32_e32 v31, 0
	v_mov_b32_e32 v32, 0
	v_dot4c_i32_i8 v30, 0x1010101, v3
	v_dot4c_i32_i8 v31, 0x1010101, v7
	;; [unrolled: 1-line block ×6, first 2 shown]
	v_cvt_f32_i32_e32 v33, v30
	v_cvt_f32_i32_e32 v31, v31
	;; [unrolled: 1-line block ×4, first 2 shown]
	s_cbranch_vccnz .LBB219_13
; %bb.15:                               ;   in Loop: Header=BB219_14 Depth=1
	v_mad_i64_i32 v[39:40], null, v39, 56, s[28:29]
	v_mov_b32_e32 v49, 0
	v_add_co_u32 v41, vcc_lo, v39, v20
	v_add_co_ci_u32_e64 v42, null, 0, v40, vcc_lo
	v_add_co_u32 v43, vcc_lo, v39, v22
	v_add_co_ci_u32_e64 v44, null, 0, v40, vcc_lo
	s_clause 0x2
	global_load_ushort v45, v[41:42], off offset:32
	global_load_dword v43, v[43:44], off
	global_load_dwordx2 v[41:42], v[39:40], off offset:48
	v_add_co_u32 v39, vcc_lo, v39, v23
	v_add_co_ci_u32_e64 v40, null, 0, v40, vcc_lo
	global_load_ushort v39, v[39:40], off offset:48
	s_waitcnt vmcnt(3)
	v_and_b32_sdwa v44, v24, v45 dst_sel:DWORD dst_unused:UNUSED_PAD src0_sel:DWORD src1_sel:BYTE_1
	s_waitcnt vmcnt(2)
	v_bfe_u32 v40, v43, 16, 8
	v_and_b32_e32 v47, 0xff, v43
	v_lshlrev_b32_e32 v48, 8, v45
	s_waitcnt vmcnt(1)
	v_pk_lshrrev_b16 v41, 0x8000c, v41
	v_lshlrev_b32_e32 v46, 8, v44
	v_lshrrev_b32_e32 v44, 4, v44
	v_pk_lshrrev_b16 v42, 4, v42
	v_and_b32_sdwa v51, v45, v26 dst_sel:DWORD dst_unused:UNUSED_PAD src0_sel:BYTE_1 src1_sel:DWORD
	v_and_b32_sdwa v50, v41, v25 dst_sel:DWORD dst_unused:UNUSED_PAD src0_sel:WORD_1 src1_sel:DWORD
	v_and_or_b32 v40, 0x700, v46, v40
	v_and_or_b32 v46, 0x700, v48, v47
	v_bfe_u32 v47, v43, 8, 8
	v_alignbit_b32 v43, v44, v43, 24
	v_lshlrev_b32_e32 v48, 4, v45
	v_lshlrev_b32_e32 v40, 2, v40
	;; [unrolled: 1-line block ×3, first 2 shown]
	v_and_b32_e32 v42, 0xf0000f00, v42
	v_and_b32_e32 v43, 0x7ff, v43
	v_and_or_b32 v47, 0x700, v48, v47
	s_clause 0x1
	global_load_dword v40, v40, s[2:3]
	global_load_dword v46, v46, s[2:3]
	v_or_b32_e32 v41, v50, v41
	v_lshlrev_b32_e32 v43, 2, v43
	v_lshlrev_b32_e32 v47, 2, v47
	s_clause 0x1
	global_load_dword v43, v43, s[2:3]
	global_load_dword v47, v47, s[2:3]
	v_or_b32_e32 v41, v41, v42
	v_mov_b32_e32 v48, 0
	s_waitcnt vmcnt(4)
	v_lshrrev_b32_e32 v39, v21, v39
	v_and_b32_e32 v52, 8, v45
	v_bfe_u32 v45, v45, 4, 4
	v_or_b32_sdwa v41, v41, v42 dst_sel:DWORD dst_unused:UNUSED_PAD src0_sel:DWORD src1_sel:WORD_1
	v_cvt_f32_ubyte0_e32 v51, v51
	v_and_b32_e32 v44, 8, v44
	v_lshlrev_b32_e32 v50, 1, v39
	v_cvt_f32_ubyte0_e32 v52, v52
	v_lshrrev_b32_e32 v39, 2, v39
	v_and_b32_e32 v45, 8, v45
	v_fmaak_f32 v51, s16, v51, 0xbf600000
	v_cvt_f32_ubyte0_e32 v44, v44
	v_fmaak_f32 v52, s16, v52, 0xbf600000
	v_and_b32_e32 v39, 14, v39
	v_cvt_f32_ubyte0_e32 v45, v45
	v_and_b32_e32 v50, 14, v50
	v_fmaak_f32 v44, s16, v44, 0xbf600000
	v_cvt_f32_f16_e32 v41, v41
	v_or_b32_e32 v39, 1, v39
	v_mul_f32_e32 v41, v6, v41
	v_cvt_f32_ubyte0_e32 v39, v39
	s_waitcnt vmcnt(3)
	v_lshrrev_b32_e32 v42, 4, v40
	v_and_b32_e32 v40, 0xf0f0f0f, v40
	s_waitcnt vmcnt(2)
	v_lshrrev_b32_e32 v53, 4, v46
	v_and_b32_e32 v46, 0xf0f0f0f, v46
	v_and_b32_e32 v42, 0xf0f0f0f, v42
	v_dot4c_i32_i8 v49, v40, v3
	v_and_b32_e32 v40, 0xf0f0f0f, v53
	v_dot4c_i32_i8 v48, v46, v7
	s_waitcnt vmcnt(1)
	v_and_b32_e32 v46, 0xf0f0f0f, v43
	v_lshrrev_b32_e32 v43, 4, v43
	v_dot4c_i32_i8 v49, v42, v4
	s_waitcnt vmcnt(0)
	v_and_b32_e32 v42, 0xf0f0f0f, v47
	v_lshrrev_b32_e32 v47, 4, v47
	v_dot4c_i32_i8 v48, v40, v8
	v_and_b32_e32 v40, 0xf0f0f0f, v43
	v_dot4c_i32_i8 v49, v46, v5
	v_fma_f32 v43, v51, v33, 0
	v_and_b32_e32 v46, 0xf0f0f0f, v47
	v_dot4c_i32_i8 v48, v42, v9
	v_fmaak_f32 v42, s16, v45, 0xbf600000
	v_dot4c_i32_i8 v49, v40, v27
	v_fma_f32 v40, v52, v31, 0
	v_fmac_f32_e32 v43, v44, v32
	v_dot4c_i32_i8 v48, v46, v2
	v_or_b32_e32 v45, 1, v50
	v_cvt_f32_i32_e32 v44, v49
	v_fmac_f32_e32 v40, v42, v30
	v_cvt_f32_i32_e32 v42, v48
	v_add_f32_e32 v43, v43, v44
	v_add_f32_e32 v40, v40, v42
	v_cvt_f32_ubyte0_e32 v42, v45
	v_mul_f32_e32 v39, v43, v39
	v_fmac_f32_e32 v39, v40, v42
	v_fmac_f32_e32 v17, v41, v39
	s_branch .LBB219_13
.LBB219_16:
	s_or_b32 exec_lo, exec_lo, s14
.LBB219_17:
	s_or_b32 exec_lo, exec_lo, s11
	s_load_dword s2, s[4:5], 0x30
	s_waitcnt vmcnt(0) lgkmcnt(0)
	; wave barrier
	buffer_gl0_inv
	s_mov_b32 s3, exec_lo
	v_cmpx_eq_u32_e32 0, v1
	s_cbranch_execz .LBB219_44
; %bb.18:
	v_mbcnt_lo_u32_b32 v2, -1, 0
	v_xor_b32_e32 v1, 16, v2
	v_xor_b32_e32 v4, 8, v2
	v_xor_b32_e32 v5, 4, v2
	v_cmp_gt_i32_e32 vcc_lo, 32, v1
	v_cndmask_b32_e32 v1, v2, v1, vcc_lo
	v_cmp_gt_i32_e32 vcc_lo, 32, v4
	v_lshlrev_b32_e32 v1, 2, v1
	v_cndmask_b32_e32 v4, v2, v4, vcc_lo
	v_cmp_gt_i32_e32 vcc_lo, 32, v5
	ds_bpermute_b32 v3, v1, v18
	v_lshlrev_b32_e32 v4, 2, v4
	v_cndmask_b32_e32 v5, v2, v5, vcc_lo
	v_lshlrev_b32_e32 v5, 2, v5
	s_waitcnt lgkmcnt(0)
	v_add_f32_e32 v3, v18, v3
	ds_bpermute_b32 v6, v4, v3
	s_waitcnt lgkmcnt(0)
	v_add_f32_e32 v3, v3, v6
	v_xor_b32_e32 v6, 2, v2
	ds_bpermute_b32 v7, v5, v3
	v_cmp_gt_i32_e32 vcc_lo, 32, v6
	v_cndmask_b32_e32 v6, v2, v6, vcc_lo
	v_lshlrev_b32_e32 v6, 2, v6
	s_waitcnt lgkmcnt(0)
	v_add_f32_e32 v3, v3, v7
	v_xor_b32_e32 v7, 1, v2
	ds_bpermute_b32 v8, v6, v3
	v_cmp_gt_i32_e32 vcc_lo, 32, v7
	v_cndmask_b32_e32 v2, v2, v7, vcc_lo
	v_cmp_ne_u32_e32 vcc_lo, 1, v16
	v_lshlrev_b32_e32 v7, 2, v2
	s_waitcnt lgkmcnt(0)
	v_add_f32_e32 v2, v3, v8
	ds_bpermute_b32 v3, v7, v2
	s_cbranch_vccnz .LBB219_20
; %bb.19:
	ds_bpermute_b32 v1, v1, v17
	s_waitcnt lgkmcnt(0)
	v_add_f32_e32 v1, v17, v1
	ds_bpermute_b32 v4, v4, v1
	s_waitcnt lgkmcnt(0)
	v_add_f32_e32 v1, v1, v4
	;; [unrolled: 3-line block ×5, first 2 shown]
.LBB219_20:
	v_cmp_eq_u32_e32 vcc_lo, 0, v0
	s_and_b32 exec_lo, exec_lo, vcc_lo
	s_cbranch_execz .LBB219_44
; %bb.21:
	s_waitcnt lgkmcnt(0)
	v_add_f32_e32 v1, v2, v3
	v_cmp_ne_u32_e32 vcc_lo, 1, v16
	v_add_f32_e32 v2, v15, v1
	v_cndmask_b32_e64 v1, v1, v2, s0
	s_cbranch_vccnz .LBB219_43
; %bb.22:
	v_add_f32_e32 v2, v14, v17
	s_cmp_lt_i32 s2, 2
	s_mov_b32 s0, 0
	v_cndmask_b32_e64 v2, v17, v2, s1
	s_cbranch_scc1 .LBB219_26
; %bb.23:
	s_cmp_gt_i32 s2, 2
	s_cbranch_scc0 .LBB219_27
; %bb.24:
	s_cmp_eq_u32 s2, 3
	s_cbranch_scc0 .LBB219_28
; %bb.25:
	v_max_f32_e32 v3, v2, v2
	s_mov_b32 s1, 0
	v_min_f32_e32 v3, 0x40e00000, v3
	v_mul_f32_e32 v4, 0xbfd9db23, v3
	v_mul_f32_e32 v5, 0x3fb8aa3b, v4
	v_cmp_ngt_f32_e32 vcc_lo, 0xc2ce8ed0, v4
	v_fma_f32 v6, 0x3fb8aa3b, v4, -v5
	v_rndne_f32_e32 v7, v5
	v_fmamk_f32 v6, v4, 0x32a5705f, v6
	v_sub_f32_e32 v5, v5, v7
	v_add_f32_e32 v5, v5, v6
	v_cvt_i32_f32_e32 v6, v7
	v_exp_f32_e32 v5, v5
	v_ldexp_f32 v5, v5, v6
	v_cndmask_b32_e32 v5, 0, v5, vcc_lo
	v_cmp_nlt_f32_e32 vcc_lo, 0x42b17218, v4
	v_cndmask_b32_e32 v4, 0x7f800000, v5, vcc_lo
	v_add_f32_e32 v4, 1.0, v4
	v_div_scale_f32 v5, null, v4, v4, v3
	v_div_scale_f32 v8, vcc_lo, v3, v4, v3
	v_rcp_f32_e32 v6, v5
	v_fma_f32 v7, -v5, v6, 1.0
	v_fmac_f32_e32 v6, v7, v6
	v_mul_f32_e32 v7, v8, v6
	v_fma_f32 v9, -v5, v7, v8
	v_fmac_f32_e32 v7, v9, v6
	v_max_f32_e32 v9, v1, v1
	v_fma_f32 v5, -v5, v7, v8
	v_min_f32_e32 v8, 0x40e00000, v9
	v_div_fmas_f32 v5, v5, v6, v7
	v_max_f32_e32 v6, 0xc0e00000, v8
	v_div_fixup_f32 v3, v5, v4, v3
	v_add_f32_e32 v4, 1.0, v6
	v_mul_f32_e32 v3, v4, v3
	s_branch .LBB219_29
.LBB219_26:
	s_mov_b32 s1, 0
                                        ; implicit-def: $vgpr3
	s_cbranch_execnz .LBB219_33
	s_branch .LBB219_34
.LBB219_27:
	s_mov_b32 s3, -1
	s_mov_b32 s1, 0
                                        ; implicit-def: $vgpr3
	s_branch .LBB219_30
.LBB219_28:
	s_mov_b32 s1, -1
                                        ; implicit-def: $vgpr3
.LBB219_29:
	s_mov_b32 s3, 0
.LBB219_30:
	s_and_b32 vcc_lo, exec_lo, s3
	s_cbranch_vccz .LBB219_32
; %bb.31:
	v_mul_f32_e32 v3, 0xbfb8aa3b, v2
	v_cmp_nlt_f32_e32 vcc_lo, 0x42ce8ed0, v2
	v_rndne_f32_e32 v4, v3
	v_fma_f32 v5, 0xbfb8aa3b, v2, -v3
	v_sub_f32_e32 v3, v3, v4
	v_fmamk_f32 v5, v2, 0xb2a5705f, v5
	v_cvt_i32_f32_e32 v4, v4
	v_add_f32_e32 v3, v3, v5
	v_exp_f32_e32 v3, v3
	v_ldexp_f32 v3, v3, v4
	v_cndmask_b32_e32 v3, 0, v3, vcc_lo
	v_cmp_ngt_f32_e32 vcc_lo, 0xc2b17218, v2
	v_cndmask_b32_e32 v3, 0x7f800000, v3, vcc_lo
	v_add_f32_e32 v3, 1.0, v3
	v_div_scale_f32 v4, null, v3, v3, v2
	v_rcp_f32_e32 v5, v4
	v_fma_f32 v6, -v4, v5, 1.0
	v_fmac_f32_e32 v5, v6, v5
	v_div_scale_f32 v6, vcc_lo, v2, v3, v2
	v_mul_f32_e32 v7, v6, v5
	v_fma_f32 v8, -v4, v7, v6
	v_fmac_f32_e32 v7, v8, v5
	v_fma_f32 v4, -v4, v7, v6
	v_div_fmas_f32 v4, v4, v5, v7
	v_div_fixup_f32 v3, v4, v3, v2
	v_mul_f32_e32 v3, v1, v3
.LBB219_32:
	s_branch .LBB219_34
.LBB219_33:
	s_cmp_lg_u32 s2, 1
	s_mov_b32 s0, -1
	s_cselect_b32 s1, -1, 0
.LBB219_34:
	s_andn2_b32 vcc_lo, exec_lo, s1
	s_cbranch_vccz .LBB219_36
; %bb.35:
	s_andn2_b32 vcc_lo, exec_lo, s0
	s_cbranch_vccz .LBB219_37
	s_branch .LBB219_42
.LBB219_36:
	v_mul_f32_e32 v3, v2, v1
	s_cbranch_execnz .LBB219_42
.LBB219_37:
	v_mul_f32_e32 v3, 0x3d372713, v2
	v_mul_f32_e32 v4, 0x3f4c422a, v2
	v_fma_f32 v3, v2, v3, 1.0
	v_mul_f32_e32 v3, v4, v3
                                        ; implicit-def: $vgpr4
	v_cmp_ngt_f32_e64 s0, 0x3f200000, |v3|
	s_and_saveexec_b32 s1, s0
	s_xor_b32 s0, exec_lo, s1
	s_cbranch_execz .LBB219_39
; %bb.38:
	v_add_f32_e64 v4, |v3|, |v3|
	v_mul_f32_e32 v5, 0x3fb8aa3b, v4
	v_cmp_ngt_f32_e32 vcc_lo, 0xc2ce8ed0, v4
	v_rndne_f32_e32 v6, v5
	v_fma_f32 v7, 0x3fb8aa3b, v4, -v5
	v_sub_f32_e32 v5, v5, v6
	v_fmamk_f32 v7, v4, 0x32a5705f, v7
	v_cvt_i32_f32_e32 v6, v6
	v_add_f32_e32 v5, v5, v7
	v_exp_f32_e32 v5, v5
	v_ldexp_f32 v5, v5, v6
	v_cndmask_b32_e32 v5, 0, v5, vcc_lo
	v_cmp_nlt_f32_e32 vcc_lo, 0x42b17218, v4
	v_cndmask_b32_e32 v4, 0x7f800000, v5, vcc_lo
	v_add_f32_e32 v4, 1.0, v4
	v_rcp_f32_e32 v4, v4
	v_fma_f32 v4, v4, -2.0, 1.0
.LBB219_39:
	s_andn2_saveexec_b32 s0, s0
	s_cbranch_execz .LBB219_41
; %bb.40:
	v_mul_f32_e32 v4, v3, v3
	s_mov_b32 s1, 0xbbbac73d
	v_fmaak_f32 v5, s1, v4, 0x3ca908c9
	v_fmaak_f32 v5, v4, v5, 0xbd5c1c4e
	;; [unrolled: 1-line block ×4, first 2 shown]
	v_mul_f32_e64 v5, |v3|, v5
	v_fma_f32 v4, v4, v5, |v3|
.LBB219_41:
	s_or_b32 exec_lo, exec_lo, s0
	v_bfi_b32 v3, 0x7fffffff, v4, v3
	v_mul_f32_e32 v2, 0.5, v2
	v_add_f32_e32 v3, 1.0, v3
	v_mul_f32_e32 v2, v2, v3
	v_mul_f32_e32 v3, v1, v2
.LBB219_42:
	v_mov_b32_e32 v1, v3
.LBB219_43:
	s_load_dwordx2 s[0:1], s[4:5], 0x38
	s_mul_i32 s2, s22, s10
	s_mul_i32 s3, s26, s8
	s_add_i32 s2, s2, s6
	v_lshlrev_b32_e32 v0, 2, v0
	s_add_i32 s2, s2, s3
	s_mov_b32 s3, 0
	s_lshl_b64 s[2:3], s[2:3], 2
	s_waitcnt lgkmcnt(0)
	s_add_u32 s0, s0, s2
	s_addc_u32 s1, s1, s3
	global_store_dword v0, v1, s[0:1]
.LBB219_44:
	s_endpgm
	.section	.rodata,"a",@progbits
	.p2align	6, 0x0
	.amdhsa_kernel _ZL13mul_mat_vec_qIL9ggml_type29ELi1ELb1ELb0EEvPKvS2_PKi31ggml_cuda_mm_fusion_args_devicePfj15HIP_vector_typeIjLj3EEjjjS8_jjjS8_jjjj
		.amdhsa_group_segment_fixed_size 0
		.amdhsa_private_segment_fixed_size 0
		.amdhsa_kernarg_size 144
		.amdhsa_user_sgpr_count 6
		.amdhsa_user_sgpr_private_segment_buffer 1
		.amdhsa_user_sgpr_dispatch_ptr 0
		.amdhsa_user_sgpr_queue_ptr 0
		.amdhsa_user_sgpr_kernarg_segment_ptr 1
		.amdhsa_user_sgpr_dispatch_id 0
		.amdhsa_user_sgpr_flat_scratch_init 0
		.amdhsa_user_sgpr_private_segment_size 0
		.amdhsa_wavefront_size32 1
		.amdhsa_uses_dynamic_stack 0
		.amdhsa_system_sgpr_private_segment_wavefront_offset 0
		.amdhsa_system_sgpr_workgroup_id_x 1
		.amdhsa_system_sgpr_workgroup_id_y 1
		.amdhsa_system_sgpr_workgroup_id_z 1
		.amdhsa_system_sgpr_workgroup_info 0
		.amdhsa_system_vgpr_workitem_id 1
		.amdhsa_next_free_vgpr 54
		.amdhsa_next_free_sgpr 40
		.amdhsa_reserve_vcc 1
		.amdhsa_reserve_flat_scratch 0
		.amdhsa_float_round_mode_32 0
		.amdhsa_float_round_mode_16_64 0
		.amdhsa_float_denorm_mode_32 3
		.amdhsa_float_denorm_mode_16_64 3
		.amdhsa_dx10_clamp 1
		.amdhsa_ieee_mode 1
		.amdhsa_fp16_overflow 0
		.amdhsa_workgroup_processor_mode 1
		.amdhsa_memory_ordered 1
		.amdhsa_forward_progress 1
		.amdhsa_shared_vgpr_count 0
		.amdhsa_exception_fp_ieee_invalid_op 0
		.amdhsa_exception_fp_denorm_src 0
		.amdhsa_exception_fp_ieee_div_zero 0
		.amdhsa_exception_fp_ieee_overflow 0
		.amdhsa_exception_fp_ieee_underflow 0
		.amdhsa_exception_fp_ieee_inexact 0
		.amdhsa_exception_int_div_zero 0
	.end_amdhsa_kernel
	.section	.text._ZL13mul_mat_vec_qIL9ggml_type29ELi1ELb1ELb0EEvPKvS2_PKi31ggml_cuda_mm_fusion_args_devicePfj15HIP_vector_typeIjLj3EEjjjS8_jjjS8_jjjj,"axG",@progbits,_ZL13mul_mat_vec_qIL9ggml_type29ELi1ELb1ELb0EEvPKvS2_PKi31ggml_cuda_mm_fusion_args_devicePfj15HIP_vector_typeIjLj3EEjjjS8_jjjS8_jjjj,comdat
.Lfunc_end219:
	.size	_ZL13mul_mat_vec_qIL9ggml_type29ELi1ELb1ELb0EEvPKvS2_PKi31ggml_cuda_mm_fusion_args_devicePfj15HIP_vector_typeIjLj3EEjjjS8_jjjS8_jjjj, .Lfunc_end219-_ZL13mul_mat_vec_qIL9ggml_type29ELi1ELb1ELb0EEvPKvS2_PKi31ggml_cuda_mm_fusion_args_devicePfj15HIP_vector_typeIjLj3EEjjjS8_jjjS8_jjjj
                                        ; -- End function
	.set _ZL13mul_mat_vec_qIL9ggml_type29ELi1ELb1ELb0EEvPKvS2_PKi31ggml_cuda_mm_fusion_args_devicePfj15HIP_vector_typeIjLj3EEjjjS8_jjjS8_jjjj.num_vgpr, 54
	.set _ZL13mul_mat_vec_qIL9ggml_type29ELi1ELb1ELb0EEvPKvS2_PKi31ggml_cuda_mm_fusion_args_devicePfj15HIP_vector_typeIjLj3EEjjjS8_jjjS8_jjjj.num_agpr, 0
	.set _ZL13mul_mat_vec_qIL9ggml_type29ELi1ELb1ELb0EEvPKvS2_PKi31ggml_cuda_mm_fusion_args_devicePfj15HIP_vector_typeIjLj3EEjjjS8_jjjS8_jjjj.numbered_sgpr, 40
	.set _ZL13mul_mat_vec_qIL9ggml_type29ELi1ELb1ELb0EEvPKvS2_PKi31ggml_cuda_mm_fusion_args_devicePfj15HIP_vector_typeIjLj3EEjjjS8_jjjS8_jjjj.num_named_barrier, 0
	.set _ZL13mul_mat_vec_qIL9ggml_type29ELi1ELb1ELb0EEvPKvS2_PKi31ggml_cuda_mm_fusion_args_devicePfj15HIP_vector_typeIjLj3EEjjjS8_jjjS8_jjjj.private_seg_size, 0
	.set _ZL13mul_mat_vec_qIL9ggml_type29ELi1ELb1ELb0EEvPKvS2_PKi31ggml_cuda_mm_fusion_args_devicePfj15HIP_vector_typeIjLj3EEjjjS8_jjjS8_jjjj.uses_vcc, 1
	.set _ZL13mul_mat_vec_qIL9ggml_type29ELi1ELb1ELb0EEvPKvS2_PKi31ggml_cuda_mm_fusion_args_devicePfj15HIP_vector_typeIjLj3EEjjjS8_jjjS8_jjjj.uses_flat_scratch, 0
	.set _ZL13mul_mat_vec_qIL9ggml_type29ELi1ELb1ELb0EEvPKvS2_PKi31ggml_cuda_mm_fusion_args_devicePfj15HIP_vector_typeIjLj3EEjjjS8_jjjS8_jjjj.has_dyn_sized_stack, 0
	.set _ZL13mul_mat_vec_qIL9ggml_type29ELi1ELb1ELb0EEvPKvS2_PKi31ggml_cuda_mm_fusion_args_devicePfj15HIP_vector_typeIjLj3EEjjjS8_jjjS8_jjjj.has_recursion, 0
	.set _ZL13mul_mat_vec_qIL9ggml_type29ELi1ELb1ELb0EEvPKvS2_PKi31ggml_cuda_mm_fusion_args_devicePfj15HIP_vector_typeIjLj3EEjjjS8_jjjS8_jjjj.has_indirect_call, 0
	.section	.AMDGPU.csdata,"",@progbits
; Kernel info:
; codeLenInByte = 3284
; TotalNumSgprs: 42
; NumVgprs: 54
; ScratchSize: 0
; MemoryBound: 0
; FloatMode: 240
; IeeeMode: 1
; LDSByteSize: 0 bytes/workgroup (compile time only)
; SGPRBlocks: 0
; VGPRBlocks: 6
; NumSGPRsForWavesPerEU: 42
; NumVGPRsForWavesPerEU: 54
; Occupancy: 16
; WaveLimiterHint : 0
; COMPUTE_PGM_RSRC2:SCRATCH_EN: 0
; COMPUTE_PGM_RSRC2:USER_SGPR: 6
; COMPUTE_PGM_RSRC2:TRAP_HANDLER: 0
; COMPUTE_PGM_RSRC2:TGID_X_EN: 1
; COMPUTE_PGM_RSRC2:TGID_Y_EN: 1
; COMPUTE_PGM_RSRC2:TGID_Z_EN: 1
; COMPUTE_PGM_RSRC2:TIDIG_COMP_CNT: 1
	.section	.text._ZL13mul_mat_vec_qIL9ggml_type29ELi1ELb0ELb0EEvPKvS2_PKi31ggml_cuda_mm_fusion_args_devicePfj15HIP_vector_typeIjLj3EEjjjS8_jjjS8_jjjj,"axG",@progbits,_ZL13mul_mat_vec_qIL9ggml_type29ELi1ELb0ELb0EEvPKvS2_PKi31ggml_cuda_mm_fusion_args_devicePfj15HIP_vector_typeIjLj3EEjjjS8_jjjS8_jjjj,comdat
	.globl	_ZL13mul_mat_vec_qIL9ggml_type29ELi1ELb0ELb0EEvPKvS2_PKi31ggml_cuda_mm_fusion_args_devicePfj15HIP_vector_typeIjLj3EEjjjS8_jjjS8_jjjj ; -- Begin function _ZL13mul_mat_vec_qIL9ggml_type29ELi1ELb0ELb0EEvPKvS2_PKi31ggml_cuda_mm_fusion_args_devicePfj15HIP_vector_typeIjLj3EEjjjS8_jjjS8_jjjj
	.p2align	8
	.type	_ZL13mul_mat_vec_qIL9ggml_type29ELi1ELb0ELb0EEvPKvS2_PKi31ggml_cuda_mm_fusion_args_devicePfj15HIP_vector_typeIjLj3EEjjjS8_jjjS8_jjjj,@function
_ZL13mul_mat_vec_qIL9ggml_type29ELi1ELb0ELb0EEvPKvS2_PKi31ggml_cuda_mm_fusion_args_devicePfj15HIP_vector_typeIjLj3EEjjjS8_jjjS8_jjjj: ; @_ZL13mul_mat_vec_qIL9ggml_type29ELi1ELb0ELb0EEvPKvS2_PKi31ggml_cuda_mm_fusion_args_devicePfj15HIP_vector_typeIjLj3EEjjjS8_jjjS8_jjjj
; %bb.0:
	s_clause 0x1
	s_load_dwordx2 s[0:1], s[4:5], 0x10
	s_load_dwordx4 s[16:19], s[4:5], 0x40
	s_mov_b32 s10, s7
	s_waitcnt lgkmcnt(0)
	s_cmp_lg_u64 s[0:1], 0
	s_cselect_b32 s7, -1, 0
	s_cmp_eq_u64 s[0:1], 0
	s_cbranch_scc1 .LBB220_5
; %bb.1:
	s_mov_b32 s11, 0
	s_lshl_b64 s[2:3], s[10:11], 2
	s_add_u32 s0, s0, s2
	s_addc_u32 s1, s1, s3
	s_load_dword s20, s[0:1], 0x0
	s_clause 0x1
	s_load_dwordx4 s[0:3], s[4:5], 0x68
	s_load_dword s21, s[4:5], 0x50
	s_cbranch_execnz .LBB220_3
.LBB220_2:
	s_load_dwordx2 s[12:13], s[4:5], 0x5c
	s_waitcnt lgkmcnt(0)
	s_mul_hi_u32 s9, s12, s10
	s_add_i32 s9, s10, s9
	s_lshr_b32 s20, s9, s13
.LBB220_3:
	s_load_dword s11, s[4:5], 0x78
	s_andn2_b32 vcc_lo, exec_lo, s7
	s_cbranch_vccnz .LBB220_6
; %bb.4:
	s_mul_hi_u32 s7, s17, s10
	s_add_i32 s7, s10, s7
	s_lshr_b32 s7, s7, s18
	s_mul_i32 s7, s7, s19
	s_sub_i32 s17, s10, s7
	s_branch .LBB220_7
.LBB220_5:
                                        ; implicit-def: $sgpr20
	s_clause 0x1
	s_load_dwordx4 s[0:3], s[4:5], 0x68
	s_load_dword s21, s[4:5], 0x50
	s_branch .LBB220_2
.LBB220_6:
	s_mov_b32 s17, s10
.LBB220_7:
	s_load_dwordx4 s[12:15], s[4:5], 0x80
	v_lshl_or_b32 v2, v1, 5, v0
	v_mov_b32_e32 v4, 0
	s_lshr_b32 s9, s16, 8
	s_mov_b32 s7, exec_lo
	v_lshrrev_b32_e32 v5, 3, v2
	v_cmpx_gt_u32_e64 s9, v5
	s_cbranch_execz .LBB220_11
; %bb.8:
	v_lshrrev_b32_e32 v2, 3, v2
	s_waitcnt lgkmcnt(0)
	s_mul_i32 s1, s17, s1
	v_and_b32_e32 v8, 7, v0
	s_mul_hi_u32 s17, s1, 36
	s_mul_i32 s16, s1, 36
	s_mul_i32 s1, s13, s8
	v_mad_u64_u32 v[2:3], null, 0x120, v2, s[16:17]
	s_load_dwordx4 s[16:19], s[4:5], 0x0
	v_and_b32_e32 v7, 1, v0
	v_bfe_u32 v9, v0, 1, 2
	s_mul_i32 s21, s21, s6
	v_mov_b32_e32 v4, 0
	v_lshlrev_b32_e32 v6, 1, v8
	v_mad_u64_u32 v[2:3], null, s1, 36, v[2:3]
	v_cmp_eq_u32_e32 vcc_lo, 1, v7
	s_mul_hi_u32 s1, s3, s8
	v_lshlrev_b32_e32 v9, 1, v9
	s_add_i32 s1, s8, s1
	v_mov_b32_e32 v10, 0xf0
	v_cndmask_b32_e64 v7, 0, 6, vcc_lo
	v_mad_u64_u32 v[2:3], null, v8, 36, v[2:3]
	s_lshr_b32 s1, s1, s11
	v_lshlrev_b32_e32 v8, 2, v8
	s_mul_i32 s1, s1, s12
	v_mov_b32_e32 v11, 0xffff
	v_mov_b32_e32 v12, 8
	s_mul_i32 s0, s20, s0
	s_waitcnt lgkmcnt(0)
	v_add_co_u32 v2, vcc_lo, s18, v2
	v_add_co_ci_u32_e64 v3, null, s19, v3, vcc_lo
	s_add_i32 s1, s1, s21
	v_add_co_u32 v2, vcc_lo, v2, 32
	v_add_co_ci_u32_e64 v3, null, 0, v3, vcc_lo
	s_add_i32 s3, s0, s1
	s_mov_b32 s1, 0
	s_mov_b32 s11, 0xbd000000
.LBB220_9:                              ; =>This Inner Loop Header: Depth=1
	v_add_nc_u32_e32 v13, s3, v5
	s_getpc_b64 s[12:13]
	s_add_u32 s12, s12, _ZL13iq1s_grid_gpu@rel32@lo+4
	s_addc_u32 s13, s13, _ZL13iq1s_grid_gpu@rel32@hi+12
	v_mov_b32_e32 v36, 0
	v_mov_b32_e32 v34, 0
	;; [unrolled: 1-line block ×3, first 2 shown]
	v_mad_i64_i32 v[21:22], null, v13, 56, s[16:17]
	v_mov_b32_e32 v33, 0
	v_add_nc_u32_e32 v5, 4, v5
	v_cmp_le_u32_e64 s0, s9, v5
	v_add_co_u32 v13, vcc_lo, v21, v8
	v_add_co_ci_u32_e64 v14, null, 0, v22, vcc_lo
	v_add_co_u32 v15, vcc_lo, v21, v6
	v_add_co_ci_u32_e64 v16, null, 0, v22, vcc_lo
	;; [unrolled: 2-line block ×3, first 2 shown]
	s_clause 0x2
	global_load_dword v23, v[13:14], off
	global_load_ushort v24, v[15:16], off offset:32
	global_load_ushort v25, v[17:18], off offset:48
	s_clause 0x1
	global_load_dwordx4 v[13:16], v[2:3], off offset:-32
	global_load_dwordx4 v[17:20], v[2:3], off offset:-16
	global_load_dwordx2 v[21:22], v[21:22], off offset:48
	s_or_b32 s1, s0, s1
	s_waitcnt vmcnt(5)
	v_and_b32_e32 v26, 0xff, v23
	s_waitcnt vmcnt(4)
	v_and_b32_sdwa v27, v11, v24 dst_sel:DWORD dst_unused:UNUSED_PAD src0_sel:DWORD src1_sel:BYTE_1
	v_lshlrev_b32_e32 v29, 8, v24
	v_bfe_u32 v31, v23, 16, 8
	v_bfe_u32 v28, v23, 8, 8
	v_lshlrev_b32_e32 v30, 4, v24
	v_lshrrev_b32_e32 v32, 4, v27
	v_lshlrev_b32_e32 v27, 8, v27
	v_and_or_b32 v26, 0x700, v29, v26
	s_waitcnt vmcnt(0)
	v_pk_lshrrev_b16 v21, 0x8000c, v21
	v_and_or_b32 v28, 0x700, v30, v28
	v_alignbit_b32 v23, v32, v23, 24
	v_and_or_b32 v27, 0x700, v27, v31
	v_lshlrev_b32_e32 v26, 2, v26
	v_mov_b32_e32 v30, 0
	v_lshlrev_b32_e32 v28, 2, v28
	v_and_b32_e32 v23, 0x7ff, v23
	v_lshlrev_b32_e32 v27, 2, v27
	s_clause 0x1
	global_load_dword v26, v26, s[12:13]
	global_load_dword v28, v28, s[12:13]
	v_mov_b32_e32 v31, 0
	v_lshlrev_b32_e32 v23, 2, v23
	s_clause 0x1
	global_load_dword v27, v27, s[12:13]
	global_load_dword v23, v23, s[12:13]
	global_load_dword v29, v[2:3], off
	v_dot4c_i32_i8 v31, 0x1010101, v18
	v_dot4c_i32_i8 v30, 0x1010101, v14
	v_lshrrev_b32_e32 v25, v7, v25
	v_bfe_u32 v37, v24, 4, 4
	v_and_b32_sdwa v38, v24, v12 dst_sel:DWORD dst_unused:UNUSED_PAD src0_sel:BYTE_1 src1_sel:DWORD
	v_and_b32_e32 v24, 8, v24
	v_dot4c_i32_i8 v31, 0x1010101, v19
	v_dot4c_i32_i8 v30, 0x1010101, v15
	v_and_b32_sdwa v39, v21, v10 dst_sel:DWORD dst_unused:UNUSED_PAD src0_sel:WORD_1 src1_sel:DWORD
	v_lshlrev_b32_e32 v40, 1, v25
	v_cvt_f32_ubyte0_e32 v38, v38
	v_cvt_f32_ubyte0_e32 v24, v24
	v_and_b32_e32 v37, 8, v37
	v_cvt_f32_i32_e32 v31, v31
	v_cvt_f32_i32_e32 v30, v30
	v_or_b32_e32 v21, v39, v21
	v_fmaak_f32 v38, s11, v38, 0xbf600000
	v_fmaak_f32 v24, s11, v24, 0xbf600000
	v_and_b32_e32 v32, 8, v32
	v_cvt_f32_ubyte0_e32 v37, v37
	v_and_b32_e32 v39, 14, v40
	v_dot4c_i32_i8 v34, 0x1010101, v20
	v_fma_f32 v24, v24, v30, 0
	v_fma_f32 v30, v38, v31, 0
	v_cvt_f32_ubyte0_e32 v31, v32
	v_fmaak_f32 v32, s11, v37, 0xbf600000
	v_or_b32_e32 v37, 1, v39
	v_dot4c_i32_i8 v33, 0x1010101, v16
	v_pk_lshrrev_b16 v22, 4, v22
	v_lshrrev_b32_e32 v25, 2, v25
	v_cvt_f32_f16_e32 v13, v13
	v_add_co_u32 v2, vcc_lo, 0x480, v2
	v_dot4c_i32_i8 v33, 0x1010101, v17
	v_and_b32_e32 v22, 0xf0000f00, v22
	v_and_b32_e32 v25, 14, v25
	v_add_co_ci_u32_e64 v3, null, 0, v3, vcc_lo
	v_cvt_f32_i32_e32 v33, v33
	v_or_b32_e32 v21, v21, v22
	v_or_b32_e32 v25, 1, v25
	v_fmac_f32_e32 v24, v32, v33
	s_waitcnt vmcnt(4)
	v_and_b32_e32 v38, 0xf0f0f0f, v26
	v_lshrrev_b32_e32 v26, 4, v26
	s_waitcnt vmcnt(3)
	v_and_b32_e32 v40, 0xf0f0f0f, v28
	s_waitcnt vmcnt(2)
	v_lshrrev_b32_e32 v39, 4, v27
	v_and_b32_e32 v27, 0xf0f0f0f, v27
	v_and_b32_e32 v26, 0xf0f0f0f, v26
	v_dot4c_i32_i8 v35, v38, v14
	s_waitcnt vmcnt(1)
	v_and_b32_e32 v14, 0xf0f0f0f, v23
	v_and_b32_e32 v39, 0xf0f0f0f, v39
	v_dot4c_i32_i8 v36, v27, v18
	v_lshrrev_b32_e32 v18, 4, v23
	s_waitcnt vmcnt(0)
	v_dot4c_i32_i8 v34, 0x1010101, v29
	v_dot4c_i32_i8 v35, v26, v15
	;; [unrolled: 1-line block ×3, first 2 shown]
	v_lshrrev_b32_e32 v19, 4, v28
	v_and_b32_e32 v15, 0xf0f0f0f, v18
	v_cvt_f32_i32_e32 v34, v34
	v_dot4c_i32_i8 v35, v40, v16
	v_dot4c_i32_i8 v36, v14, v20
	v_fmaak_f32 v14, s11, v31, 0xbf600000
	v_and_b32_e32 v18, 0xf0f0f0f, v19
	v_cvt_f32_ubyte0_e32 v16, v25
	v_dot4c_i32_i8 v36, v15, v29
	v_fmac_f32_e32 v30, v14, v34
	v_dot4c_i32_i8 v35, v18, v17
	v_or_b32_sdwa v15, v21, v22 dst_sel:DWORD dst_unused:UNUSED_PAD src0_sel:DWORD src1_sel:WORD_1
	v_cvt_f32_ubyte0_e32 v18, v37
	v_cvt_f32_i32_e32 v14, v36
	v_cvt_f32_i32_e32 v17, v35
	v_cvt_f32_f16_e32 v15, v15
	v_add_f32_e32 v14, v30, v14
	v_add_f32_e32 v17, v24, v17
	v_mul_f32_e32 v13, v13, v15
	v_mul_f32_e32 v14, v14, v16
	v_fmac_f32_e32 v14, v17, v18
	v_fmac_f32_e32 v4, v13, v14
	s_andn2_b32 exec_lo, exec_lo, s1
	s_cbranch_execnz .LBB220_9
; %bb.10:
	s_or_b32 exec_lo, exec_lo, s1
.LBB220_11:
	s_or_b32 exec_lo, exec_lo, s7
	s_waitcnt lgkmcnt(0)
	; wave barrier
	buffer_gl0_inv
	s_mov_b32 s0, exec_lo
	v_cmpx_eq_u32_e32 0, v1
	s_cbranch_execz .LBB220_14
; %bb.12:
	v_mbcnt_lo_u32_b32 v1, -1, 0
	v_xor_b32_e32 v2, 16, v1
	v_xor_b32_e32 v3, 8, v1
	v_cmp_gt_i32_e32 vcc_lo, 32, v2
	v_cndmask_b32_e32 v2, v1, v2, vcc_lo
	v_cmp_gt_i32_e32 vcc_lo, 32, v3
	v_lshlrev_b32_e32 v2, 2, v2
	v_cndmask_b32_e32 v3, v1, v3, vcc_lo
	ds_bpermute_b32 v2, v2, v4
	v_lshlrev_b32_e32 v3, 2, v3
	s_waitcnt lgkmcnt(0)
	v_add_f32_e32 v2, v4, v2
	v_xor_b32_e32 v4, 4, v1
	ds_bpermute_b32 v3, v3, v2
	v_cmp_gt_i32_e32 vcc_lo, 32, v4
	v_cndmask_b32_e32 v4, v1, v4, vcc_lo
	v_lshlrev_b32_e32 v4, 2, v4
	s_waitcnt lgkmcnt(0)
	v_add_f32_e32 v2, v2, v3
	ds_bpermute_b32 v3, v4, v2
	v_xor_b32_e32 v4, 2, v1
	v_cmp_gt_i32_e32 vcc_lo, 32, v4
	v_cndmask_b32_e32 v4, v1, v4, vcc_lo
	v_lshlrev_b32_e32 v4, 2, v4
	s_waitcnt lgkmcnt(0)
	v_add_f32_e32 v2, v2, v3
	ds_bpermute_b32 v3, v4, v2
	v_xor_b32_e32 v4, 1, v1
	v_cmp_gt_i32_e32 vcc_lo, 32, v4
	v_cndmask_b32_e32 v1, v1, v4, vcc_lo
	v_cmp_eq_u32_e32 vcc_lo, 0, v0
	v_lshlrev_b32_e32 v4, 2, v1
	s_waitcnt lgkmcnt(0)
	v_add_f32_e32 v1, v2, v3
	ds_bpermute_b32 v2, v4, v1
	s_and_b32 exec_lo, exec_lo, vcc_lo
	s_cbranch_execz .LBB220_14
; %bb.13:
	s_load_dwordx2 s[0:1], s[4:5], 0x38
	s_mul_i32 s2, s2, s10
	s_mul_i32 s3, s14, s8
	s_add_i32 s2, s2, s6
	s_waitcnt lgkmcnt(0)
	v_add_f32_e32 v0, v1, v2
	s_add_i32 s2, s2, s3
	s_mov_b32 s3, 0
	v_mov_b32_e32 v1, 0
	s_lshl_b64 s[2:3], s[2:3], 2
	s_add_u32 s0, s0, s2
	s_addc_u32 s1, s1, s3
	global_store_dword v1, v0, s[0:1]
.LBB220_14:
	s_endpgm
	.section	.rodata,"a",@progbits
	.p2align	6, 0x0
	.amdhsa_kernel _ZL13mul_mat_vec_qIL9ggml_type29ELi1ELb0ELb0EEvPKvS2_PKi31ggml_cuda_mm_fusion_args_devicePfj15HIP_vector_typeIjLj3EEjjjS8_jjjS8_jjjj
		.amdhsa_group_segment_fixed_size 0
		.amdhsa_private_segment_fixed_size 0
		.amdhsa_kernarg_size 144
		.amdhsa_user_sgpr_count 6
		.amdhsa_user_sgpr_private_segment_buffer 1
		.amdhsa_user_sgpr_dispatch_ptr 0
		.amdhsa_user_sgpr_queue_ptr 0
		.amdhsa_user_sgpr_kernarg_segment_ptr 1
		.amdhsa_user_sgpr_dispatch_id 0
		.amdhsa_user_sgpr_flat_scratch_init 0
		.amdhsa_user_sgpr_private_segment_size 0
		.amdhsa_wavefront_size32 1
		.amdhsa_uses_dynamic_stack 0
		.amdhsa_system_sgpr_private_segment_wavefront_offset 0
		.amdhsa_system_sgpr_workgroup_id_x 1
		.amdhsa_system_sgpr_workgroup_id_y 1
		.amdhsa_system_sgpr_workgroup_id_z 1
		.amdhsa_system_sgpr_workgroup_info 0
		.amdhsa_system_vgpr_workitem_id 1
		.amdhsa_next_free_vgpr 41
		.amdhsa_next_free_sgpr 22
		.amdhsa_reserve_vcc 1
		.amdhsa_reserve_flat_scratch 0
		.amdhsa_float_round_mode_32 0
		.amdhsa_float_round_mode_16_64 0
		.amdhsa_float_denorm_mode_32 3
		.amdhsa_float_denorm_mode_16_64 3
		.amdhsa_dx10_clamp 1
		.amdhsa_ieee_mode 1
		.amdhsa_fp16_overflow 0
		.amdhsa_workgroup_processor_mode 1
		.amdhsa_memory_ordered 1
		.amdhsa_forward_progress 1
		.amdhsa_shared_vgpr_count 0
		.amdhsa_exception_fp_ieee_invalid_op 0
		.amdhsa_exception_fp_denorm_src 0
		.amdhsa_exception_fp_ieee_div_zero 0
		.amdhsa_exception_fp_ieee_overflow 0
		.amdhsa_exception_fp_ieee_underflow 0
		.amdhsa_exception_fp_ieee_inexact 0
		.amdhsa_exception_int_div_zero 0
	.end_amdhsa_kernel
	.section	.text._ZL13mul_mat_vec_qIL9ggml_type29ELi1ELb0ELb0EEvPKvS2_PKi31ggml_cuda_mm_fusion_args_devicePfj15HIP_vector_typeIjLj3EEjjjS8_jjjS8_jjjj,"axG",@progbits,_ZL13mul_mat_vec_qIL9ggml_type29ELi1ELb0ELb0EEvPKvS2_PKi31ggml_cuda_mm_fusion_args_devicePfj15HIP_vector_typeIjLj3EEjjjS8_jjjS8_jjjj,comdat
.Lfunc_end220:
	.size	_ZL13mul_mat_vec_qIL9ggml_type29ELi1ELb0ELb0EEvPKvS2_PKi31ggml_cuda_mm_fusion_args_devicePfj15HIP_vector_typeIjLj3EEjjjS8_jjjS8_jjjj, .Lfunc_end220-_ZL13mul_mat_vec_qIL9ggml_type29ELi1ELb0ELb0EEvPKvS2_PKi31ggml_cuda_mm_fusion_args_devicePfj15HIP_vector_typeIjLj3EEjjjS8_jjjS8_jjjj
                                        ; -- End function
	.set _ZL13mul_mat_vec_qIL9ggml_type29ELi1ELb0ELb0EEvPKvS2_PKi31ggml_cuda_mm_fusion_args_devicePfj15HIP_vector_typeIjLj3EEjjjS8_jjjS8_jjjj.num_vgpr, 41
	.set _ZL13mul_mat_vec_qIL9ggml_type29ELi1ELb0ELb0EEvPKvS2_PKi31ggml_cuda_mm_fusion_args_devicePfj15HIP_vector_typeIjLj3EEjjjS8_jjjS8_jjjj.num_agpr, 0
	.set _ZL13mul_mat_vec_qIL9ggml_type29ELi1ELb0ELb0EEvPKvS2_PKi31ggml_cuda_mm_fusion_args_devicePfj15HIP_vector_typeIjLj3EEjjjS8_jjjS8_jjjj.numbered_sgpr, 22
	.set _ZL13mul_mat_vec_qIL9ggml_type29ELi1ELb0ELb0EEvPKvS2_PKi31ggml_cuda_mm_fusion_args_devicePfj15HIP_vector_typeIjLj3EEjjjS8_jjjS8_jjjj.num_named_barrier, 0
	.set _ZL13mul_mat_vec_qIL9ggml_type29ELi1ELb0ELb0EEvPKvS2_PKi31ggml_cuda_mm_fusion_args_devicePfj15HIP_vector_typeIjLj3EEjjjS8_jjjS8_jjjj.private_seg_size, 0
	.set _ZL13mul_mat_vec_qIL9ggml_type29ELi1ELb0ELb0EEvPKvS2_PKi31ggml_cuda_mm_fusion_args_devicePfj15HIP_vector_typeIjLj3EEjjjS8_jjjS8_jjjj.uses_vcc, 1
	.set _ZL13mul_mat_vec_qIL9ggml_type29ELi1ELb0ELb0EEvPKvS2_PKi31ggml_cuda_mm_fusion_args_devicePfj15HIP_vector_typeIjLj3EEjjjS8_jjjS8_jjjj.uses_flat_scratch, 0
	.set _ZL13mul_mat_vec_qIL9ggml_type29ELi1ELb0ELb0EEvPKvS2_PKi31ggml_cuda_mm_fusion_args_devicePfj15HIP_vector_typeIjLj3EEjjjS8_jjjS8_jjjj.has_dyn_sized_stack, 0
	.set _ZL13mul_mat_vec_qIL9ggml_type29ELi1ELb0ELb0EEvPKvS2_PKi31ggml_cuda_mm_fusion_args_devicePfj15HIP_vector_typeIjLj3EEjjjS8_jjjS8_jjjj.has_recursion, 0
	.set _ZL13mul_mat_vec_qIL9ggml_type29ELi1ELb0ELb0EEvPKvS2_PKi31ggml_cuda_mm_fusion_args_devicePfj15HIP_vector_typeIjLj3EEjjjS8_jjjS8_jjjj.has_indirect_call, 0
	.section	.AMDGPU.csdata,"",@progbits
; Kernel info:
; codeLenInByte = 1520
; TotalNumSgprs: 24
; NumVgprs: 41
; ScratchSize: 0
; MemoryBound: 0
; FloatMode: 240
; IeeeMode: 1
; LDSByteSize: 0 bytes/workgroup (compile time only)
; SGPRBlocks: 0
; VGPRBlocks: 5
; NumSGPRsForWavesPerEU: 24
; NumVGPRsForWavesPerEU: 41
; Occupancy: 16
; WaveLimiterHint : 0
; COMPUTE_PGM_RSRC2:SCRATCH_EN: 0
; COMPUTE_PGM_RSRC2:USER_SGPR: 6
; COMPUTE_PGM_RSRC2:TRAP_HANDLER: 0
; COMPUTE_PGM_RSRC2:TGID_X_EN: 1
; COMPUTE_PGM_RSRC2:TGID_Y_EN: 1
; COMPUTE_PGM_RSRC2:TGID_Z_EN: 1
; COMPUTE_PGM_RSRC2:TIDIG_COMP_CNT: 1
	.section	.text._ZL13mul_mat_vec_qIL9ggml_type29ELi2ELb0ELb0EEvPKvS2_PKi31ggml_cuda_mm_fusion_args_devicePfj15HIP_vector_typeIjLj3EEjjjS8_jjjS8_jjjj,"axG",@progbits,_ZL13mul_mat_vec_qIL9ggml_type29ELi2ELb0ELb0EEvPKvS2_PKi31ggml_cuda_mm_fusion_args_devicePfj15HIP_vector_typeIjLj3EEjjjS8_jjjS8_jjjj,comdat
	.globl	_ZL13mul_mat_vec_qIL9ggml_type29ELi2ELb0ELb0EEvPKvS2_PKi31ggml_cuda_mm_fusion_args_devicePfj15HIP_vector_typeIjLj3EEjjjS8_jjjS8_jjjj ; -- Begin function _ZL13mul_mat_vec_qIL9ggml_type29ELi2ELb0ELb0EEvPKvS2_PKi31ggml_cuda_mm_fusion_args_devicePfj15HIP_vector_typeIjLj3EEjjjS8_jjjS8_jjjj
	.p2align	8
	.type	_ZL13mul_mat_vec_qIL9ggml_type29ELi2ELb0ELb0EEvPKvS2_PKi31ggml_cuda_mm_fusion_args_devicePfj15HIP_vector_typeIjLj3EEjjjS8_jjjS8_jjjj,@function
_ZL13mul_mat_vec_qIL9ggml_type29ELi2ELb0ELb0EEvPKvS2_PKi31ggml_cuda_mm_fusion_args_devicePfj15HIP_vector_typeIjLj3EEjjjS8_jjjS8_jjjj: ; @_ZL13mul_mat_vec_qIL9ggml_type29ELi2ELb0ELb0EEvPKvS2_PKi31ggml_cuda_mm_fusion_args_devicePfj15HIP_vector_typeIjLj3EEjjjS8_jjjS8_jjjj
; %bb.0:
	s_clause 0x5
	s_load_dword s9, s[4:5], 0x40
	s_load_dwordx4 s[0:3], s[4:5], 0x50
	s_load_dword s11, s[4:5], 0x60
	s_load_dwordx4 s[12:15], s[4:5], 0x68
	;; [unrolled: 2-line block ×3, first 2 shown]
	v_lshl_or_b32 v2, v1, 5, v0
	v_mov_b32_e32 v6, 0
	v_mov_b32_e32 v8, 0
	v_lshrrev_b32_e32 v7, 3, v2
	s_waitcnt lgkmcnt(0)
	s_lshr_b32 s10, s9, 8
	s_mov_b32 s9, exec_lo
	v_cmpx_gt_u32_e64 s10, v7
	s_cbranch_execz .LBB221_4
; %bb.1:
	s_mul_i32 s13, s13, s7
	s_load_dwordx4 s[20:23], s[4:5], 0x0
	s_mul_hi_u32 s27, s13, 36
	s_mul_i32 s26, s13, 36
	s_mul_i32 s17, s17, s8
	v_mad_u64_u32 v[2:3], null, 0x120, v7, s[26:27]
	v_and_b32_e32 v6, 7, v0
	v_and_b32_e32 v10, 1, v0
	s_mul_hi_u32 s3, s3, s7
	s_mul_hi_u32 s15, s15, s8
	s_add_i32 s3, s7, s3
	s_add_i32 s15, s8, s15
	v_mad_u64_u32 v[2:3], null, s17, 36, v[2:3]
	v_cmp_eq_u32_e32 vcc_lo, 1, v10
	s_mul_i32 s19, s17, 36
	s_lshr_b32 s3, s3, s11
	s_mul_hi_u32 s13, s17, 36
	s_lshr_b32 s11, s15, s24
	s_mul_i32 s3, s3, s12
	v_mad_u64_u32 v[4:5], null, v6, 36, v[2:3]
	s_waitcnt lgkmcnt(0)
	s_add_u32 s12, s22, s19
	s_addc_u32 s13, s23, s13
	v_cndmask_b32_e64 v10, 0, 6, vcc_lo
	s_add_u32 s12, s12, s26
	s_addc_u32 s13, s13, s27
	v_bfe_u32 v13, v0, 1, 2
	v_add_co_u32 v4, vcc_lo, s22, v4
	v_add_co_ci_u32_e64 v5, null, s23, v5, vcc_lo
	v_mad_u64_u32 v[2:3], null, v6, 36, s[12:13]
	v_add_co_u32 v4, vcc_lo, v4, 32
	s_mul_i32 s0, s0, s6
	v_mov_b32_e32 v8, 0
	v_lshlrev_b32_e32 v9, 1, v6
	v_lshl_add_u32 v11, v7, 3, s1
	v_add_co_ci_u32_e64 v5, null, 0, v5, vcc_lo
	v_lshlrev_b32_e32 v12, 2, v6
	v_lshlrev_b32_e32 v13, 1, v13
	v_mov_b32_e32 v14, 0xffff
	v_mov_b32_e32 v15, 0xf0
	;; [unrolled: 1-line block ×3, first 2 shown]
	s_mul_i32 s11, s11, s16
	s_add_i32 s3, s3, s0
	s_mov_b32 s1, 0
	s_add_i32 s3, s11, s3
	s_mov_b32 s11, 0xbd000000
.LBB221_2:                              ; =>This Inner Loop Header: Depth=1
	v_add_nc_u32_e32 v16, s3, v7
	v_mad_u64_u32 v[34:35], null, v11, 36, v[2:3]
	s_getpc_b64 s[12:13]
	s_add_u32 s12, s12, _ZL13iq1s_grid_gpu@rel32@lo+4
	s_addc_u32 s13, s13, _ZL13iq1s_grid_gpu@rel32@hi+12
	v_mov_b32_e32 v53, 0
	v_mad_i64_i32 v[32:33], null, v16, 56, s[20:21]
	v_mov_b32_e32 v48, 0
	v_mov_b32_e32 v54, 0
	;; [unrolled: 1-line block ×6, first 2 shown]
	v_add_co_u32 v16, vcc_lo, v32, v12
	v_add_co_ci_u32_e64 v17, null, 0, v33, vcc_lo
	v_add_co_u32 v18, vcc_lo, v32, v9
	v_add_co_ci_u32_e64 v19, null, 0, v33, vcc_lo
	s_clause 0x1
	global_load_dword v38, v[16:17], off
	global_load_ushort v39, v[18:19], off offset:32
	v_add_co_u32 v36, vcc_lo, v32, v13
	v_add_co_ci_u32_e64 v37, null, 0, v33, vcc_lo
	s_clause 0x2
	global_load_dword v40, v[4:5], off
	global_load_dwordx4 v[16:19], v[4:5], off offset:-32
	global_load_dwordx4 v[20:23], v[4:5], off offset:-16
	s_clause 0x1
	global_load_dwordx4 v[24:27], v[34:35], off
	global_load_dwordx4 v[28:31], v[34:35], off offset:16
	s_clause 0x1
	global_load_ushort v36, v[36:37], off offset:48
	global_load_dwordx2 v[32:33], v[32:33], off offset:48
	v_add_nc_u32_e32 v7, 4, v7
	v_add_co_u32 v4, vcc_lo, 0x480, v4
	v_add_nc_u32_e32 v11, 32, v11
	v_add_co_ci_u32_e64 v5, null, 0, v5, vcc_lo
	v_cmp_le_u32_e64 s0, s10, v7
	s_or_b32 s1, s0, s1
	s_waitcnt vmcnt(8)
	v_and_b32_e32 v41, 0xff, v38
	s_waitcnt vmcnt(7)
	v_and_b32_sdwa v42, v14, v39 dst_sel:DWORD dst_unused:UNUSED_PAD src0_sel:DWORD src1_sel:BYTE_1
	v_lshlrev_b32_e32 v43, 8, v39
	v_bfe_u32 v44, v38, 8, 8
	v_lshlrev_b32_e32 v45, 4, v39
	v_lshrrev_b32_e32 v37, 24, v38
	v_bfe_u32 v38, v38, 16, 8
	v_lshlrev_b32_e32 v46, 8, v42
	v_lshlrev_b32_e32 v47, 4, v42
	v_and_or_b32 v41, 0x700, v43, v41
	v_and_or_b32 v43, 0x700, v45, v44
	v_mov_b32_e32 v44, 0
	v_and_or_b32 v38, 0x700, v46, v38
	v_and_or_b32 v37, 0x700, v47, v37
	v_lshlrev_b32_e32 v41, 2, v41
	v_lshlrev_b32_e32 v43, 2, v43
	v_mov_b32_e32 v47, 0
	v_lshlrev_b32_e32 v38, 2, v38
	v_lshlrev_b32_e32 v37, 2, v37
	s_clause 0x3
	global_load_dword v41, v41, s[12:13]
	global_load_dword v43, v43, s[12:13]
	;; [unrolled: 1-line block ×4, first 2 shown]
	global_load_dword v34, v[34:35], off offset:32
	s_waitcnt vmcnt(5)
	v_pk_lshrrev_b16 v32, 0x8000c, v32
	v_mov_b32_e32 v45, 0
	v_dot4c_i32_i8 v44, 0x1010101, v17
	v_dot4c_i32_i8 v47, 0x1010101, v21
	;; [unrolled: 1-line block ×3, first 2 shown]
	v_and_b32_e32 v55, 8, v39
	v_bfe_u32 v39, v39, 4, 4
	v_pk_lshrrev_b16 v33, 4, v33
	v_and_b32_e32 v56, 8, v42
	v_lshrrev_b32_e32 v42, 4, v42
	v_and_b32_sdwa v57, v32, v15 dst_sel:DWORD dst_unused:UNUSED_PAD src0_sel:WORD_1 src1_sel:DWORD
	v_dot4c_i32_i8 v45, 0x1010101, v19
	v_dot4c_i32_i8 v48, 0x1010101, v23
	;; [unrolled: 1-line block ×6, first 2 shown]
	v_and_b32_e32 v33, 0xf0000f00, v33
	v_cvt_f32_ubyte0_e32 v55, v55
	v_and_b32_e32 v39, 8, v39
	v_or_b32_e32 v32, v57, v32
	v_cvt_f32_ubyte0_e32 v56, v56
	v_and_b32_e32 v42, 8, v42
	v_dot4c_i32_i8 v45, 0x1010101, v20
	v_dot4c_i32_i8 v48, 0x1010101, v40
	;; [unrolled: 1-line block ×3, first 2 shown]
	v_cvt_f32_i32_e32 v47, v47
	v_cvt_f32_i32_e32 v44, v44
	;; [unrolled: 1-line block ×3, first 2 shown]
	v_fmaak_f32 v55, s11, v55, 0xbf600000
	v_cvt_f32_ubyte0_e32 v39, v39
	v_or_b32_e32 v32, v32, v33
	v_fmaak_f32 v56, s11, v56, 0xbf600000
	v_cvt_f32_ubyte0_e32 v42, v42
	v_dot4c_i32_i8 v51, 0x1010101, v27
	v_cvt_f32_i32_e32 v48, v48
	v_cvt_f32_i32_e32 v45, v45
	v_dot4c_i32_i8 v50, 0x1010101, v26
	v_fmaak_f32 v39, s11, v39, 0xbf600000
	v_fma_f32 v44, v55, v44, 0
	v_or_b32_sdwa v32, v32, v33 dst_sel:DWORD dst_unused:UNUSED_PAD src0_sel:DWORD src1_sel:WORD_1
	v_fmaak_f32 v33, s11, v42, 0xbf600000
	v_fma_f32 v47, v56, v47, 0
	v_fma_f32 v53, v56, v53, 0
	v_mov_b32_e32 v35, 0
	v_mov_b32_e32 v46, 0
	v_dot4c_i32_i8 v51, 0x1010101, v28
	v_cvt_f32_i32_e32 v50, v50
	v_fmac_f32_e32 v44, v39, v45
	v_fmac_f32_e32 v47, v33, v48
	v_lshrrev_b32_e32 v36, v10, v36
	v_cvt_f32_i32_e32 v51, v51
	v_fma_f32 v50, v55, v50, 0
	v_cvt_f32_f16_e32 v16, v16
	v_cvt_f32_f16_e32 v24, v24
	v_lshlrev_b32_e32 v58, 1, v36
	v_lshrrev_b32_e32 v36, 2, v36
	v_fmac_f32_e32 v50, v39, v51
	v_cvt_f32_f16_e32 v32, v32
	v_and_b32_e32 v57, 14, v58
	v_and_b32_e32 v36, 14, v36
	v_mul_f32_e32 v16, v32, v16
	v_or_b32_e32 v57, 1, v57
	v_or_b32_e32 v36, 1, v36
	v_cvt_f32_ubyte0_e32 v42, v57
	v_cvt_f32_ubyte0_e32 v36, v36
	s_waitcnt vmcnt(3)
	v_lshrrev_b32_e32 v39, 4, v43
	s_waitcnt vmcnt(2)
	v_and_b32_e32 v45, 0xf0f0f0f, v38
	v_lshrrev_b32_e32 v38, 4, v38
	s_waitcnt vmcnt(0)
	v_dot4c_i32_i8 v54, 0x1010101, v34
	v_and_b32_e32 v43, 0xf0f0f0f, v43
	v_and_b32_e32 v48, 0xf0f0f0f, v37
	v_dot4c_i32_i8 v46, v45, v21
	v_lshrrev_b32_e32 v37, 4, v37
	v_cvt_f32_i32_e32 v54, v54
	v_dot4c_i32_i8 v52, v45, v29
	v_and_b32_e32 v39, 0xf0f0f0f, v39
	v_and_b32_e32 v21, 0xf0f0f0f, v37
	v_fmac_f32_e32 v53, v33, v54
	v_lshrrev_b32_e32 v33, 4, v41
	v_and_b32_e32 v41, 0xf0f0f0f, v41
	v_and_b32_e32 v33, 0xf0f0f0f, v33
	v_dot4c_i32_i8 v35, v41, v17
	v_dot4c_i32_i8 v49, v41, v25
	v_and_b32_e32 v17, 0xf0f0f0f, v38
	v_dot4c_i32_i8 v35, v33, v18
	v_dot4c_i32_i8 v49, v33, v26
	;; [unrolled: 1-line block ×12, first 2 shown]
	v_mul_f32_e32 v21, v32, v24
	v_cvt_f32_i32_e32 v19, v35
	v_cvt_f32_i32_e32 v17, v49
	;; [unrolled: 1-line block ×4, first 2 shown]
	v_add_f32_e32 v19, v44, v19
	v_add_f32_e32 v17, v50, v17
	v_add_f32_e32 v18, v47, v18
	v_add_f32_e32 v20, v53, v20
	v_mul_f32_e32 v17, v17, v42
	v_mul_f32_e32 v18, v18, v36
	v_fmac_f32_e32 v17, v20, v36
	v_fmac_f32_e32 v18, v19, v42
	v_fmac_f32_e32 v6, v21, v17
	v_fmac_f32_e32 v8, v16, v18
	s_andn2_b32 exec_lo, exec_lo, s1
	s_cbranch_execnz .LBB221_2
; %bb.3:
	s_or_b32 exec_lo, exec_lo, s1
.LBB221_4:
	s_or_b32 exec_lo, exec_lo, s9
	s_mov_b32 s1, 0
	; wave barrier
	buffer_gl0_inv
	s_mov_b32 s0, exec_lo
	v_cmpx_eq_u32_e32 0, v1
	s_cbranch_execz .LBB221_9
; %bb.5:
	v_mbcnt_lo_u32_b32 v5, -1, 0
	s_load_dwordx2 s[4:5], s[4:5], 0x38
	s_mul_i32 s0, s14, s7
	s_mul_i32 s3, s18, s8
	s_add_i32 s0, s0, s6
	v_xor_b32_e32 v1, 16, v5
	v_xor_b32_e32 v2, 8, v5
	;; [unrolled: 1-line block ×3, first 2 shown]
	s_add_i32 s0, s0, s3
	s_lshl_b64 s[0:1], s[0:1], 2
	v_cmp_gt_i32_e32 vcc_lo, 32, v1
	v_cndmask_b32_e32 v1, v5, v1, vcc_lo
	v_cmp_gt_i32_e32 vcc_lo, 32, v2
	v_lshlrev_b32_e32 v1, 2, v1
	v_cndmask_b32_e32 v2, v5, v2, vcc_lo
	s_waitcnt lgkmcnt(0)
	s_add_u32 s0, s4, s0
	s_addc_u32 s1, s5, s1
	ds_bpermute_b32 v3, v1, v8
	v_lshlrev_b32_e32 v2, 2, v2
	s_waitcnt lgkmcnt(0)
	v_add_f32_e32 v4, v8, v3
	v_xor_b32_e32 v3, 4, v5
	ds_bpermute_b32 v7, v2, v4
	v_cmp_gt_i32_e32 vcc_lo, 32, v3
	v_cndmask_b32_e32 v3, v5, v3, vcc_lo
	v_lshlrev_b32_e32 v3, 2, v3
	s_waitcnt lgkmcnt(0)
	v_add_f32_e32 v7, v4, v7
	v_xor_b32_e32 v4, 2, v5
	ds_bpermute_b32 v8, v3, v7
	v_cmp_gt_i32_e32 vcc_lo, 32, v4
	v_cndmask_b32_e32 v4, v5, v4, vcc_lo
	v_cmp_gt_i32_e32 vcc_lo, 32, v9
	v_lshlrev_b32_e32 v4, 2, v4
	v_cndmask_b32_e32 v5, v5, v9, vcc_lo
	v_cmp_eq_u32_e32 vcc_lo, 0, v0
	v_lshlrev_b32_e32 v5, 2, v5
	s_waitcnt lgkmcnt(0)
	v_add_f32_e32 v7, v7, v8
	ds_bpermute_b32 v8, v4, v7
	s_waitcnt lgkmcnt(0)
	v_add_f32_e32 v7, v7, v8
	ds_bpermute_b32 v8, v5, v7
	s_and_saveexec_b32 s3, vcc_lo
	s_cbranch_execz .LBB221_7
; %bb.6:
	s_waitcnt lgkmcnt(0)
	v_add_f32_e32 v0, v7, v8
	v_mov_b32_e32 v7, 0
	global_store_dword v7, v0, s[0:1]
.LBB221_7:
	s_or_b32 exec_lo, exec_lo, s3
	ds_bpermute_b32 v0, v1, v6
	s_waitcnt lgkmcnt(0)
	v_add_f32_e32 v0, v6, v0
	ds_bpermute_b32 v1, v2, v0
	s_waitcnt lgkmcnt(0)
	v_add_f32_e32 v0, v0, v1
	;; [unrolled: 3-line block ×4, first 2 shown]
	ds_bpermute_b32 v1, v5, v0
	s_and_b32 exec_lo, exec_lo, vcc_lo
	s_cbranch_execz .LBB221_9
; %bb.8:
	s_mov_b32 s3, 0
	s_waitcnt lgkmcnt(0)
	v_add_f32_e32 v0, v0, v1
	s_lshl_b64 s[2:3], s[2:3], 2
	v_mov_b32_e32 v1, 0
	s_add_u32 s0, s0, s2
	s_addc_u32 s1, s1, s3
	global_store_dword v1, v0, s[0:1]
.LBB221_9:
	s_endpgm
	.section	.rodata,"a",@progbits
	.p2align	6, 0x0
	.amdhsa_kernel _ZL13mul_mat_vec_qIL9ggml_type29ELi2ELb0ELb0EEvPKvS2_PKi31ggml_cuda_mm_fusion_args_devicePfj15HIP_vector_typeIjLj3EEjjjS8_jjjS8_jjjj
		.amdhsa_group_segment_fixed_size 0
		.amdhsa_private_segment_fixed_size 0
		.amdhsa_kernarg_size 144
		.amdhsa_user_sgpr_count 6
		.amdhsa_user_sgpr_private_segment_buffer 1
		.amdhsa_user_sgpr_dispatch_ptr 0
		.amdhsa_user_sgpr_queue_ptr 0
		.amdhsa_user_sgpr_kernarg_segment_ptr 1
		.amdhsa_user_sgpr_dispatch_id 0
		.amdhsa_user_sgpr_flat_scratch_init 0
		.amdhsa_user_sgpr_private_segment_size 0
		.amdhsa_wavefront_size32 1
		.amdhsa_uses_dynamic_stack 0
		.amdhsa_system_sgpr_private_segment_wavefront_offset 0
		.amdhsa_system_sgpr_workgroup_id_x 1
		.amdhsa_system_sgpr_workgroup_id_y 1
		.amdhsa_system_sgpr_workgroup_id_z 1
		.amdhsa_system_sgpr_workgroup_info 0
		.amdhsa_system_vgpr_workitem_id 1
		.amdhsa_next_free_vgpr 59
		.amdhsa_next_free_sgpr 28
		.amdhsa_reserve_vcc 1
		.amdhsa_reserve_flat_scratch 0
		.amdhsa_float_round_mode_32 0
		.amdhsa_float_round_mode_16_64 0
		.amdhsa_float_denorm_mode_32 3
		.amdhsa_float_denorm_mode_16_64 3
		.amdhsa_dx10_clamp 1
		.amdhsa_ieee_mode 1
		.amdhsa_fp16_overflow 0
		.amdhsa_workgroup_processor_mode 1
		.amdhsa_memory_ordered 1
		.amdhsa_forward_progress 1
		.amdhsa_shared_vgpr_count 0
		.amdhsa_exception_fp_ieee_invalid_op 0
		.amdhsa_exception_fp_denorm_src 0
		.amdhsa_exception_fp_ieee_div_zero 0
		.amdhsa_exception_fp_ieee_overflow 0
		.amdhsa_exception_fp_ieee_underflow 0
		.amdhsa_exception_fp_ieee_inexact 0
		.amdhsa_exception_int_div_zero 0
	.end_amdhsa_kernel
	.section	.text._ZL13mul_mat_vec_qIL9ggml_type29ELi2ELb0ELb0EEvPKvS2_PKi31ggml_cuda_mm_fusion_args_devicePfj15HIP_vector_typeIjLj3EEjjjS8_jjjS8_jjjj,"axG",@progbits,_ZL13mul_mat_vec_qIL9ggml_type29ELi2ELb0ELb0EEvPKvS2_PKi31ggml_cuda_mm_fusion_args_devicePfj15HIP_vector_typeIjLj3EEjjjS8_jjjS8_jjjj,comdat
.Lfunc_end221:
	.size	_ZL13mul_mat_vec_qIL9ggml_type29ELi2ELb0ELb0EEvPKvS2_PKi31ggml_cuda_mm_fusion_args_devicePfj15HIP_vector_typeIjLj3EEjjjS8_jjjS8_jjjj, .Lfunc_end221-_ZL13mul_mat_vec_qIL9ggml_type29ELi2ELb0ELb0EEvPKvS2_PKi31ggml_cuda_mm_fusion_args_devicePfj15HIP_vector_typeIjLj3EEjjjS8_jjjS8_jjjj
                                        ; -- End function
	.set _ZL13mul_mat_vec_qIL9ggml_type29ELi2ELb0ELb0EEvPKvS2_PKi31ggml_cuda_mm_fusion_args_devicePfj15HIP_vector_typeIjLj3EEjjjS8_jjjS8_jjjj.num_vgpr, 59
	.set _ZL13mul_mat_vec_qIL9ggml_type29ELi2ELb0ELb0EEvPKvS2_PKi31ggml_cuda_mm_fusion_args_devicePfj15HIP_vector_typeIjLj3EEjjjS8_jjjS8_jjjj.num_agpr, 0
	.set _ZL13mul_mat_vec_qIL9ggml_type29ELi2ELb0ELb0EEvPKvS2_PKi31ggml_cuda_mm_fusion_args_devicePfj15HIP_vector_typeIjLj3EEjjjS8_jjjS8_jjjj.numbered_sgpr, 28
	.set _ZL13mul_mat_vec_qIL9ggml_type29ELi2ELb0ELb0EEvPKvS2_PKi31ggml_cuda_mm_fusion_args_devicePfj15HIP_vector_typeIjLj3EEjjjS8_jjjS8_jjjj.num_named_barrier, 0
	.set _ZL13mul_mat_vec_qIL9ggml_type29ELi2ELb0ELb0EEvPKvS2_PKi31ggml_cuda_mm_fusion_args_devicePfj15HIP_vector_typeIjLj3EEjjjS8_jjjS8_jjjj.private_seg_size, 0
	.set _ZL13mul_mat_vec_qIL9ggml_type29ELi2ELb0ELb0EEvPKvS2_PKi31ggml_cuda_mm_fusion_args_devicePfj15HIP_vector_typeIjLj3EEjjjS8_jjjS8_jjjj.uses_vcc, 1
	.set _ZL13mul_mat_vec_qIL9ggml_type29ELi2ELb0ELb0EEvPKvS2_PKi31ggml_cuda_mm_fusion_args_devicePfj15HIP_vector_typeIjLj3EEjjjS8_jjjS8_jjjj.uses_flat_scratch, 0
	.set _ZL13mul_mat_vec_qIL9ggml_type29ELi2ELb0ELb0EEvPKvS2_PKi31ggml_cuda_mm_fusion_args_devicePfj15HIP_vector_typeIjLj3EEjjjS8_jjjS8_jjjj.has_dyn_sized_stack, 0
	.set _ZL13mul_mat_vec_qIL9ggml_type29ELi2ELb0ELb0EEvPKvS2_PKi31ggml_cuda_mm_fusion_args_devicePfj15HIP_vector_typeIjLj3EEjjjS8_jjjS8_jjjj.has_recursion, 0
	.set _ZL13mul_mat_vec_qIL9ggml_type29ELi2ELb0ELb0EEvPKvS2_PKi31ggml_cuda_mm_fusion_args_devicePfj15HIP_vector_typeIjLj3EEjjjS8_jjjS8_jjjj.has_indirect_call, 0
	.section	.AMDGPU.csdata,"",@progbits
; Kernel info:
; codeLenInByte = 1780
; TotalNumSgprs: 30
; NumVgprs: 59
; ScratchSize: 0
; MemoryBound: 0
; FloatMode: 240
; IeeeMode: 1
; LDSByteSize: 0 bytes/workgroup (compile time only)
; SGPRBlocks: 0
; VGPRBlocks: 7
; NumSGPRsForWavesPerEU: 30
; NumVGPRsForWavesPerEU: 59
; Occupancy: 16
; WaveLimiterHint : 0
; COMPUTE_PGM_RSRC2:SCRATCH_EN: 0
; COMPUTE_PGM_RSRC2:USER_SGPR: 6
; COMPUTE_PGM_RSRC2:TRAP_HANDLER: 0
; COMPUTE_PGM_RSRC2:TGID_X_EN: 1
; COMPUTE_PGM_RSRC2:TGID_Y_EN: 1
; COMPUTE_PGM_RSRC2:TGID_Z_EN: 1
; COMPUTE_PGM_RSRC2:TIDIG_COMP_CNT: 1
	.section	.text._ZL13mul_mat_vec_qIL9ggml_type29ELi3ELb0ELb0EEvPKvS2_PKi31ggml_cuda_mm_fusion_args_devicePfj15HIP_vector_typeIjLj3EEjjjS8_jjjS8_jjjj,"axG",@progbits,_ZL13mul_mat_vec_qIL9ggml_type29ELi3ELb0ELb0EEvPKvS2_PKi31ggml_cuda_mm_fusion_args_devicePfj15HIP_vector_typeIjLj3EEjjjS8_jjjS8_jjjj,comdat
	.globl	_ZL13mul_mat_vec_qIL9ggml_type29ELi3ELb0ELb0EEvPKvS2_PKi31ggml_cuda_mm_fusion_args_devicePfj15HIP_vector_typeIjLj3EEjjjS8_jjjS8_jjjj ; -- Begin function _ZL13mul_mat_vec_qIL9ggml_type29ELi3ELb0ELb0EEvPKvS2_PKi31ggml_cuda_mm_fusion_args_devicePfj15HIP_vector_typeIjLj3EEjjjS8_jjjS8_jjjj
	.p2align	8
	.type	_ZL13mul_mat_vec_qIL9ggml_type29ELi3ELb0ELb0EEvPKvS2_PKi31ggml_cuda_mm_fusion_args_devicePfj15HIP_vector_typeIjLj3EEjjjS8_jjjS8_jjjj,@function
_ZL13mul_mat_vec_qIL9ggml_type29ELi3ELb0ELb0EEvPKvS2_PKi31ggml_cuda_mm_fusion_args_devicePfj15HIP_vector_typeIjLj3EEjjjS8_jjjS8_jjjj: ; @_ZL13mul_mat_vec_qIL9ggml_type29ELi3ELb0ELb0EEvPKvS2_PKi31ggml_cuda_mm_fusion_args_devicePfj15HIP_vector_typeIjLj3EEjjjS8_jjjS8_jjjj
; %bb.0:
	s_clause 0x5
	s_load_dword s9, s[4:5], 0x40
	s_load_dwordx4 s[0:3], s[4:5], 0x50
	s_load_dword s24, s[4:5], 0x60
	s_load_dwordx4 s[12:15], s[4:5], 0x68
	;; [unrolled: 2-line block ×3, first 2 shown]
	v_lshl_or_b32 v2, v1, 5, v0
	v_mov_b32_e32 v6, 0
	v_mov_b32_e32 v7, 0
	v_mov_b32_e32 v9, 0
	v_lshrrev_b32_e32 v8, 3, v2
	s_waitcnt lgkmcnt(0)
	s_lshr_b32 s10, s9, 8
	s_mov_b32 s9, exec_lo
	v_cmpx_gt_u32_e64 s10, v8
	s_cbranch_execz .LBB222_4
; %bb.1:
	s_mul_i32 s13, s13, s7
	s_load_dwordx4 s[20:23], s[4:5], 0x0
	s_mul_hi_u32 s27, s13, 36
	s_mul_i32 s26, s13, 36
	s_mul_i32 s17, s17, s8
	v_mad_u64_u32 v[2:3], null, 0x120, v8, s[26:27]
	v_and_b32_e32 v6, 7, v0
	v_and_b32_e32 v7, 1, v0
	s_mul_hi_u32 s3, s3, s7
	s_mul_hi_u32 s15, s15, s8
	s_add_i32 s3, s7, s3
	s_add_i32 s15, s8, s15
	v_mad_u64_u32 v[2:3], null, s17, 36, v[2:3]
	v_cmp_eq_u32_e32 vcc_lo, 1, v7
	s_mul_i32 s25, s17, 36
	s_lshr_b32 s3, s3, s24
	s_mul_hi_u32 s19, s17, 36
	s_lshr_b32 s11, s15, s11
	s_mul_i32 s3, s3, s12
	v_mad_u64_u32 v[4:5], null, v6, 36, v[2:3]
	s_waitcnt lgkmcnt(0)
	s_add_u32 s12, s22, s25
	s_addc_u32 s13, s23, s19
	v_cndmask_b32_e64 v11, 0, 6, vcc_lo
	s_add_u32 s12, s12, s26
	s_addc_u32 s13, s13, s27
	v_lshlrev_b32_e32 v13, 3, v8
	v_add_co_u32 v4, vcc_lo, s22, v4
	v_bfe_u32 v15, v0, 1, 2
	v_add_co_ci_u32_e64 v5, null, s23, v5, vcc_lo
	v_mad_u64_u32 v[2:3], null, v6, 36, s[12:13]
	v_add_co_u32 v4, vcc_lo, v4, 16
	s_mul_i32 s0, s0, s6
	v_mov_b32_e32 v9, 0
	v_lshlrev_b32_e32 v10, 1, v6
	v_add_nc_u32_e32 v12, s1, v13
	v_lshl_add_u32 v13, s1, 1, v13
	v_add_co_ci_u32_e64 v5, null, 0, v5, vcc_lo
	v_lshlrev_b32_e32 v14, 2, v6
	v_lshlrev_b32_e32 v15, 1, v15
	v_mov_b32_e32 v16, 0xffff
	v_mov_b32_e32 v17, 0xf0
	v_mov_b32_e32 v7, 0
	v_mov_b32_e32 v6, 0
	s_mul_i32 s11, s11, s16
	s_add_i32 s3, s3, s0
	s_mov_b32 s0, 0
	s_add_i32 s1, s11, s3
	s_mov_b32 s3, 0xbd000000
.LBB222_2:                              ; =>This Inner Loop Header: Depth=1
	v_add_nc_u32_e32 v18, s1, v8
	v_mad_u64_u32 v[34:35], null, v12, 36, v[2:3]
	v_mad_u64_u32 v[38:39], null, v13, 36, v[2:3]
	v_mad_i64_i32 v[42:43], null, v18, 56, s[20:21]
	s_getpc_b64 s[12:13]
	s_add_u32 s12, s12, _ZL13iq1s_grid_gpu@rel32@lo+4
	s_addc_u32 s13, s13, _ZL13iq1s_grid_gpu@rel32@hi+12
	v_mov_b32_e32 v55, 0
	v_mov_b32_e32 v56, 0
	v_mov_b32_e32 v59, 0
	v_mov_b32_e32 v58, 0
	v_mov_b32_e32 v57, 0
	v_add_co_u32 v18, vcc_lo, v42, v14
	v_add_co_ci_u32_e64 v19, null, 0, v43, vcc_lo
	v_add_co_u32 v20, vcc_lo, v42, v10
	v_add_co_ci_u32_e64 v21, null, 0, v43, vcc_lo
	s_clause 0x1
	global_load_dword v46, v[18:19], off
	global_load_ushort v47, v[20:21], off offset:32
	v_add_co_u32 v44, vcc_lo, v42, v15
	v_add_co_ci_u32_e64 v45, null, 0, v43, vcc_lo
	s_clause 0x1
	global_load_dwordx4 v[18:21], v[4:5], off offset:-16
	global_load_dwordx4 v[22:25], v[4:5], off
	s_clause 0x5
	global_load_dwordx4 v[26:29], v[34:35], off
	global_load_dwordx4 v[30:33], v[34:35], off offset:16
	global_load_dword v48, v[34:35], off offset:32
	global_load_dwordx4 v[34:37], v[38:39], off
	global_load_dword v49, v[38:39], off offset:32
	global_load_dwordx4 v[38:41], v[38:39], off offset:16
	s_clause 0x1
	global_load_ushort v44, v[44:45], off offset:48
	global_load_dwordx2 v[42:43], v[42:43], off offset:48
	v_add_nc_u32_e32 v8, 4, v8
	v_add_nc_u32_e32 v12, 32, v12
	;; [unrolled: 1-line block ×3, first 2 shown]
	s_waitcnt vmcnt(9)
	v_dot4c_i32_i8 v55, 0x1010101, v19
	v_and_b32_e32 v50, 0xff, v46
	v_lshlrev_b32_e32 v51, 8, v47
	v_bfe_u32 v52, v46, 8, 8
	v_lshlrev_b32_e32 v53, 4, v47
	v_and_b32_sdwa v54, v16, v47 dst_sel:DWORD dst_unused:UNUSED_PAD src0_sel:DWORD src1_sel:BYTE_1
	v_lshrrev_b32_e32 v45, 24, v46
	v_and_or_b32 v50, 0x700, v51, v50
	v_bfe_u32 v46, v46, 16, 8
	v_and_or_b32 v51, 0x700, v53, v52
	v_lshlrev_b32_e32 v52, 8, v54
	v_lshlrev_b32_e32 v53, 4, v54
	v_lshlrev_b32_e32 v50, 2, v50
	v_dot4c_i32_i8 v56, 0x1010101, v21
	v_lshlrev_b32_e32 v51, 2, v51
	s_clause 0x1
	global_load_dword v50, v50, s[12:13]
	global_load_dword v51, v51, s[12:13]
	v_and_or_b32 v46, 0x700, v52, v46
	v_and_or_b32 v45, 0x700, v53, v45
	v_mov_b32_e32 v53, 0
	v_dot4c_i32_i8 v55, 0x1010101, v20
	s_waitcnt vmcnt(9)
	v_dot4c_i32_i8 v59, 0x1010101, v27
	v_lshlrev_b32_e32 v46, 2, v46
	v_lshlrev_b32_e32 v45, 2, v45
	s_clause 0x1
	global_load_dword v46, v46, s[12:13]
	global_load_dword v45, v45, s[12:13]
	global_load_dword v52, v[4:5], off offset:16
	v_dot4c_i32_i8 v59, 0x1010101, v28
	v_dot4c_i32_i8 v56, 0x1010101, v22
	;; [unrolled: 1-line block ×3, first 2 shown]
	s_waitcnt vmcnt(5)
	v_pk_lshrrev_b16 v42, 0x8000c, v42
	v_lshrrev_b32_e32 v44, v11, v44
	v_cvt_f32_i32_e32 v59, v59
	v_cvt_f32_i32_e32 v56, v56
	v_dot4c_i32_i8 v58, 0x1010101, v24
	v_pk_lshrrev_b16 v43, 4, v43
	v_cvt_f32_f16_e32 v18, v18
	v_cvt_f32_f16_e32 v26, v26
	v_cvt_f32_f16_e32 v34, v34
	v_add_co_u32 v4, vcc_lo, 0x480, v4
	v_and_b32_e32 v43, 0xf0000f00, v43
	v_add_co_ci_u32_e64 v5, null, 0, v5, vcc_lo
	v_cmp_le_u32_e32 vcc_lo, s10, v8
	s_or_b32 s0, vcc_lo, s0
	s_waitcnt vmcnt(4)
	v_lshrrev_b32_e32 v60, 4, v50
	v_and_b32_e32 v50, 0xf0f0f0f, v50
	s_waitcnt vmcnt(3)
	v_and_b32_e32 v61, 0xf0f0f0f, v51
	v_lshrrev_b32_e32 v51, 4, v51
	v_and_b32_e32 v60, 0xf0f0f0f, v60
	v_dot4c_i32_i8 v53, v50, v19
	v_mov_b32_e32 v19, 0
	v_and_b32_e32 v51, 0xf0f0f0f, v51
	v_dot4c_i32_i8 v53, v60, v20
	v_dot4c_i32_i8 v19, v50, v27
	v_mov_b32_e32 v20, 0
	v_mov_b32_e32 v27, 0
	v_dot4c_i32_i8 v53, v61, v21
	v_mov_b32_e32 v21, 0
	v_dot4c_i32_i8 v19, v60, v28
	v_dot4c_i32_i8 v20, 0x1010101, v29
	;; [unrolled: 1-line block ×3, first 2 shown]
	v_mov_b32_e32 v28, 0
	v_dot4c_i32_i8 v21, 0x1010101, v35
	v_dot4c_i32_i8 v19, v61, v29
	v_cvt_f32_i32_e32 v29, v55
	v_and_b32_e32 v55, 8, v47
	v_bfe_u32 v47, v47, 4, 4
	v_dot4c_i32_i8 v21, 0x1010101, v36
	v_dot4c_i32_i8 v20, 0x1010101, v30
	s_waitcnt vmcnt(0)
	v_dot4c_i32_i8 v27, 0x1010101, v52
	v_cvt_f32_ubyte0_e32 v55, v55
	v_and_b32_e32 v47, 8, v47
	v_cvt_f32_i32_e32 v21, v21
	v_cvt_f32_i32_e32 v20, v20
	;; [unrolled: 1-line block ×3, first 2 shown]
	v_fmaak_f32 v55, s3, v55, 0xbf600000
	v_cvt_f32_ubyte0_e32 v47, v47
	v_dot4c_i32_i8 v53, v51, v22
	v_dot4c_i32_i8 v19, v51, v30
	v_fma_f32 v29, v55, v29, 0
	v_fma_f32 v21, v55, v21, 0
	;; [unrolled: 1-line block ×3, first 2 shown]
	v_mov_b32_e32 v59, 0
	v_fmaak_f32 v47, s3, v47, 0xbf600000
	v_cvt_f32_i32_e32 v22, v53
	v_cvt_f32_i32_e32 v19, v19
	v_dot4c_i32_i8 v59, 0x1010101, v37
	v_fmac_f32_e32 v29, v47, v56
	v_mov_b32_e32 v56, 0
	v_fmac_f32_e32 v55, v47, v20
	v_mov_b32_e32 v20, 0
	v_dot4c_i32_i8 v59, 0x1010101, v38
	v_add_f32_e32 v22, v29, v22
	v_dot4c_i32_i8 v56, 0x1010101, v31
	v_add_f32_e32 v19, v55, v19
	v_dot4c_i32_i8 v20, 0x1010101, v39
	v_cvt_f32_i32_e32 v59, v59
	v_dot4c_i32_i8 v56, 0x1010101, v32
	v_dot4c_i32_i8 v20, 0x1010101, v40
	v_fmac_f32_e32 v21, v47, v59
	v_mov_b32_e32 v59, 0
	v_cvt_f32_i32_e32 v47, v58
	v_and_b32_e32 v58, 8, v54
	v_lshrrev_b32_e32 v54, 4, v54
	v_cvt_f32_i32_e32 v56, v56
	v_dot4c_i32_i8 v59, 0x1010101, v33
	v_cvt_f32_i32_e32 v20, v20
	v_cvt_f32_ubyte0_e32 v58, v58
	v_and_b32_e32 v54, 8, v54
	v_dot4c_i32_i8 v59, 0x1010101, v48
	v_fmaak_f32 v58, s3, v58, 0xbf600000
	v_cvt_f32_ubyte0_e32 v54, v54
	v_cvt_f32_i32_e32 v59, v59
	v_fma_f32 v56, v58, v56, 0
	v_fmaak_f32 v54, s3, v54, 0xbf600000
	v_fma_f32 v47, v58, v47, 0
	v_fma_f32 v20, v58, v20, 0
	v_mov_b32_e32 v58, 0
	v_fmac_f32_e32 v56, v54, v59
	v_mov_b32_e32 v59, 0
	v_fmac_f32_e32 v47, v54, v27
	v_mov_b32_e32 v27, 0
	v_dot4c_i32_i8 v58, v50, v35
	v_and_b32_e32 v35, 0xf0f0f0f, v45
	v_dot4c_i32_i8 v59, 0x1010101, v41
	v_lshrrev_b32_e32 v45, 4, v45
	v_dot4c_i32_i8 v58, v60, v36
	v_dot4c_i32_i8 v59, 0x1010101, v49
	;; [unrolled: 1-line block ×3, first 2 shown]
	v_cvt_f32_i32_e32 v59, v59
	v_dot4c_i32_i8 v58, v51, v38
	v_fmac_f32_e32 v20, v54, v59
	v_and_b32_sdwa v54, v42, v17 dst_sel:DWORD dst_unused:UNUSED_PAD src0_sel:WORD_1 src1_sel:DWORD
	v_or_b32_e32 v42, v54, v42
	v_lshlrev_b32_e32 v54, 1, v44
	v_lshrrev_b32_e32 v44, 2, v44
	v_or_b32_e32 v42, v42, v43
	v_and_b32_e32 v54, 14, v54
	v_and_b32_e32 v44, 14, v44
	v_or_b32_sdwa v42, v42, v43 dst_sel:DWORD dst_unused:UNUSED_PAD src0_sel:DWORD src1_sel:WORD_1
	v_or_b32_e32 v54, 1, v54
	v_or_b32_e32 v44, 1, v44
	v_cvt_f32_f16_e32 v42, v42
	v_cvt_f32_ubyte0_e32 v43, v54
	v_lshrrev_b32_e32 v54, 4, v46
	v_and_b32_e32 v46, 0xf0f0f0f, v46
	v_cvt_f32_ubyte0_e32 v44, v44
	v_mul_f32_e32 v18, v18, v42
	v_mul_f32_e32 v34, v42, v34
	v_and_b32_e32 v50, 0xf0f0f0f, v54
	v_dot4c_i32_i8 v57, v46, v23
	v_dot4c_i32_i8 v28, v46, v31
	;; [unrolled: 1-line block ×3, first 2 shown]
	v_and_b32_e32 v23, 0xf0f0f0f, v45
	v_dot4c_i32_i8 v57, v50, v24
	v_dot4c_i32_i8 v28, v50, v32
	;; [unrolled: 1-line block ×9, first 2 shown]
	v_cvt_f32_i32_e32 v23, v58
	v_cvt_f32_i32_e32 v24, v57
	;; [unrolled: 1-line block ×3, first 2 shown]
	v_add_f32_e32 v21, v21, v23
	v_cvt_f32_i32_e32 v23, v27
	v_add_f32_e32 v24, v47, v24
	v_add_f32_e32 v25, v56, v25
	v_mul_f32_e32 v21, v21, v43
	v_add_f32_e32 v20, v20, v23
	v_mul_f32_e32 v23, v24, v44
	v_mul_f32_e32 v24, v25, v44
	;; [unrolled: 1-line block ×3, first 2 shown]
	v_fmac_f32_e32 v21, v20, v44
	v_fmac_f32_e32 v23, v22, v43
	;; [unrolled: 1-line block ×6, first 2 shown]
	s_andn2_b32 exec_lo, exec_lo, s0
	s_cbranch_execnz .LBB222_2
; %bb.3:
	s_or_b32 exec_lo, exec_lo, s0
.LBB222_4:
	s_or_b32 exec_lo, exec_lo, s9
	s_mov_b32 s1, 0
	; wave barrier
	buffer_gl0_inv
	s_mov_b32 s0, exec_lo
	v_cmpx_eq_u32_e32 0, v1
	s_cbranch_execz .LBB222_11
; %bb.5:
	v_mbcnt_lo_u32_b32 v5, -1, 0
	s_load_dwordx2 s[4:5], s[4:5], 0x38
	s_mul_i32 s0, s14, s7
	s_mul_i32 s3, s18, s8
	s_add_i32 s0, s0, s6
	v_xor_b32_e32 v1, 16, v5
	v_xor_b32_e32 v2, 8, v5
	;; [unrolled: 1-line block ×3, first 2 shown]
	s_add_i32 s0, s0, s3
	s_lshl_b64 s[0:1], s[0:1], 2
	v_cmp_gt_i32_e32 vcc_lo, 32, v1
	v_cndmask_b32_e32 v1, v5, v1, vcc_lo
	v_cmp_gt_i32_e32 vcc_lo, 32, v2
	v_lshlrev_b32_e32 v1, 2, v1
	v_cndmask_b32_e32 v2, v5, v2, vcc_lo
	s_waitcnt lgkmcnt(0)
	s_add_u32 s0, s4, s0
	s_addc_u32 s1, s5, s1
	ds_bpermute_b32 v3, v1, v9
	v_lshlrev_b32_e32 v2, 2, v2
	s_waitcnt lgkmcnt(0)
	v_add_f32_e32 v4, v9, v3
	v_xor_b32_e32 v3, 4, v5
	ds_bpermute_b32 v8, v2, v4
	v_cmp_gt_i32_e32 vcc_lo, 32, v3
	v_cndmask_b32_e32 v3, v5, v3, vcc_lo
	v_lshlrev_b32_e32 v3, 2, v3
	s_waitcnt lgkmcnt(0)
	v_add_f32_e32 v8, v4, v8
	v_xor_b32_e32 v4, 2, v5
	ds_bpermute_b32 v9, v3, v8
	v_cmp_gt_i32_e32 vcc_lo, 32, v4
	v_cndmask_b32_e32 v4, v5, v4, vcc_lo
	v_cmp_gt_i32_e32 vcc_lo, 32, v10
	v_lshlrev_b32_e32 v4, 2, v4
	v_cndmask_b32_e32 v5, v5, v10, vcc_lo
	v_cmp_eq_u32_e32 vcc_lo, 0, v0
	v_lshlrev_b32_e32 v5, 2, v5
	s_waitcnt lgkmcnt(0)
	v_add_f32_e32 v8, v8, v9
	ds_bpermute_b32 v9, v4, v8
	s_waitcnt lgkmcnt(0)
	v_add_f32_e32 v8, v8, v9
	ds_bpermute_b32 v9, v5, v8
	s_and_saveexec_b32 s3, vcc_lo
	s_cbranch_execz .LBB222_7
; %bb.6:
	s_waitcnt lgkmcnt(0)
	v_add_f32_e32 v0, v8, v9
	v_mov_b32_e32 v8, 0
	global_store_dword v8, v0, s[0:1]
.LBB222_7:
	s_or_b32 exec_lo, exec_lo, s3
	ds_bpermute_b32 v0, v1, v7
	s_waitcnt lgkmcnt(0)
	v_add_f32_e32 v0, v7, v0
	ds_bpermute_b32 v7, v2, v0
	s_waitcnt lgkmcnt(0)
	v_add_f32_e32 v0, v0, v7
	;; [unrolled: 3-line block ×4, first 2 shown]
	ds_bpermute_b32 v7, v5, v0
	s_and_saveexec_b32 s4, vcc_lo
	s_cbranch_execz .LBB222_9
; %bb.8:
	s_mov_b32 s3, 0
	s_waitcnt lgkmcnt(0)
	v_add_f32_e32 v0, v0, v7
	s_lshl_b64 s[6:7], s[2:3], 2
	v_mov_b32_e32 v7, 0
	s_add_u32 s6, s0, s6
	s_addc_u32 s7, s1, s7
	global_store_dword v7, v0, s[6:7]
.LBB222_9:
	s_or_b32 exec_lo, exec_lo, s4
	ds_bpermute_b32 v0, v1, v6
	s_waitcnt lgkmcnt(0)
	v_add_f32_e32 v0, v6, v0
	ds_bpermute_b32 v1, v2, v0
	s_waitcnt lgkmcnt(0)
	v_add_f32_e32 v0, v0, v1
	;; [unrolled: 3-line block ×4, first 2 shown]
	ds_bpermute_b32 v1, v5, v0
	s_and_b32 exec_lo, exec_lo, vcc_lo
	s_cbranch_execz .LBB222_11
; %bb.10:
	s_lshl_b32 s2, s2, 1
	s_mov_b32 s3, 0
	s_waitcnt lgkmcnt(0)
	v_add_f32_e32 v0, v0, v1
	s_lshl_b64 s[2:3], s[2:3], 2
	v_mov_b32_e32 v1, 0
	s_add_u32 s0, s0, s2
	s_addc_u32 s1, s1, s3
	global_store_dword v1, v0, s[0:1]
.LBB222_11:
	s_endpgm
	.section	.rodata,"a",@progbits
	.p2align	6, 0x0
	.amdhsa_kernel _ZL13mul_mat_vec_qIL9ggml_type29ELi3ELb0ELb0EEvPKvS2_PKi31ggml_cuda_mm_fusion_args_devicePfj15HIP_vector_typeIjLj3EEjjjS8_jjjS8_jjjj
		.amdhsa_group_segment_fixed_size 0
		.amdhsa_private_segment_fixed_size 0
		.amdhsa_kernarg_size 144
		.amdhsa_user_sgpr_count 6
		.amdhsa_user_sgpr_private_segment_buffer 1
		.amdhsa_user_sgpr_dispatch_ptr 0
		.amdhsa_user_sgpr_queue_ptr 0
		.amdhsa_user_sgpr_kernarg_segment_ptr 1
		.amdhsa_user_sgpr_dispatch_id 0
		.amdhsa_user_sgpr_flat_scratch_init 0
		.amdhsa_user_sgpr_private_segment_size 0
		.amdhsa_wavefront_size32 1
		.amdhsa_uses_dynamic_stack 0
		.amdhsa_system_sgpr_private_segment_wavefront_offset 0
		.amdhsa_system_sgpr_workgroup_id_x 1
		.amdhsa_system_sgpr_workgroup_id_y 1
		.amdhsa_system_sgpr_workgroup_id_z 1
		.amdhsa_system_sgpr_workgroup_info 0
		.amdhsa_system_vgpr_workitem_id 1
		.amdhsa_next_free_vgpr 62
		.amdhsa_next_free_sgpr 28
		.amdhsa_reserve_vcc 1
		.amdhsa_reserve_flat_scratch 0
		.amdhsa_float_round_mode_32 0
		.amdhsa_float_round_mode_16_64 0
		.amdhsa_float_denorm_mode_32 3
		.amdhsa_float_denorm_mode_16_64 3
		.amdhsa_dx10_clamp 1
		.amdhsa_ieee_mode 1
		.amdhsa_fp16_overflow 0
		.amdhsa_workgroup_processor_mode 1
		.amdhsa_memory_ordered 1
		.amdhsa_forward_progress 1
		.amdhsa_shared_vgpr_count 0
		.amdhsa_exception_fp_ieee_invalid_op 0
		.amdhsa_exception_fp_denorm_src 0
		.amdhsa_exception_fp_ieee_div_zero 0
		.amdhsa_exception_fp_ieee_overflow 0
		.amdhsa_exception_fp_ieee_underflow 0
		.amdhsa_exception_fp_ieee_inexact 0
		.amdhsa_exception_int_div_zero 0
	.end_amdhsa_kernel
	.section	.text._ZL13mul_mat_vec_qIL9ggml_type29ELi3ELb0ELb0EEvPKvS2_PKi31ggml_cuda_mm_fusion_args_devicePfj15HIP_vector_typeIjLj3EEjjjS8_jjjS8_jjjj,"axG",@progbits,_ZL13mul_mat_vec_qIL9ggml_type29ELi3ELb0ELb0EEvPKvS2_PKi31ggml_cuda_mm_fusion_args_devicePfj15HIP_vector_typeIjLj3EEjjjS8_jjjS8_jjjj,comdat
.Lfunc_end222:
	.size	_ZL13mul_mat_vec_qIL9ggml_type29ELi3ELb0ELb0EEvPKvS2_PKi31ggml_cuda_mm_fusion_args_devicePfj15HIP_vector_typeIjLj3EEjjjS8_jjjS8_jjjj, .Lfunc_end222-_ZL13mul_mat_vec_qIL9ggml_type29ELi3ELb0ELb0EEvPKvS2_PKi31ggml_cuda_mm_fusion_args_devicePfj15HIP_vector_typeIjLj3EEjjjS8_jjjS8_jjjj
                                        ; -- End function
	.set _ZL13mul_mat_vec_qIL9ggml_type29ELi3ELb0ELb0EEvPKvS2_PKi31ggml_cuda_mm_fusion_args_devicePfj15HIP_vector_typeIjLj3EEjjjS8_jjjS8_jjjj.num_vgpr, 62
	.set _ZL13mul_mat_vec_qIL9ggml_type29ELi3ELb0ELb0EEvPKvS2_PKi31ggml_cuda_mm_fusion_args_devicePfj15HIP_vector_typeIjLj3EEjjjS8_jjjS8_jjjj.num_agpr, 0
	.set _ZL13mul_mat_vec_qIL9ggml_type29ELi3ELb0ELb0EEvPKvS2_PKi31ggml_cuda_mm_fusion_args_devicePfj15HIP_vector_typeIjLj3EEjjjS8_jjjS8_jjjj.numbered_sgpr, 28
	.set _ZL13mul_mat_vec_qIL9ggml_type29ELi3ELb0ELb0EEvPKvS2_PKi31ggml_cuda_mm_fusion_args_devicePfj15HIP_vector_typeIjLj3EEjjjS8_jjjS8_jjjj.num_named_barrier, 0
	.set _ZL13mul_mat_vec_qIL9ggml_type29ELi3ELb0ELb0EEvPKvS2_PKi31ggml_cuda_mm_fusion_args_devicePfj15HIP_vector_typeIjLj3EEjjjS8_jjjS8_jjjj.private_seg_size, 0
	.set _ZL13mul_mat_vec_qIL9ggml_type29ELi3ELb0ELb0EEvPKvS2_PKi31ggml_cuda_mm_fusion_args_devicePfj15HIP_vector_typeIjLj3EEjjjS8_jjjS8_jjjj.uses_vcc, 1
	.set _ZL13mul_mat_vec_qIL9ggml_type29ELi3ELb0ELb0EEvPKvS2_PKi31ggml_cuda_mm_fusion_args_devicePfj15HIP_vector_typeIjLj3EEjjjS8_jjjS8_jjjj.uses_flat_scratch, 0
	.set _ZL13mul_mat_vec_qIL9ggml_type29ELi3ELb0ELb0EEvPKvS2_PKi31ggml_cuda_mm_fusion_args_devicePfj15HIP_vector_typeIjLj3EEjjjS8_jjjS8_jjjj.has_dyn_sized_stack, 0
	.set _ZL13mul_mat_vec_qIL9ggml_type29ELi3ELb0ELb0EEvPKvS2_PKi31ggml_cuda_mm_fusion_args_devicePfj15HIP_vector_typeIjLj3EEjjjS8_jjjS8_jjjj.has_recursion, 0
	.set _ZL13mul_mat_vec_qIL9ggml_type29ELi3ELb0ELb0EEvPKvS2_PKi31ggml_cuda_mm_fusion_args_devicePfj15HIP_vector_typeIjLj3EEjjjS8_jjjS8_jjjj.has_indirect_call, 0
	.section	.AMDGPU.csdata,"",@progbits
; Kernel info:
; codeLenInByte = 2152
; TotalNumSgprs: 30
; NumVgprs: 62
; ScratchSize: 0
; MemoryBound: 0
; FloatMode: 240
; IeeeMode: 1
; LDSByteSize: 0 bytes/workgroup (compile time only)
; SGPRBlocks: 0
; VGPRBlocks: 7
; NumSGPRsForWavesPerEU: 30
; NumVGPRsForWavesPerEU: 62
; Occupancy: 16
; WaveLimiterHint : 0
; COMPUTE_PGM_RSRC2:SCRATCH_EN: 0
; COMPUTE_PGM_RSRC2:USER_SGPR: 6
; COMPUTE_PGM_RSRC2:TRAP_HANDLER: 0
; COMPUTE_PGM_RSRC2:TGID_X_EN: 1
; COMPUTE_PGM_RSRC2:TGID_Y_EN: 1
; COMPUTE_PGM_RSRC2:TGID_Z_EN: 1
; COMPUTE_PGM_RSRC2:TIDIG_COMP_CNT: 1
	.section	.text._ZL13mul_mat_vec_qIL9ggml_type29ELi4ELb0ELb0EEvPKvS2_PKi31ggml_cuda_mm_fusion_args_devicePfj15HIP_vector_typeIjLj3EEjjjS8_jjjS8_jjjj,"axG",@progbits,_ZL13mul_mat_vec_qIL9ggml_type29ELi4ELb0ELb0EEvPKvS2_PKi31ggml_cuda_mm_fusion_args_devicePfj15HIP_vector_typeIjLj3EEjjjS8_jjjS8_jjjj,comdat
	.globl	_ZL13mul_mat_vec_qIL9ggml_type29ELi4ELb0ELb0EEvPKvS2_PKi31ggml_cuda_mm_fusion_args_devicePfj15HIP_vector_typeIjLj3EEjjjS8_jjjS8_jjjj ; -- Begin function _ZL13mul_mat_vec_qIL9ggml_type29ELi4ELb0ELb0EEvPKvS2_PKi31ggml_cuda_mm_fusion_args_devicePfj15HIP_vector_typeIjLj3EEjjjS8_jjjS8_jjjj
	.p2align	8
	.type	_ZL13mul_mat_vec_qIL9ggml_type29ELi4ELb0ELb0EEvPKvS2_PKi31ggml_cuda_mm_fusion_args_devicePfj15HIP_vector_typeIjLj3EEjjjS8_jjjS8_jjjj,@function
_ZL13mul_mat_vec_qIL9ggml_type29ELi4ELb0ELb0EEvPKvS2_PKi31ggml_cuda_mm_fusion_args_devicePfj15HIP_vector_typeIjLj3EEjjjS8_jjjS8_jjjj: ; @_ZL13mul_mat_vec_qIL9ggml_type29ELi4ELb0ELb0EEvPKvS2_PKi31ggml_cuda_mm_fusion_args_devicePfj15HIP_vector_typeIjLj3EEjjjS8_jjjS8_jjjj
; %bb.0:
	s_clause 0x5
	s_load_dword s9, s[4:5], 0x40
	s_load_dwordx4 s[0:3], s[4:5], 0x50
	s_load_dword s11, s[4:5], 0x60
	s_load_dwordx4 s[12:15], s[4:5], 0x68
	;; [unrolled: 2-line block ×3, first 2 shown]
	v_lshl_or_b32 v2, v1, 5, v0
	v_mov_b32_e32 v17, 0
	v_mov_b32_e32 v18, 0
	;; [unrolled: 1-line block ×4, first 2 shown]
	v_lshrrev_b32_e32 v20, 3, v2
	s_waitcnt lgkmcnt(0)
	s_lshr_b32 s10, s9, 8
	s_mov_b32 s9, exec_lo
	v_cmpx_gt_u32_e64 s10, v20
	s_cbranch_execz .LBB223_4
; %bb.1:
	s_mul_i32 s13, s13, s7
	s_load_dwordx4 s[20:23], s[4:5], 0x0
	s_mul_hi_u32 s27, s13, 36
	s_mul_i32 s26, s13, 36
	s_mul_i32 s17, s17, s8
	v_mad_u64_u32 v[2:3], null, 0x120, v20, s[26:27]
	v_and_b32_e32 v5, 7, v0
	v_and_b32_e32 v6, 1, v0
	s_mul_hi_u32 s3, s3, s7
	s_mul_hi_u32 s15, s15, s8
	s_add_i32 s3, s7, s3
	s_add_i32 s15, s8, s15
	v_mad_u64_u32 v[2:3], null, s17, 36, v[2:3]
	v_cmp_eq_u32_e32 vcc_lo, 1, v6
	s_mul_i32 s25, s17, 36
	s_lshr_b32 s3, s3, s11
	s_mul_hi_u32 s19, s17, 36
	s_lshr_b32 s11, s15, s24
	s_mul_i32 s3, s3, s12
	v_mad_u64_u32 v[2:3], null, v5, 36, v[2:3]
	s_waitcnt lgkmcnt(0)
	s_add_u32 s12, s22, s25
	v_lshlrev_b32_e32 v4, 3, v20
	s_addc_u32 s13, s23, s19
	v_cndmask_b32_e64 v23, 0, 6, vcc_lo
	s_add_u32 s12, s12, s26
	s_addc_u32 s13, s13, s27
	v_add_co_u32 v2, vcc_lo, s22, v2
	v_bfe_u32 v7, v0, 1, 2
	v_add_co_ci_u32_e64 v3, null, s23, v3, vcc_lo
	v_mad_u64_u32 v[10:11], null, v5, 36, s[12:13]
	v_mad_u64_u32 v[12:13], null, s1, 3, v[4:5]
	v_add_co_u32 v13, vcc_lo, v2, 16
	s_mul_i32 s0, s0, s6
	v_mov_b32_e32 v18, 0
	v_lshlrev_b32_e32 v22, 1, v5
	v_add_nc_u32_e32 v24, s1, v4
	v_lshl_add_u32 v25, s1, 1, v4
	v_add_co_ci_u32_e64 v14, null, 0, v3, vcc_lo
	v_lshlrev_b32_e32 v26, 2, v5
	v_lshlrev_b32_e32 v27, 1, v7
	v_mov_b32_e32 v28, 0xffff
	v_mov_b32_e32 v29, 0xf0
	;; [unrolled: 1-line block ×5, first 2 shown]
	s_mul_i32 s11, s11, s16
	s_add_i32 s3, s3, s0
	s_mov_b32 s12, 0xbd000000
	s_add_i32 s11, s11, s3
	s_mov_b32 s3, 0
.LBB223_2:                              ; =>This Inner Loop Header: Depth=1
	v_add_nc_u32_e32 v36, s11, v20
	v_mad_u64_u32 v[15:16], null, v24, 36, v[10:11]
	v_mad_u64_u32 v[62:63], null, v12, 36, v[10:11]
	v_mad_i64_i32 v[64:65], null, v36, 56, s[20:21]
	v_mad_u64_u32 v[60:61], null, v25, 36, v[10:11]
	s_clause 0x2
	global_load_dwordx4 v[6:9], v[13:14], off offset:-16
	global_load_dwordx4 v[2:5], v[13:14], off
	global_load_dword v72, v[13:14], off offset:16
	s_clause 0x6
	global_load_dwordx4 v[40:43], v[15:16], off
	global_load_dwordx4 v[44:47], v[15:16], off offset:16
	global_load_dwordx4 v[48:51], v[62:63], off
	global_load_dwordx4 v[52:55], v[62:63], off offset:16
	global_load_dwordx4 v[56:59], v[60:61], off
	global_load_dword v36, v[15:16], off offset:32
	global_load_dword v73, v[62:63], off offset:32
	s_getpc_b64 s[0:1]
	s_add_u32 s0, s0, _ZL13iq1s_grid_gpu@rel32@lo+4
	s_addc_u32 s1, s1, _ZL13iq1s_grid_gpu@rel32@hi+12
	v_add_co_u32 v15, vcc_lo, v64, v26
	v_add_co_ci_u32_e64 v16, null, 0, v65, vcc_lo
	v_add_co_u32 v62, vcc_lo, v64, v22
	v_add_co_ci_u32_e64 v63, null, 0, v65, vcc_lo
	;; [unrolled: 2-line block ×3, first 2 shown]
	s_clause 0x3
	global_load_dword v74, v[15:16], off
	global_load_ushort v62, v[62:63], off offset:32
	global_load_ushort v63, v[66:67], off offset:48
	global_load_dwordx2 v[15:16], v[64:65], off offset:48
	v_mov_b32_e32 v30, 0
	v_mov_b32_e32 v68, 0
	;; [unrolled: 1-line block ×13, first 2 shown]
	v_add_nc_u32_e32 v20, 4, v20
	v_add_co_u32 v13, vcc_lo, 0x480, v13
	v_add_co_ci_u32_e64 v14, null, 0, v14, vcc_lo
	v_cmp_le_u32_e32 vcc_lo, s10, v20
	v_add_nc_u32_e32 v24, 32, v24
	v_add_nc_u32_e32 v12, 32, v12
	;; [unrolled: 1-line block ×3, first 2 shown]
	s_or_b32 s3, vcc_lo, s3
	s_waitcnt vmcnt(10)
	v_dot4c_i32_i8 v69, 0x1010101, v41
	v_dot4c_i32_i8 v38, 0x1010101, v43
	s_waitcnt vmcnt(8)
	v_dot4c_i32_i8 v71, 0x1010101, v49
	v_dot4c_i32_i8 v68, 0x1010101, v7
	;; [unrolled: 1-line block ×3, first 2 shown]
	v_cvt_f32_f16_e32 v77, v6
	v_dot4c_i32_i8 v69, 0x1010101, v42
	s_waitcnt vmcnt(6)
	v_dot4c_i32_i8 v70, 0x1010101, v57
	v_dot4c_i32_i8 v68, 0x1010101, v8
	;; [unrolled: 1-line block ×7, first 2 shown]
	v_cvt_f32_i32_e32 v38, v38
	v_dot4c_i32_i8 v35, 0x1010101, v47
	v_cvt_f32_i32_e32 v34, v34
	v_dot4c_i32_i8 v33, 0x1010101, v3
	s_waitcnt vmcnt(3)
	v_and_b32_e32 v65, 0xff, v74
	s_waitcnt vmcnt(2)
	v_lshlrev_b32_e32 v66, 8, v62
	v_bfe_u32 v67, v74, 8, 8
	v_lshlrev_b32_e32 v76, 4, v62
	v_and_b32_sdwa v75, v28, v62 dst_sel:DWORD dst_unused:UNUSED_PAD src0_sel:DWORD src1_sel:BYTE_1
	v_lshrrev_b32_e32 v64, 24, v74
	v_and_or_b32 v65, 0x700, v66, v65
	v_bfe_u32 v74, v74, 16, 8
	v_and_or_b32 v67, 0x700, v76, v67
	v_lshlrev_b32_e32 v66, 8, v75
	v_lshlrev_b32_e32 v76, 4, v75
	v_lshlrev_b32_e32 v65, 2, v65
	v_dot4c_i32_i8 v37, 0x1010101, v46
	v_lshlrev_b32_e32 v67, 2, v67
	s_clause 0x1
	global_load_dword v65, v65, s[0:1]
	global_load_dword v67, v67, s[0:1]
	v_and_or_b32 v66, 0x700, v66, v74
	v_and_or_b32 v64, 0x700, v76, v64
	v_cvt_f32_i32_e32 v37, v37
	v_dot4c_i32_i8 v35, 0x1010101, v36
	v_dot4c_i32_i8 v33, 0x1010101, v4
	v_lshlrev_b32_e32 v66, 2, v66
	v_lshlrev_b32_e32 v64, 2, v64
	s_clause 0x1
	global_load_dword v66, v66, s[0:1]
	global_load_dword v64, v64, s[0:1]
	v_cvt_f32_i32_e32 v35, v35
	v_dot4c_i32_i8 v32, 0x1010101, v5
	v_cvt_f32_i32_e32 v33, v33
	s_waitcnt vmcnt(4)
	v_pk_lshrrev_b16 v15, 0x8000c, v15
	v_pk_lshrrev_b16 v16, 4, v16
	v_cvt_f32_f16_e32 v40, v40
	v_dot4c_i32_i8 v32, 0x1010101, v72
	v_cvt_f32_f16_e32 v48, v48
	v_and_b32_e32 v16, 0xf0000f00, v16
	v_cvt_f32_i32_e32 v32, v32
	s_waitcnt vmcnt(3)
	v_lshrrev_b32_e32 v74, 4, v65
	v_and_b32_e32 v65, 0xf0f0f0f, v65
	s_waitcnt vmcnt(2)
	v_and_b32_e32 v76, 0xf0f0f0f, v67
	v_lshrrev_b32_e32 v67, 4, v67
	v_and_b32_e32 v74, 0xf0f0f0f, v74
	v_dot4c_i32_i8 v30, v65, v7
	v_dot4c_i32_i8 v39, v65, v41
	v_mov_b32_e32 v41, 0
	v_dot4c_i32_i8 v30, v74, v8
	v_dot4c_i32_i8 v39, v74, v42
	v_mov_b32_e32 v42, 0
	v_dot4c_i32_i8 v30, v76, v9
	s_clause 0x1
	global_load_dword v78, v[60:61], off offset:32
	global_load_dwordx4 v[6:9], v[60:61], off offset:16
	v_and_b32_e32 v60, 8, v62
	v_bfe_u32 v62, v62, 4, 4
	v_cvt_f32_i32_e32 v61, v69
	v_dot4c_i32_i8 v39, v76, v43
	v_cvt_f32_i32_e32 v43, v68
	v_cvt_f32_ubyte0_e32 v60, v60
	v_and_b32_e32 v62, 8, v62
	v_cvt_f32_i32_e32 v68, v71
	v_cvt_f32_i32_e32 v69, v70
	v_dot4c_i32_i8 v42, 0x1010101, v59
	v_fmaak_f32 v60, s12, v60, 0xbf600000
	v_cvt_f32_ubyte0_e32 v62, v62
	v_lshrrev_b32_e32 v70, 4, v75
	v_fma_f32 v61, v60, v61, 0
	v_fmaak_f32 v62, s12, v62, 0xbf600000
	v_fma_f32 v43, v60, v43, 0
	v_fma_f32 v68, v60, v68, 0
	v_fma_f32 v60, v60, v69, 0
	v_mov_b32_e32 v69, 0
	v_fmac_f32_e32 v61, v62, v38
	v_mov_b32_e32 v38, 0
	v_fmac_f32_e32 v43, v62, v34
	v_and_b32_e32 v70, 8, v70
	v_mov_b32_e32 v34, 0
	v_dot4c_i32_i8 v38, 0x1010101, v51
	v_cvt_f32_ubyte0_e32 v70, v70
	v_dot4c_i32_i8 v38, 0x1010101, v52
	v_fmaak_f32 v70, s12, v70, 0xbf600000
	v_cvt_f32_i32_e32 v38, v38
	v_fmac_f32_e32 v68, v62, v38
	v_mov_b32_e32 v38, 0
	v_dot4c_i32_i8 v38, v65, v57
	s_waitcnt vmcnt(3)
	v_and_b32_e32 v57, 0xf0f0f0f, v66
	v_dot4c_i32_i8 v38, v74, v58
	v_dot4c_i32_i8 v31, v57, v3
	s_waitcnt vmcnt(2)
	v_lshrrev_b32_e32 v58, 4, v64
	v_dot4c_i32_i8 v41, v57, v45
	v_dot4c_i32_i8 v38, v76, v59
	v_and_b32_e32 v3, 0xf0f0f0f, v58
	s_waitcnt vmcnt(0)
	v_dot4c_i32_i8 v42, 0x1010101, v6
	v_dot4c_i32_i8 v69, 0x1010101, v7
	;; [unrolled: 1-line block ×3, first 2 shown]
	v_cvt_f32_i32_e32 v42, v42
	v_dot4c_i32_i8 v69, 0x1010101, v8
	v_dot4c_i32_i8 v34, 0x1010101, v78
	v_fmac_f32_e32 v60, v62, v42
	v_cvt_f32_i32_e32 v62, v69
	v_and_b32_e32 v69, 8, v75
	v_mov_b32_e32 v42, 0
	v_cvt_f32_i32_e32 v34, v34
	v_cvt_f32_ubyte0_e32 v69, v69
	v_dot4c_i32_i8 v42, 0x1010101, v53
	v_fmaak_f32 v69, s12, v69, 0xbf600000
	v_dot4c_i32_i8 v42, 0x1010101, v54
	v_fma_f32 v37, v69, v37, 0
	v_cvt_f32_i32_e32 v42, v42
	v_fma_f32 v33, v69, v33, 0
	v_fma_f32 v62, v69, v62, 0
	v_fmac_f32_e32 v37, v70, v35
	v_mov_b32_e32 v35, 0
	v_fma_f32 v42, v69, v42, 0
	v_fmac_f32_e32 v33, v70, v32
	v_mov_b32_e32 v32, 0
	v_mov_b32_e32 v69, 0
	v_dot4c_i32_i8 v35, 0x1010101, v55
	v_fmac_f32_e32 v62, v70, v34
	v_mov_b32_e32 v34, 0
	v_dot4c_i32_i8 v32, v65, v49
	v_lshrrev_b32_e32 v49, 4, v66
	v_dot4c_i32_i8 v35, 0x1010101, v73
	v_dot4c_i32_i8 v69, v57, v7
	;; [unrolled: 1-line block ×4, first 2 shown]
	v_and_b32_e32 v49, 0xf0f0f0f, v49
	v_cvt_f32_i32_e32 v35, v35
	v_and_b32_e32 v50, 0xf0f0f0f, v64
	v_and_b32_e32 v65, 0xf0f0f0f, v67
	v_dot4c_i32_i8 v32, v76, v51
	v_dot4c_i32_i8 v31, v49, v4
	v_fmac_f32_e32 v42, v70, v35
	v_cvt_f32_f16_e32 v35, v56
	v_and_b32_sdwa v56, v15, v29 dst_sel:DWORD dst_unused:UNUSED_PAD src0_sel:WORD_1 src1_sel:DWORD
	v_dot4c_i32_i8 v69, v49, v8
	v_dot4c_i32_i8 v41, v49, v46
	;; [unrolled: 1-line block ×4, first 2 shown]
	v_or_b32_e32 v15, v56, v15
	v_lshrrev_b32_e32 v56, v23, v63
	v_dot4c_i32_i8 v69, v50, v9
	v_dot4c_i32_i8 v39, v65, v44
	;; [unrolled: 1-line block ×3, first 2 shown]
	v_or_b32_e32 v15, v15, v16
	v_dot4c_i32_i8 v34, v50, v55
	v_dot4c_i32_i8 v32, v65, v52
	;; [unrolled: 1-line block ×4, first 2 shown]
	v_or_b32_sdwa v15, v15, v16 dst_sel:DWORD dst_unused:UNUSED_PAD src0_sel:DWORD src1_sel:WORD_1
	v_lshrrev_b32_e32 v16, 2, v56
	v_lshlrev_b32_e32 v56, 1, v56
	v_dot4c_i32_i8 v30, v65, v2
	v_dot4c_i32_i8 v38, v65, v6
	;; [unrolled: 1-line block ×3, first 2 shown]
	v_and_b32_e32 v16, 14, v16
	v_and_b32_e32 v56, 14, v56
	v_dot4c_i32_i8 v34, v3, v73
	v_cvt_f32_i32_e32 v2, v39
	v_cvt_f32_i32_e32 v4, v32
	v_or_b32_e32 v16, 1, v16
	v_or_b32_e32 v56, 1, v56
	v_cvt_f32_i32_e32 v6, v31
	v_cvt_f32_i32_e32 v8, v69
	;; [unrolled: 1-line block ×3, first 2 shown]
	v_cvt_f32_ubyte0_e32 v16, v16
	v_cvt_f32_ubyte0_e32 v56, v56
	v_cvt_f32_i32_e32 v5, v38
	v_cvt_f32_i32_e32 v7, v41
	v_add_f32_e32 v2, v61, v2
	v_add_f32_e32 v4, v68, v4
	v_cvt_f32_i32_e32 v9, v34
	v_add_f32_e32 v6, v33, v6
	v_add_f32_e32 v8, v62, v8
	v_cvt_f32_f16_e32 v15, v15
	v_add_f32_e32 v3, v43, v3
	v_add_f32_e32 v5, v60, v5
	v_mul_f32_e32 v2, v2, v56
	v_add_f32_e32 v7, v37, v7
	v_mul_f32_e32 v4, v4, v56
	;; [unrolled: 2-line block ×3, first 2 shown]
	v_mul_f32_e32 v8, v8, v16
	v_mul_f32_e32 v40, v15, v40
	;; [unrolled: 1-line block ×5, first 2 shown]
	v_fmac_f32_e32 v2, v7, v16
	v_fmac_f32_e32 v4, v9, v16
	;; [unrolled: 1-line block ×8, first 2 shown]
	s_andn2_b32 exec_lo, exec_lo, s3
	s_cbranch_execnz .LBB223_2
; %bb.3:
	s_or_b32 exec_lo, exec_lo, s3
.LBB223_4:
	s_or_b32 exec_lo, exec_lo, s9
	s_mov_b32 s1, 0
	; wave barrier
	buffer_gl0_inv
	s_mov_b32 s0, exec_lo
	v_cmpx_eq_u32_e32 0, v1
	s_cbranch_execz .LBB223_13
; %bb.5:
	v_mbcnt_lo_u32_b32 v5, -1, 0
	s_load_dwordx2 s[4:5], s[4:5], 0x38
	s_mul_i32 s0, s14, s7
	s_mul_i32 s3, s18, s8
	s_add_i32 s0, s0, s6
	v_xor_b32_e32 v1, 16, v5
	v_xor_b32_e32 v2, 8, v5
	v_xor_b32_e32 v8, 1, v5
	s_add_i32 s0, s0, s3
	s_lshl_b64 s[0:1], s[0:1], 2
	v_cmp_gt_i32_e32 vcc_lo, 32, v1
	v_cndmask_b32_e32 v1, v5, v1, vcc_lo
	v_cmp_gt_i32_e32 vcc_lo, 32, v2
	v_lshlrev_b32_e32 v1, 2, v1
	v_cndmask_b32_e32 v2, v5, v2, vcc_lo
	s_waitcnt lgkmcnt(0)
	s_add_u32 s0, s4, s0
	s_addc_u32 s1, s5, s1
	ds_bpermute_b32 v3, v1, v21
	v_lshlrev_b32_e32 v2, 2, v2
	s_waitcnt lgkmcnt(0)
	v_add_f32_e32 v4, v21, v3
	v_xor_b32_e32 v3, 4, v5
	ds_bpermute_b32 v6, v2, v4
	v_cmp_gt_i32_e32 vcc_lo, 32, v3
	v_cndmask_b32_e32 v3, v5, v3, vcc_lo
	v_lshlrev_b32_e32 v3, 2, v3
	s_waitcnt lgkmcnt(0)
	v_add_f32_e32 v6, v4, v6
	v_xor_b32_e32 v4, 2, v5
	ds_bpermute_b32 v7, v3, v6
	v_cmp_gt_i32_e32 vcc_lo, 32, v4
	v_cndmask_b32_e32 v4, v5, v4, vcc_lo
	v_cmp_gt_i32_e32 vcc_lo, 32, v8
	v_lshlrev_b32_e32 v4, 2, v4
	v_cndmask_b32_e32 v5, v5, v8, vcc_lo
	v_cmp_eq_u32_e32 vcc_lo, 0, v0
	v_lshlrev_b32_e32 v5, 2, v5
	s_waitcnt lgkmcnt(0)
	v_add_f32_e32 v6, v6, v7
	ds_bpermute_b32 v7, v4, v6
	s_waitcnt lgkmcnt(0)
	v_add_f32_e32 v6, v6, v7
	ds_bpermute_b32 v7, v5, v6
	s_and_saveexec_b32 s3, vcc_lo
	s_cbranch_execz .LBB223_7
; %bb.6:
	s_waitcnt lgkmcnt(0)
	v_add_f32_e32 v0, v6, v7
	v_mov_b32_e32 v6, 0
	global_store_dword v6, v0, s[0:1]
.LBB223_7:
	s_or_b32 exec_lo, exec_lo, s3
	ds_bpermute_b32 v0, v1, v19
	s_waitcnt lgkmcnt(0)
	v_add_f32_e32 v0, v19, v0
	ds_bpermute_b32 v6, v2, v0
	s_waitcnt lgkmcnt(0)
	v_add_f32_e32 v0, v0, v6
	;; [unrolled: 3-line block ×4, first 2 shown]
	ds_bpermute_b32 v6, v5, v0
	s_and_saveexec_b32 s4, vcc_lo
	s_cbranch_execz .LBB223_9
; %bb.8:
	s_mov_b32 s3, 0
	s_waitcnt lgkmcnt(0)
	v_add_f32_e32 v0, v0, v6
	s_lshl_b64 s[6:7], s[2:3], 2
	v_mov_b32_e32 v6, 0
	s_add_u32 s6, s0, s6
	s_addc_u32 s7, s1, s7
	global_store_dword v6, v0, s[6:7]
.LBB223_9:
	s_or_b32 exec_lo, exec_lo, s4
	ds_bpermute_b32 v0, v1, v18
	s_waitcnt lgkmcnt(0)
	v_add_f32_e32 v0, v18, v0
	ds_bpermute_b32 v6, v2, v0
	s_waitcnt lgkmcnt(0)
	v_add_f32_e32 v0, v0, v6
	;; [unrolled: 3-line block ×4, first 2 shown]
	ds_bpermute_b32 v6, v5, v0
	s_and_saveexec_b32 s3, vcc_lo
	s_cbranch_execz .LBB223_11
; %bb.10:
	s_lshl_b32 s4, s2, 1
	s_mov_b32 s5, 0
	s_waitcnt lgkmcnt(0)
	v_add_f32_e32 v0, v0, v6
	s_lshl_b64 s[4:5], s[4:5], 2
	v_mov_b32_e32 v6, 0
	s_add_u32 s4, s0, s4
	s_addc_u32 s5, s1, s5
	global_store_dword v6, v0, s[4:5]
.LBB223_11:
	s_or_b32 exec_lo, exec_lo, s3
	ds_bpermute_b32 v0, v1, v17
	s_waitcnt lgkmcnt(0)
	v_add_f32_e32 v0, v17, v0
	ds_bpermute_b32 v1, v2, v0
	s_waitcnt lgkmcnt(0)
	v_add_f32_e32 v0, v0, v1
	;; [unrolled: 3-line block ×4, first 2 shown]
	ds_bpermute_b32 v1, v5, v0
	s_and_b32 exec_lo, exec_lo, vcc_lo
	s_cbranch_execz .LBB223_13
; %bb.12:
	s_mul_i32 s2, s2, 3
	s_mov_b32 s3, 0
	s_waitcnt lgkmcnt(0)
	v_add_f32_e32 v0, v0, v1
	s_lshl_b64 s[2:3], s[2:3], 2
	v_mov_b32_e32 v1, 0
	s_add_u32 s0, s0, s2
	s_addc_u32 s1, s1, s3
	global_store_dword v1, v0, s[0:1]
.LBB223_13:
	s_endpgm
	.section	.rodata,"a",@progbits
	.p2align	6, 0x0
	.amdhsa_kernel _ZL13mul_mat_vec_qIL9ggml_type29ELi4ELb0ELb0EEvPKvS2_PKi31ggml_cuda_mm_fusion_args_devicePfj15HIP_vector_typeIjLj3EEjjjS8_jjjS8_jjjj
		.amdhsa_group_segment_fixed_size 0
		.amdhsa_private_segment_fixed_size 0
		.amdhsa_kernarg_size 144
		.amdhsa_user_sgpr_count 6
		.amdhsa_user_sgpr_private_segment_buffer 1
		.amdhsa_user_sgpr_dispatch_ptr 0
		.amdhsa_user_sgpr_queue_ptr 0
		.amdhsa_user_sgpr_kernarg_segment_ptr 1
		.amdhsa_user_sgpr_dispatch_id 0
		.amdhsa_user_sgpr_flat_scratch_init 0
		.amdhsa_user_sgpr_private_segment_size 0
		.amdhsa_wavefront_size32 1
		.amdhsa_uses_dynamic_stack 0
		.amdhsa_system_sgpr_private_segment_wavefront_offset 0
		.amdhsa_system_sgpr_workgroup_id_x 1
		.amdhsa_system_sgpr_workgroup_id_y 1
		.amdhsa_system_sgpr_workgroup_id_z 1
		.amdhsa_system_sgpr_workgroup_info 0
		.amdhsa_system_vgpr_workitem_id 1
		.amdhsa_next_free_vgpr 79
		.amdhsa_next_free_sgpr 28
		.amdhsa_reserve_vcc 1
		.amdhsa_reserve_flat_scratch 0
		.amdhsa_float_round_mode_32 0
		.amdhsa_float_round_mode_16_64 0
		.amdhsa_float_denorm_mode_32 3
		.amdhsa_float_denorm_mode_16_64 3
		.amdhsa_dx10_clamp 1
		.amdhsa_ieee_mode 1
		.amdhsa_fp16_overflow 0
		.amdhsa_workgroup_processor_mode 1
		.amdhsa_memory_ordered 1
		.amdhsa_forward_progress 1
		.amdhsa_shared_vgpr_count 0
		.amdhsa_exception_fp_ieee_invalid_op 0
		.amdhsa_exception_fp_denorm_src 0
		.amdhsa_exception_fp_ieee_div_zero 0
		.amdhsa_exception_fp_ieee_overflow 0
		.amdhsa_exception_fp_ieee_underflow 0
		.amdhsa_exception_fp_ieee_inexact 0
		.amdhsa_exception_int_div_zero 0
	.end_amdhsa_kernel
	.section	.text._ZL13mul_mat_vec_qIL9ggml_type29ELi4ELb0ELb0EEvPKvS2_PKi31ggml_cuda_mm_fusion_args_devicePfj15HIP_vector_typeIjLj3EEjjjS8_jjjS8_jjjj,"axG",@progbits,_ZL13mul_mat_vec_qIL9ggml_type29ELi4ELb0ELb0EEvPKvS2_PKi31ggml_cuda_mm_fusion_args_devicePfj15HIP_vector_typeIjLj3EEjjjS8_jjjS8_jjjj,comdat
.Lfunc_end223:
	.size	_ZL13mul_mat_vec_qIL9ggml_type29ELi4ELb0ELb0EEvPKvS2_PKi31ggml_cuda_mm_fusion_args_devicePfj15HIP_vector_typeIjLj3EEjjjS8_jjjS8_jjjj, .Lfunc_end223-_ZL13mul_mat_vec_qIL9ggml_type29ELi4ELb0ELb0EEvPKvS2_PKi31ggml_cuda_mm_fusion_args_devicePfj15HIP_vector_typeIjLj3EEjjjS8_jjjS8_jjjj
                                        ; -- End function
	.set _ZL13mul_mat_vec_qIL9ggml_type29ELi4ELb0ELb0EEvPKvS2_PKi31ggml_cuda_mm_fusion_args_devicePfj15HIP_vector_typeIjLj3EEjjjS8_jjjS8_jjjj.num_vgpr, 79
	.set _ZL13mul_mat_vec_qIL9ggml_type29ELi4ELb0ELb0EEvPKvS2_PKi31ggml_cuda_mm_fusion_args_devicePfj15HIP_vector_typeIjLj3EEjjjS8_jjjS8_jjjj.num_agpr, 0
	.set _ZL13mul_mat_vec_qIL9ggml_type29ELi4ELb0ELb0EEvPKvS2_PKi31ggml_cuda_mm_fusion_args_devicePfj15HIP_vector_typeIjLj3EEjjjS8_jjjS8_jjjj.numbered_sgpr, 28
	.set _ZL13mul_mat_vec_qIL9ggml_type29ELi4ELb0ELb0EEvPKvS2_PKi31ggml_cuda_mm_fusion_args_devicePfj15HIP_vector_typeIjLj3EEjjjS8_jjjS8_jjjj.num_named_barrier, 0
	.set _ZL13mul_mat_vec_qIL9ggml_type29ELi4ELb0ELb0EEvPKvS2_PKi31ggml_cuda_mm_fusion_args_devicePfj15HIP_vector_typeIjLj3EEjjjS8_jjjS8_jjjj.private_seg_size, 0
	.set _ZL13mul_mat_vec_qIL9ggml_type29ELi4ELb0ELb0EEvPKvS2_PKi31ggml_cuda_mm_fusion_args_devicePfj15HIP_vector_typeIjLj3EEjjjS8_jjjS8_jjjj.uses_vcc, 1
	.set _ZL13mul_mat_vec_qIL9ggml_type29ELi4ELb0ELb0EEvPKvS2_PKi31ggml_cuda_mm_fusion_args_devicePfj15HIP_vector_typeIjLj3EEjjjS8_jjjS8_jjjj.uses_flat_scratch, 0
	.set _ZL13mul_mat_vec_qIL9ggml_type29ELi4ELb0ELb0EEvPKvS2_PKi31ggml_cuda_mm_fusion_args_devicePfj15HIP_vector_typeIjLj3EEjjjS8_jjjS8_jjjj.has_dyn_sized_stack, 0
	.set _ZL13mul_mat_vec_qIL9ggml_type29ELi4ELb0ELb0EEvPKvS2_PKi31ggml_cuda_mm_fusion_args_devicePfj15HIP_vector_typeIjLj3EEjjjS8_jjjS8_jjjj.has_recursion, 0
	.set _ZL13mul_mat_vec_qIL9ggml_type29ELi4ELb0ELb0EEvPKvS2_PKi31ggml_cuda_mm_fusion_args_devicePfj15HIP_vector_typeIjLj3EEjjjS8_jjjS8_jjjj.has_indirect_call, 0
	.section	.AMDGPU.csdata,"",@progbits
; Kernel info:
; codeLenInByte = 2544
; TotalNumSgprs: 30
; NumVgprs: 79
; ScratchSize: 0
; MemoryBound: 0
; FloatMode: 240
; IeeeMode: 1
; LDSByteSize: 0 bytes/workgroup (compile time only)
; SGPRBlocks: 0
; VGPRBlocks: 9
; NumSGPRsForWavesPerEU: 30
; NumVGPRsForWavesPerEU: 79
; Occupancy: 12
; WaveLimiterHint : 0
; COMPUTE_PGM_RSRC2:SCRATCH_EN: 0
; COMPUTE_PGM_RSRC2:USER_SGPR: 6
; COMPUTE_PGM_RSRC2:TRAP_HANDLER: 0
; COMPUTE_PGM_RSRC2:TGID_X_EN: 1
; COMPUTE_PGM_RSRC2:TGID_Y_EN: 1
; COMPUTE_PGM_RSRC2:TGID_Z_EN: 1
; COMPUTE_PGM_RSRC2:TIDIG_COMP_CNT: 1
	.section	.text._ZL13mul_mat_vec_qIL9ggml_type29ELi5ELb0ELb0EEvPKvS2_PKi31ggml_cuda_mm_fusion_args_devicePfj15HIP_vector_typeIjLj3EEjjjS8_jjjS8_jjjj,"axG",@progbits,_ZL13mul_mat_vec_qIL9ggml_type29ELi5ELb0ELb0EEvPKvS2_PKi31ggml_cuda_mm_fusion_args_devicePfj15HIP_vector_typeIjLj3EEjjjS8_jjjS8_jjjj,comdat
	.globl	_ZL13mul_mat_vec_qIL9ggml_type29ELi5ELb0ELb0EEvPKvS2_PKi31ggml_cuda_mm_fusion_args_devicePfj15HIP_vector_typeIjLj3EEjjjS8_jjjS8_jjjj ; -- Begin function _ZL13mul_mat_vec_qIL9ggml_type29ELi5ELb0ELb0EEvPKvS2_PKi31ggml_cuda_mm_fusion_args_devicePfj15HIP_vector_typeIjLj3EEjjjS8_jjjS8_jjjj
	.p2align	8
	.type	_ZL13mul_mat_vec_qIL9ggml_type29ELi5ELb0ELb0EEvPKvS2_PKi31ggml_cuda_mm_fusion_args_devicePfj15HIP_vector_typeIjLj3EEjjjS8_jjjS8_jjjj,@function
_ZL13mul_mat_vec_qIL9ggml_type29ELi5ELb0ELb0EEvPKvS2_PKi31ggml_cuda_mm_fusion_args_devicePfj15HIP_vector_typeIjLj3EEjjjS8_jjjS8_jjjj: ; @_ZL13mul_mat_vec_qIL9ggml_type29ELi5ELb0ELb0EEvPKvS2_PKi31ggml_cuda_mm_fusion_args_devicePfj15HIP_vector_typeIjLj3EEjjjS8_jjjS8_jjjj
; %bb.0:
	s_clause 0x5
	s_load_dword s9, s[4:5], 0x40
	s_load_dwordx4 s[0:3], s[4:5], 0x50
	s_load_dword s11, s[4:5], 0x60
	s_load_dwordx4 s[12:15], s[4:5], 0x68
	;; [unrolled: 2-line block ×3, first 2 shown]
	v_lshl_or_b32 v2, v1, 5, v0
	v_mov_b32_e32 v15, 0
	v_mov_b32_e32 v16, 0
	;; [unrolled: 1-line block ×4, first 2 shown]
	v_lshrrev_b32_e32 v19, 3, v2
	v_mov_b32_e32 v20, 0
	s_waitcnt lgkmcnt(0)
	s_lshr_b32 s10, s9, 8
	s_mov_b32 s9, exec_lo
	v_cmpx_gt_u32_e64 s10, v19
	s_cbranch_execz .LBB224_4
; %bb.1:
	s_mul_i32 s13, s13, s7
	s_load_dwordx4 s[20:23], s[4:5], 0x0
	s_mul_hi_u32 s27, s13, 36
	s_mul_i32 s26, s13, 36
	s_mul_i32 s17, s17, s8
	v_mad_u64_u32 v[2:3], null, 0x120, v19, s[26:27]
	v_and_b32_e32 v5, 7, v0
	v_and_b32_e32 v6, 1, v0
	s_mul_hi_u32 s3, s3, s7
	s_mul_hi_u32 s15, s15, s8
	s_add_i32 s3, s7, s3
	s_add_i32 s15, s8, s15
	v_mad_u64_u32 v[2:3], null, s17, 36, v[2:3]
	v_cmp_eq_u32_e32 vcc_lo, 1, v6
	s_mul_i32 s25, s17, 36
	s_lshr_b32 s3, s3, s11
	s_mul_hi_u32 s19, s17, 36
	s_lshr_b32 s11, s15, s24
	s_mul_i32 s3, s3, s12
	v_mad_u64_u32 v[2:3], null, v5, 36, v[2:3]
	s_waitcnt lgkmcnt(0)
	s_add_u32 s12, s22, s25
	v_lshlrev_b32_e32 v4, 3, v19
	s_addc_u32 s13, s23, s19
	v_cndmask_b32_e64 v22, 0, 6, vcc_lo
	s_add_u32 s12, s12, s26
	s_addc_u32 s13, s13, s27
	v_add_co_u32 v2, vcc_lo, s22, v2
	v_bfe_u32 v7, v0, 1, 2
	v_add_co_ci_u32_e64 v3, null, s23, v3, vcc_lo
	v_mad_u64_u32 v[10:11], null, v5, 36, s[12:13]
	v_mad_u64_u32 v[12:13], null, s1, 3, v[4:5]
	v_add_co_u32 v13, vcc_lo, v2, 16
	s_mul_i32 s0, s0, s6
	v_mov_b32_e32 v20, 0
	v_lshlrev_b32_e32 v21, 1, v5
	v_add_nc_u32_e32 v23, s1, v4
	v_lshl_add_u32 v24, s1, 2, v4
	v_lshl_add_u32 v25, s1, 1, v4
	v_add_co_ci_u32_e64 v14, null, 0, v3, vcc_lo
	v_lshlrev_b32_e32 v26, 2, v5
	v_lshlrev_b32_e32 v27, 1, v7
	v_mov_b32_e32 v28, 0xffff
	v_mov_b32_e32 v29, 0xf0
	;; [unrolled: 1-line block ×6, first 2 shown]
	s_mul_i32 s11, s11, s16
	s_add_i32 s3, s3, s0
	s_mov_b32 s12, 0xbd000000
	s_add_i32 s11, s11, s3
	s_mov_b32 s3, 0
.LBB224_2:                              ; =>This Inner Loop Header: Depth=1
	v_add_nc_u32_e32 v38, s11, v19
	v_mad_u64_u32 v[48:49], null, v23, 36, v[10:11]
	v_mad_u64_u32 v[50:51], null, v25, 36, v[10:11]
	v_mad_i64_i32 v[56:57], null, v38, 56, s[20:21]
	s_clause 0x2
	global_load_dwordx4 v[6:9], v[13:14], off offset:-16
	global_load_dwordx4 v[2:5], v[13:14], off
	global_load_dword v72, v[13:14], off offset:16
	s_clause 0x1
	global_load_dwordx4 v[40:43], v[48:49], off
	global_load_dwordx4 v[44:47], v[50:51], off
	s_getpc_b64 s[0:1]
	s_add_u32 s0, s0, _ZL13iq1s_grid_gpu@rel32@lo+4
	s_addc_u32 s1, s1, _ZL13iq1s_grid_gpu@rel32@hi+12
	v_mov_b32_e32 v30, 0
	v_add_co_u32 v58, vcc_lo, v56, v26
	v_add_co_ci_u32_e64 v59, null, 0, v57, vcc_lo
	v_add_co_u32 v60, vcc_lo, v56, v21
	v_add_co_ci_u32_e64 v61, null, 0, v57, vcc_lo
	;; [unrolled: 2-line block ×3, first 2 shown]
	s_clause 0x3
	global_load_dword v38, v[58:59], off
	global_load_ushort v58, v[60:61], off offset:32
	global_load_ushort v59, v[62:63], off offset:48
	global_load_dwordx2 v[56:57], v[56:57], off offset:48
	v_mov_b32_e32 v32, 0
	v_mov_b32_e32 v66, 0
	;; [unrolled: 1-line block ×3, first 2 shown]
	v_mad_u64_u32 v[52:53], null, v12, 36, v[10:11]
	v_mov_b32_e32 v37, 0
	v_mov_b32_e32 v39, 0
	;; [unrolled: 1-line block ×6, first 2 shown]
	v_mad_u64_u32 v[54:55], null, v24, 36, v[10:11]
	v_mov_b32_e32 v64, 0
	v_mov_b32_e32 v65, 0
	;; [unrolled: 1-line block ×7, first 2 shown]
	v_add_nc_u32_e32 v19, 4, v19
	v_add_co_u32 v13, vcc_lo, 0x480, v13
	v_add_co_ci_u32_e64 v14, null, 0, v14, vcc_lo
	v_cmp_le_u32_e32 vcc_lo, s10, v19
	v_add_nc_u32_e32 v23, 32, v23
	v_add_nc_u32_e32 v24, 32, v24
	;; [unrolled: 1-line block ×4, first 2 shown]
	s_or_b32 s3, vcc_lo, s3
	s_waitcnt vmcnt(8)
	v_cvt_f32_f16_e32 v60, v6
	v_dot4c_i32_i8 v66, 0x1010101, v7
	v_dot4c_i32_i8 v37, 0x1010101, v9
	s_waitcnt vmcnt(5)
	v_dot4c_i32_i8 v67, 0x1010101, v41
	v_dot4c_i32_i8 v39, 0x1010101, v43
	v_cvt_f32_f16_e32 v76, v40
	v_dot4c_i32_i8 v66, 0x1010101, v8
	s_waitcnt vmcnt(4)
	v_dot4c_i32_i8 v68, 0x1010101, v45
	v_dot4c_i32_i8 v67, 0x1010101, v42
	;; [unrolled: 1-line block ×3, first 2 shown]
	v_cvt_f32_f16_e32 v78, v44
	v_dot4c_i32_i8 v37, 0x1010101, v2
	v_dot4c_i32_i8 v68, 0x1010101, v46
	;; [unrolled: 1-line block ×3, first 2 shown]
	v_cvt_f32_i32_e32 v37, v37
	s_waitcnt vmcnt(3)
	v_and_b32_e32 v61, 0xff, v38
	s_waitcnt vmcnt(2)
	v_lshlrev_b32_e32 v62, 8, v58
	v_and_b32_sdwa v63, v28, v58 dst_sel:DWORD dst_unused:UNUSED_PAD src0_sel:DWORD src1_sel:BYTE_1
	v_bfe_u32 v73, v38, 8, 8
	v_lshlrev_b32_e32 v74, 4, v58
	v_lshrrev_b32_e32 v6, 24, v38
	v_and_or_b32 v61, 0x700, v62, v61
	v_bfe_u32 v38, v38, 16, 8
	v_lshlrev_b32_e32 v62, 8, v63
	v_and_or_b32 v73, 0x700, v74, v73
	v_lshlrev_b32_e32 v74, 4, v63
	v_lshlrev_b32_e32 v61, 2, v61
	v_dot4c_i32_i8 v35, 0x1010101, v4
	v_and_or_b32 v38, 0x700, v62, v38
	v_lshlrev_b32_e32 v62, 2, v73
	s_clause 0x1
	global_load_dword v61, v61, s[0:1]
	global_load_dword v62, v62, s[0:1]
	v_and_or_b32 v6, 0x700, v74, v6
	v_lshlrev_b32_e32 v38, 2, v38
	v_cvt_f32_i32_e32 v35, v35
	s_waitcnt vmcnt(2)
	v_pk_lshrrev_b16 v56, 0x8000c, v56
	v_pk_lshrrev_b16 v57, 4, v57
	v_lshlrev_b32_e32 v6, 2, v6
	s_clause 0x1
	global_load_dword v38, v38, s[0:1]
	global_load_dword v73, v6, s[0:1]
	v_and_b32_e32 v57, 0xf0000f00, v57
	v_lshrrev_b32_e32 v59, v22, v59
	s_waitcnt vmcnt(3)
	v_lshrrev_b32_e32 v6, 4, v61
	v_and_b32_e32 v61, 0xf0f0f0f, v61
	s_waitcnt vmcnt(2)
	v_and_b32_e32 v74, 0xf0f0f0f, v62
	v_and_b32_e32 v75, 0xf0f0f0f, v6
	v_dot4c_i32_i8 v30, v61, v7
	v_dot4c_i32_i8 v32, v61, v41
	;; [unrolled: 1-line block ×7, first 2 shown]
	global_load_dwordx4 v[6:9], v[48:49], off offset:16
	v_dot4c_i32_i8 v32, v74, v43
	s_clause 0x1
	global_load_dwordx4 v[40:43], v[52:53], off
	global_load_dword v77, v[48:49], off offset:32
	v_dot4c_i32_i8 v33, v74, v47
	s_clause 0x1
	global_load_dwordx4 v[44:47], v[52:53], off offset:16
	global_load_dword v52, v[52:53], off offset:32
	s_waitcnt vmcnt(4)
	v_dot4c_i32_i8 v39, 0x1010101, v6
	s_waitcnt vmcnt(3)
	v_dot4c_i32_i8 v34, v61, v41
	v_dot4c_i32_i8 v69, 0x1010101, v41
	;; [unrolled: 1-line block ×3, first 2 shown]
	v_cvt_f32_f16_e32 v53, v40
	v_cvt_f32_i32_e32 v39, v39
	v_dot4c_i32_i8 v34, v75, v42
	v_dot4c_i32_i8 v69, 0x1010101, v42
	s_waitcnt vmcnt(1)
	v_dot4c_i32_i8 v65, 0x1010101, v44
	v_dot4c_i32_i8 v34, v74, v43
	global_load_dwordx4 v[40:43], v[54:55], off
	s_waitcnt vmcnt(0)
	v_dot4c_i32_i8 v36, v61, v41
	v_dot4c_i32_i8 v70, 0x1010101, v41
	v_and_b32_e32 v41, 8, v58
	v_dot4c_i32_i8 v71, 0x1010101, v43
	global_load_dword v61, v[50:51], off offset:32
	v_dot4c_i32_i8 v36, v75, v42
	v_dot4c_i32_i8 v70, 0x1010101, v42
	v_cvt_f32_ubyte0_e32 v41, v41
	v_cvt_f32_i32_e32 v42, v68
	global_load_dword v75, v[54:55], off offset:32
	v_dot4c_i32_i8 v36, v74, v43
	v_cvt_f32_f16_e32 v74, v40
	v_cvt_f32_i32_e32 v40, v66
	v_cvt_f32_i32_e32 v43, v67
	;; [unrolled: 1-line block ×4, first 2 shown]
	v_fmaak_f32 v41, s12, v41, 0xbf600000
	global_load_dwordx4 v[48:51], v[50:51], off offset:16
	v_fma_f32 v68, v41, v40, 0
	v_fma_f32 v69, v41, v42, 0
	;; [unrolled: 1-line block ×5, first 2 shown]
	global_load_dwordx4 v[40:43], v[54:55], off offset:16
	v_bfe_u32 v54, v58, 4, 4
	v_and_b32_e32 v54, 8, v54
	v_cvt_f32_ubyte0_e32 v54, v54
	v_fmaak_f32 v54, s12, v54, 0xbf600000
	v_fmac_f32_e32 v68, v54, v37
	v_mov_b32_e32 v37, 0
	v_fmac_f32_e32 v70, v54, v39
	v_mov_b32_e32 v39, 0
	v_dot4c_i32_i8 v37, 0x1010101, v5
	v_dot4c_i32_i8 v37, 0x1010101, v72
	v_cvt_f32_i32_e32 v37, v37
	s_waitcnt vmcnt(1)
	v_dot4c_i32_i8 v64, 0x1010101, v48
	v_dot4c_i32_i8 v39, 0x1010101, v49
	v_cvt_f32_i32_e32 v55, v64
	v_cvt_f32_i32_e32 v64, v65
	v_dot4c_i32_i8 v39, 0x1010101, v50
	s_waitcnt vmcnt(0)
	v_dot4c_i32_i8 v71, 0x1010101, v40
	v_fmac_f32_e32 v69, v54, v55
	v_mov_b32_e32 v55, 0
	v_fmac_f32_e32 v67, v54, v64
	v_and_b32_e32 v64, 8, v63
	v_cvt_f32_i32_e32 v58, v71
	v_lshrrev_b32_e32 v63, 4, v63
	v_dot4c_i32_i8 v55, 0x1010101, v7
	v_cvt_f32_i32_e32 v39, v39
	v_cvt_f32_ubyte0_e32 v64, v64
	v_fmac_f32_e32 v66, v54, v58
	v_mov_b32_e32 v58, 0
	v_mov_b32_e32 v54, 0
	v_and_b32_e32 v63, 8, v63
	v_dot4c_i32_i8 v55, 0x1010101, v8
	v_fmaak_f32 v64, s12, v64, 0xbf600000
	v_dot4c_i32_i8 v58, 0x1010101, v45
	v_dot4c_i32_i8 v54, 0x1010101, v41
	v_cvt_f32_ubyte0_e32 v63, v63
	v_cvt_f32_i32_e32 v55, v55
	v_fma_f32 v35, v64, v35, 0
	v_dot4c_i32_i8 v58, 0x1010101, v46
	v_dot4c_i32_i8 v54, 0x1010101, v42
	v_fmaak_f32 v63, s12, v63, 0xbf600000
	v_fma_f32 v55, v64, v55, 0
	v_fma_f32 v39, v64, v39, 0
	v_cvt_f32_i32_e32 v58, v58
	v_cvt_f32_i32_e32 v54, v54
	v_fmac_f32_e32 v35, v63, v37
	v_mov_b32_e32 v37, 0
	v_fma_f32 v58, v64, v58, 0
	v_fma_f32 v54, v64, v54, 0
	v_mov_b32_e32 v64, 0
	v_dot4c_i32_i8 v37, 0x1010101, v51
	v_dot4c_i32_i8 v64, 0x1010101, v9
	;; [unrolled: 1-line block ×4, first 2 shown]
	v_cvt_f32_i32_e32 v37, v37
	v_cvt_f32_i32_e32 v64, v64
	v_fmac_f32_e32 v39, v63, v37
	v_mov_b32_e32 v37, 0
	v_fmac_f32_e32 v55, v63, v64
	v_mov_b32_e32 v64, 0
	v_dot4c_i32_i8 v37, 0x1010101, v43
	v_dot4c_i32_i8 v64, 0x1010101, v47
	;; [unrolled: 1-line block ×4, first 2 shown]
	v_cvt_f32_i32_e32 v37, v37
	v_cvt_f32_i32_e32 v64, v64
	v_fmac_f32_e32 v54, v63, v37
	v_mov_b32_e32 v37, 0
	v_fmac_f32_e32 v58, v63, v64
	v_and_b32_sdwa v63, v56, v29 dst_sel:DWORD dst_unused:UNUSED_PAD src0_sel:WORD_1 src1_sel:DWORD
	v_mov_b32_e32 v64, 0
	v_or_b32_e32 v56, v63, v56
	v_mov_b32_e32 v63, 0
	v_or_b32_e32 v56, v56, v57
	v_or_b32_sdwa v56, v56, v57 dst_sel:DWORD dst_unused:UNUSED_PAD src0_sel:DWORD src1_sel:WORD_1
	v_mov_b32_e32 v57, 0
	v_cvt_f32_f16_e32 v56, v56
	v_mul_f32_e32 v60, v60, v56
	v_mul_f32_e32 v65, v56, v78
	;; [unrolled: 1-line block ×5, first 2 shown]
	v_and_b32_e32 v56, 0xf0f0f0f, v38
	v_lshrrev_b32_e32 v38, 4, v38
	v_dot4c_i32_i8 v31, v56, v3
	v_dot4c_i32_i8 v64, v56, v7
	;; [unrolled: 1-line block ×5, first 2 shown]
	v_and_b32_e32 v38, 0xf0f0f0f, v38
	v_lshrrev_b32_e32 v41, 4, v62
	v_lshlrev_b32_e32 v3, 1, v59
	v_lshrrev_b32_e32 v7, 2, v59
	v_dot4c_i32_i8 v31, v38, v4
	v_dot4c_i32_i8 v64, v38, v8
	;; [unrolled: 1-line block ×5, first 2 shown]
	v_lshrrev_b32_e32 v4, 4, v73
	v_and_b32_e32 v38, 0xf0f0f0f, v73
	v_and_b32_e32 v8, 0xf0f0f0f, v41
	;; [unrolled: 1-line block ×5, first 2 shown]
	v_dot4c_i32_i8 v31, v38, v5
	v_dot4c_i32_i8 v64, v38, v9
	;; [unrolled: 1-line block ×12, first 2 shown]
	v_or_b32_e32 v3, 1, v3
	v_or_b32_e32 v7, 1, v7
	v_dot4c_i32_i8 v34, v8, v44
	v_cvt_f32_i32_e32 v2, v30
	v_dot4c_i32_i8 v37, v4, v61
	v_dot4c_i32_i8 v57, v4, v75
	v_cvt_f32_i32_e32 v4, v33
	v_cvt_f32_i32_e32 v5, v32
	;; [unrolled: 1-line block ×6, first 2 shown]
	v_cvt_f32_ubyte0_e32 v3, v3
	v_cvt_f32_ubyte0_e32 v7, v7
	v_cvt_f32_i32_e32 v8, v34
	v_cvt_f32_i32_e32 v31, v37
	v_add_f32_e32 v4, v69, v4
	v_add_f32_e32 v6, v66, v6
	v_cvt_f32_i32_e32 v33, v57
	v_add_f32_e32 v9, v35, v9
	v_add_f32_e32 v30, v55, v30
	;; [unrolled: 1-line block ×6, first 2 shown]
	v_mul_f32_e32 v4, v4, v3
	v_add_f32_e32 v31, v39, v31
	v_mul_f32_e32 v6, v6, v3
	v_add_f32_e32 v33, v54, v33
	v_mul_f32_e32 v9, v9, v7
	v_mul_f32_e32 v30, v30, v7
	;; [unrolled: 1-line block ×3, first 2 shown]
	v_fmac_f32_e32 v4, v31, v7
	v_fmac_f32_e32 v6, v33, v7
	;; [unrolled: 1-line block ×10, first 2 shown]
	s_andn2_b32 exec_lo, exec_lo, s3
	s_cbranch_execnz .LBB224_2
; %bb.3:
	s_or_b32 exec_lo, exec_lo, s3
.LBB224_4:
	s_or_b32 exec_lo, exec_lo, s9
	s_mov_b32 s1, 0
	; wave barrier
	buffer_gl0_inv
	s_mov_b32 s0, exec_lo
	v_cmpx_eq_u32_e32 0, v1
	s_cbranch_execz .LBB224_15
; %bb.5:
	v_mbcnt_lo_u32_b32 v5, -1, 0
	s_load_dwordx2 s[4:5], s[4:5], 0x38
	s_mul_i32 s0, s14, s7
	s_mul_i32 s3, s18, s8
	s_add_i32 s0, s0, s6
	v_xor_b32_e32 v1, 16, v5
	v_xor_b32_e32 v2, 8, v5
	v_xor_b32_e32 v8, 1, v5
	s_add_i32 s0, s0, s3
	s_lshl_b64 s[0:1], s[0:1], 2
	v_cmp_gt_i32_e32 vcc_lo, 32, v1
	v_cndmask_b32_e32 v1, v5, v1, vcc_lo
	v_cmp_gt_i32_e32 vcc_lo, 32, v2
	v_lshlrev_b32_e32 v1, 2, v1
	v_cndmask_b32_e32 v2, v5, v2, vcc_lo
	s_waitcnt lgkmcnt(0)
	s_add_u32 s0, s4, s0
	s_addc_u32 s1, s5, s1
	ds_bpermute_b32 v3, v1, v20
	v_lshlrev_b32_e32 v2, 2, v2
	s_waitcnt lgkmcnt(0)
	v_add_f32_e32 v4, v20, v3
	v_xor_b32_e32 v3, 4, v5
	ds_bpermute_b32 v6, v2, v4
	v_cmp_gt_i32_e32 vcc_lo, 32, v3
	v_cndmask_b32_e32 v3, v5, v3, vcc_lo
	v_lshlrev_b32_e32 v3, 2, v3
	s_waitcnt lgkmcnt(0)
	v_add_f32_e32 v6, v4, v6
	v_xor_b32_e32 v4, 2, v5
	ds_bpermute_b32 v7, v3, v6
	v_cmp_gt_i32_e32 vcc_lo, 32, v4
	v_cndmask_b32_e32 v4, v5, v4, vcc_lo
	v_cmp_gt_i32_e32 vcc_lo, 32, v8
	v_lshlrev_b32_e32 v4, 2, v4
	v_cndmask_b32_e32 v5, v5, v8, vcc_lo
	v_cmp_eq_u32_e32 vcc_lo, 0, v0
	v_lshlrev_b32_e32 v5, 2, v5
	s_waitcnt lgkmcnt(0)
	v_add_f32_e32 v6, v6, v7
	ds_bpermute_b32 v7, v4, v6
	s_waitcnt lgkmcnt(0)
	v_add_f32_e32 v6, v6, v7
	ds_bpermute_b32 v7, v5, v6
	s_and_saveexec_b32 s3, vcc_lo
	s_cbranch_execz .LBB224_7
; %bb.6:
	s_waitcnt lgkmcnt(0)
	v_add_f32_e32 v0, v6, v7
	v_mov_b32_e32 v6, 0
	global_store_dword v6, v0, s[0:1]
.LBB224_7:
	s_or_b32 exec_lo, exec_lo, s3
	ds_bpermute_b32 v0, v1, v18
	s_waitcnt lgkmcnt(0)
	v_add_f32_e32 v0, v18, v0
	ds_bpermute_b32 v6, v2, v0
	s_waitcnt lgkmcnt(0)
	v_add_f32_e32 v0, v0, v6
	;; [unrolled: 3-line block ×4, first 2 shown]
	ds_bpermute_b32 v6, v5, v0
	s_and_saveexec_b32 s4, vcc_lo
	s_cbranch_execz .LBB224_9
; %bb.8:
	s_mov_b32 s3, 0
	s_waitcnt lgkmcnt(0)
	v_add_f32_e32 v0, v0, v6
	s_lshl_b64 s[6:7], s[2:3], 2
	v_mov_b32_e32 v6, 0
	s_add_u32 s6, s0, s6
	s_addc_u32 s7, s1, s7
	global_store_dword v6, v0, s[6:7]
.LBB224_9:
	s_or_b32 exec_lo, exec_lo, s4
	ds_bpermute_b32 v0, v1, v17
	s_waitcnt lgkmcnt(0)
	v_add_f32_e32 v0, v17, v0
	ds_bpermute_b32 v6, v2, v0
	s_waitcnt lgkmcnt(0)
	v_add_f32_e32 v0, v0, v6
	;; [unrolled: 3-line block ×4, first 2 shown]
	ds_bpermute_b32 v6, v5, v0
	s_and_saveexec_b32 s3, vcc_lo
	s_cbranch_execz .LBB224_11
; %bb.10:
	s_lshl_b32 s4, s2, 1
	s_mov_b32 s5, 0
	s_waitcnt lgkmcnt(0)
	v_add_f32_e32 v0, v0, v6
	s_lshl_b64 s[4:5], s[4:5], 2
	v_mov_b32_e32 v6, 0
	s_add_u32 s4, s0, s4
	s_addc_u32 s5, s1, s5
	global_store_dword v6, v0, s[4:5]
.LBB224_11:
	s_or_b32 exec_lo, exec_lo, s3
	ds_bpermute_b32 v0, v1, v16
	s_waitcnt lgkmcnt(0)
	v_add_f32_e32 v0, v16, v0
	ds_bpermute_b32 v6, v2, v0
	s_waitcnt lgkmcnt(0)
	v_add_f32_e32 v0, v0, v6
	;; [unrolled: 3-line block ×4, first 2 shown]
	ds_bpermute_b32 v6, v5, v0
	s_and_saveexec_b32 s3, vcc_lo
	s_cbranch_execz .LBB224_13
; %bb.12:
	s_mul_i32 s4, s2, 3
	s_mov_b32 s5, 0
	s_waitcnt lgkmcnt(0)
	v_add_f32_e32 v0, v0, v6
	s_lshl_b64 s[4:5], s[4:5], 2
	v_mov_b32_e32 v6, 0
	s_add_u32 s4, s0, s4
	s_addc_u32 s5, s1, s5
	global_store_dword v6, v0, s[4:5]
.LBB224_13:
	s_or_b32 exec_lo, exec_lo, s3
	ds_bpermute_b32 v0, v1, v15
	s_waitcnt lgkmcnt(0)
	v_add_f32_e32 v0, v15, v0
	ds_bpermute_b32 v1, v2, v0
	s_waitcnt lgkmcnt(0)
	v_add_f32_e32 v0, v0, v1
	;; [unrolled: 3-line block ×4, first 2 shown]
	ds_bpermute_b32 v1, v5, v0
	s_and_b32 exec_lo, exec_lo, vcc_lo
	s_cbranch_execz .LBB224_15
; %bb.14:
	s_lshl_b32 s2, s2, 2
	s_mov_b32 s3, 0
	s_waitcnt lgkmcnt(0)
	v_add_f32_e32 v0, v0, v1
	s_lshl_b64 s[2:3], s[2:3], 2
	v_mov_b32_e32 v1, 0
	s_add_u32 s0, s0, s2
	s_addc_u32 s1, s1, s3
	global_store_dword v1, v0, s[0:1]
.LBB224_15:
	s_endpgm
	.section	.rodata,"a",@progbits
	.p2align	6, 0x0
	.amdhsa_kernel _ZL13mul_mat_vec_qIL9ggml_type29ELi5ELb0ELb0EEvPKvS2_PKi31ggml_cuda_mm_fusion_args_devicePfj15HIP_vector_typeIjLj3EEjjjS8_jjjS8_jjjj
		.amdhsa_group_segment_fixed_size 0
		.amdhsa_private_segment_fixed_size 0
		.amdhsa_kernarg_size 144
		.amdhsa_user_sgpr_count 6
		.amdhsa_user_sgpr_private_segment_buffer 1
		.amdhsa_user_sgpr_dispatch_ptr 0
		.amdhsa_user_sgpr_queue_ptr 0
		.amdhsa_user_sgpr_kernarg_segment_ptr 1
		.amdhsa_user_sgpr_dispatch_id 0
		.amdhsa_user_sgpr_flat_scratch_init 0
		.amdhsa_user_sgpr_private_segment_size 0
		.amdhsa_wavefront_size32 1
		.amdhsa_uses_dynamic_stack 0
		.amdhsa_system_sgpr_private_segment_wavefront_offset 0
		.amdhsa_system_sgpr_workgroup_id_x 1
		.amdhsa_system_sgpr_workgroup_id_y 1
		.amdhsa_system_sgpr_workgroup_id_z 1
		.amdhsa_system_sgpr_workgroup_info 0
		.amdhsa_system_vgpr_workitem_id 1
		.amdhsa_next_free_vgpr 79
		.amdhsa_next_free_sgpr 28
		.amdhsa_reserve_vcc 1
		.amdhsa_reserve_flat_scratch 0
		.amdhsa_float_round_mode_32 0
		.amdhsa_float_round_mode_16_64 0
		.amdhsa_float_denorm_mode_32 3
		.amdhsa_float_denorm_mode_16_64 3
		.amdhsa_dx10_clamp 1
		.amdhsa_ieee_mode 1
		.amdhsa_fp16_overflow 0
		.amdhsa_workgroup_processor_mode 1
		.amdhsa_memory_ordered 1
		.amdhsa_forward_progress 1
		.amdhsa_shared_vgpr_count 0
		.amdhsa_exception_fp_ieee_invalid_op 0
		.amdhsa_exception_fp_denorm_src 0
		.amdhsa_exception_fp_ieee_div_zero 0
		.amdhsa_exception_fp_ieee_overflow 0
		.amdhsa_exception_fp_ieee_underflow 0
		.amdhsa_exception_fp_ieee_inexact 0
		.amdhsa_exception_int_div_zero 0
	.end_amdhsa_kernel
	.section	.text._ZL13mul_mat_vec_qIL9ggml_type29ELi5ELb0ELb0EEvPKvS2_PKi31ggml_cuda_mm_fusion_args_devicePfj15HIP_vector_typeIjLj3EEjjjS8_jjjS8_jjjj,"axG",@progbits,_ZL13mul_mat_vec_qIL9ggml_type29ELi5ELb0ELb0EEvPKvS2_PKi31ggml_cuda_mm_fusion_args_devicePfj15HIP_vector_typeIjLj3EEjjjS8_jjjS8_jjjj,comdat
.Lfunc_end224:
	.size	_ZL13mul_mat_vec_qIL9ggml_type29ELi5ELb0ELb0EEvPKvS2_PKi31ggml_cuda_mm_fusion_args_devicePfj15HIP_vector_typeIjLj3EEjjjS8_jjjS8_jjjj, .Lfunc_end224-_ZL13mul_mat_vec_qIL9ggml_type29ELi5ELb0ELb0EEvPKvS2_PKi31ggml_cuda_mm_fusion_args_devicePfj15HIP_vector_typeIjLj3EEjjjS8_jjjS8_jjjj
                                        ; -- End function
	.set _ZL13mul_mat_vec_qIL9ggml_type29ELi5ELb0ELb0EEvPKvS2_PKi31ggml_cuda_mm_fusion_args_devicePfj15HIP_vector_typeIjLj3EEjjjS8_jjjS8_jjjj.num_vgpr, 79
	.set _ZL13mul_mat_vec_qIL9ggml_type29ELi5ELb0ELb0EEvPKvS2_PKi31ggml_cuda_mm_fusion_args_devicePfj15HIP_vector_typeIjLj3EEjjjS8_jjjS8_jjjj.num_agpr, 0
	.set _ZL13mul_mat_vec_qIL9ggml_type29ELi5ELb0ELb0EEvPKvS2_PKi31ggml_cuda_mm_fusion_args_devicePfj15HIP_vector_typeIjLj3EEjjjS8_jjjS8_jjjj.numbered_sgpr, 28
	.set _ZL13mul_mat_vec_qIL9ggml_type29ELi5ELb0ELb0EEvPKvS2_PKi31ggml_cuda_mm_fusion_args_devicePfj15HIP_vector_typeIjLj3EEjjjS8_jjjS8_jjjj.num_named_barrier, 0
	.set _ZL13mul_mat_vec_qIL9ggml_type29ELi5ELb0ELb0EEvPKvS2_PKi31ggml_cuda_mm_fusion_args_devicePfj15HIP_vector_typeIjLj3EEjjjS8_jjjS8_jjjj.private_seg_size, 0
	.set _ZL13mul_mat_vec_qIL9ggml_type29ELi5ELb0ELb0EEvPKvS2_PKi31ggml_cuda_mm_fusion_args_devicePfj15HIP_vector_typeIjLj3EEjjjS8_jjjS8_jjjj.uses_vcc, 1
	.set _ZL13mul_mat_vec_qIL9ggml_type29ELi5ELb0ELb0EEvPKvS2_PKi31ggml_cuda_mm_fusion_args_devicePfj15HIP_vector_typeIjLj3EEjjjS8_jjjS8_jjjj.uses_flat_scratch, 0
	.set _ZL13mul_mat_vec_qIL9ggml_type29ELi5ELb0ELb0EEvPKvS2_PKi31ggml_cuda_mm_fusion_args_devicePfj15HIP_vector_typeIjLj3EEjjjS8_jjjS8_jjjj.has_dyn_sized_stack, 0
	.set _ZL13mul_mat_vec_qIL9ggml_type29ELi5ELb0ELb0EEvPKvS2_PKi31ggml_cuda_mm_fusion_args_devicePfj15HIP_vector_typeIjLj3EEjjjS8_jjjS8_jjjj.has_recursion, 0
	.set _ZL13mul_mat_vec_qIL9ggml_type29ELi5ELb0ELb0EEvPKvS2_PKi31ggml_cuda_mm_fusion_args_devicePfj15HIP_vector_typeIjLj3EEjjjS8_jjjS8_jjjj.has_indirect_call, 0
	.section	.AMDGPU.csdata,"",@progbits
; Kernel info:
; codeLenInByte = 2932
; TotalNumSgprs: 30
; NumVgprs: 79
; ScratchSize: 0
; MemoryBound: 0
; FloatMode: 240
; IeeeMode: 1
; LDSByteSize: 0 bytes/workgroup (compile time only)
; SGPRBlocks: 0
; VGPRBlocks: 9
; NumSGPRsForWavesPerEU: 30
; NumVGPRsForWavesPerEU: 79
; Occupancy: 12
; WaveLimiterHint : 0
; COMPUTE_PGM_RSRC2:SCRATCH_EN: 0
; COMPUTE_PGM_RSRC2:USER_SGPR: 6
; COMPUTE_PGM_RSRC2:TRAP_HANDLER: 0
; COMPUTE_PGM_RSRC2:TGID_X_EN: 1
; COMPUTE_PGM_RSRC2:TGID_Y_EN: 1
; COMPUTE_PGM_RSRC2:TGID_Z_EN: 1
; COMPUTE_PGM_RSRC2:TIDIG_COMP_CNT: 1
	.section	.text._ZL13mul_mat_vec_qIL9ggml_type29ELi6ELb0ELb0EEvPKvS2_PKi31ggml_cuda_mm_fusion_args_devicePfj15HIP_vector_typeIjLj3EEjjjS8_jjjS8_jjjj,"axG",@progbits,_ZL13mul_mat_vec_qIL9ggml_type29ELi6ELb0ELb0EEvPKvS2_PKi31ggml_cuda_mm_fusion_args_devicePfj15HIP_vector_typeIjLj3EEjjjS8_jjjS8_jjjj,comdat
	.globl	_ZL13mul_mat_vec_qIL9ggml_type29ELi6ELb0ELb0EEvPKvS2_PKi31ggml_cuda_mm_fusion_args_devicePfj15HIP_vector_typeIjLj3EEjjjS8_jjjS8_jjjj ; -- Begin function _ZL13mul_mat_vec_qIL9ggml_type29ELi6ELb0ELb0EEvPKvS2_PKi31ggml_cuda_mm_fusion_args_devicePfj15HIP_vector_typeIjLj3EEjjjS8_jjjS8_jjjj
	.p2align	8
	.type	_ZL13mul_mat_vec_qIL9ggml_type29ELi6ELb0ELb0EEvPKvS2_PKi31ggml_cuda_mm_fusion_args_devicePfj15HIP_vector_typeIjLj3EEjjjS8_jjjS8_jjjj,@function
_ZL13mul_mat_vec_qIL9ggml_type29ELi6ELb0ELb0EEvPKvS2_PKi31ggml_cuda_mm_fusion_args_devicePfj15HIP_vector_typeIjLj3EEjjjS8_jjjS8_jjjj: ; @_ZL13mul_mat_vec_qIL9ggml_type29ELi6ELb0ELb0EEvPKvS2_PKi31ggml_cuda_mm_fusion_args_devicePfj15HIP_vector_typeIjLj3EEjjjS8_jjjS8_jjjj
; %bb.0:
	s_clause 0x5
	s_load_dword s9, s[4:5], 0x40
	s_load_dwordx4 s[0:3], s[4:5], 0x50
	s_load_dword s11, s[4:5], 0x60
	s_load_dwordx4 s[12:15], s[4:5], 0x68
	;; [unrolled: 2-line block ×3, first 2 shown]
	v_lshl_or_b32 v2, v1, 5, v0
	v_mov_b32_e32 v21, 0
	v_mov_b32_e32 v20, 0
	;; [unrolled: 1-line block ×4, first 2 shown]
	v_lshrrev_b32_e32 v25, 3, v2
	v_mov_b32_e32 v24, 0
	v_mov_b32_e32 v26, 0
	s_waitcnt lgkmcnt(0)
	s_lshr_b32 s10, s9, 8
	s_mov_b32 s9, exec_lo
	v_cmpx_gt_u32_e64 s10, v25
	s_cbranch_execz .LBB225_4
; %bb.1:
	s_mul_i32 s13, s13, s7
	s_load_dwordx4 s[20:23], s[4:5], 0x0
	s_mul_hi_u32 s27, s13, 36
	s_mul_i32 s26, s13, 36
	s_mul_i32 s17, s17, s8
	v_mad_u64_u32 v[2:3], null, 0x120, v25, s[26:27]
	v_and_b32_e32 v5, 7, v0
	v_and_b32_e32 v6, 1, v0
	s_mul_hi_u32 s3, s3, s7
	s_mul_hi_u32 s15, s15, s8
	s_add_i32 s3, s7, s3
	s_add_i32 s15, s8, s15
	v_mad_u64_u32 v[2:3], null, s17, 36, v[2:3]
	v_cmp_eq_u32_e32 vcc_lo, 1, v6
	s_mul_i32 s25, s17, 36
	s_lshr_b32 s3, s3, s11
	s_mul_hi_u32 s19, s17, 36
	s_lshr_b32 s11, s15, s24
	v_lshlrev_b32_e32 v4, 3, v25
	v_mad_u64_u32 v[2:3], null, v5, 36, v[2:3]
	s_mul_i32 s3, s3, s12
	s_waitcnt lgkmcnt(0)
	s_add_u32 s12, s22, s25
	s_addc_u32 s13, s23, s19
	v_cndmask_b32_e64 v28, 0, 6, vcc_lo
	s_add_u32 s12, s12, s26
	s_addc_u32 s13, s13, s27
	v_add_co_u32 v2, vcc_lo, s22, v2
	v_bfe_u32 v7, v0, 1, 2
	v_add_co_ci_u32_e64 v3, null, s23, v3, vcc_lo
	v_mad_u64_u32 v[12:13], null, s1, 5, v[4:5]
	v_mad_u64_u32 v[10:11], null, v5, 36, s[12:13]
	;; [unrolled: 1-line block ×3, first 2 shown]
	v_add_co_u32 v14, vcc_lo, v2, 16
	s_mul_i32 s0, s0, s6
	v_mov_b32_e32 v20, 0
	v_lshlrev_b32_e32 v27, 1, v5
	v_add_nc_u32_e32 v29, s1, v4
	v_lshl_add_u32 v30, s1, 2, v4
	v_lshl_add_u32 v31, s1, 1, v4
	v_add_co_ci_u32_e64 v15, null, 0, v3, vcc_lo
	v_lshlrev_b32_e32 v32, 2, v5
	v_lshlrev_b32_e32 v33, 1, v7
	v_mov_b32_e32 v34, 0xffff
	v_mov_b32_e32 v35, 0xf0
	;; [unrolled: 1-line block ×7, first 2 shown]
	s_mul_i32 s11, s11, s16
	s_add_i32 s3, s3, s0
	s_mov_b32 s12, 0xbd000000
	s_add_i32 s11, s11, s3
	s_mov_b32 s3, 0
.LBB225_2:                              ; =>This Inner Loop Header: Depth=1
	v_add_nc_u32_e32 v48, s11, v25
	v_mad_u64_u32 v[16:17], null, v29, 36, v[10:11]
	v_mad_u64_u32 v[18:19], null, v31, 36, v[10:11]
	v_mad_i64_i32 v[69:70], null, v48, 56, s[20:21]
	v_mad_u64_u32 v[63:64], null, v13, 36, v[10:11]
	s_clause 0x1
	global_load_dwordx4 v[6:9], v[14:15], off offset:-16
	global_load_dwordx4 v[2:5], v[14:15], off
	s_clause 0x2
	global_load_dwordx4 v[51:54], v[16:17], off
	global_load_dwordx4 v[55:58], v[18:19], off
	;; [unrolled: 1-line block ×3, first 2 shown]
	v_add_co_u32 v71, vcc_lo, v69, v32
	v_add_co_ci_u32_e64 v72, null, 0, v70, vcc_lo
	v_add_co_u32 v73, vcc_lo, v69, v27
	v_add_co_ci_u32_e64 v74, null, 0, v70, vcc_lo
	;; [unrolled: 2-line block ×3, first 2 shown]
	s_clause 0x3
	global_load_dword v48, v[71:72], off
	global_load_ushort v71, v[73:74], off offset:32
	global_load_ushort v72, v[75:76], off offset:48
	global_load_dwordx2 v[69:70], v[69:70], off offset:48
	s_getpc_b64 s[0:1]
	s_add_u32 s0, s0, _ZL13iq1s_grid_gpu@rel32@lo+4
	s_addc_u32 s1, s1, _ZL13iq1s_grid_gpu@rel32@hi+12
	v_mov_b32_e32 v36, 0
	v_mov_b32_e32 v38, 0
	;; [unrolled: 1-line block ×8, first 2 shown]
	v_mad_u64_u32 v[65:66], null, v30, 36, v[10:11]
	v_mad_u64_u32 v[67:68], null, v12, 36, v[10:11]
	v_mov_b32_e32 v43, 0
	v_mov_b32_e32 v45, 0
	;; [unrolled: 1-line block ×16, first 2 shown]
	v_add_nc_u32_e32 v25, 4, v25
	v_add_nc_u32_e32 v29, 32, v29
	v_add_nc_u32_e32 v12, 32, v12
	v_add_nc_u32_e32 v30, 32, v30
	v_add_nc_u32_e32 v13, 32, v13
	v_add_nc_u32_e32 v31, 32, v31
	s_waitcnt vmcnt(8)
	v_cvt_f32_f16_e32 v73, v6
	v_dot4c_i32_i8 v79, 0x1010101, v7
	v_dot4c_i32_i8 v43, 0x1010101, v9
	s_waitcnt vmcnt(6)
	v_dot4c_i32_i8 v80, 0x1010101, v52
	s_waitcnt vmcnt(5)
	;; [unrolled: 2-line block ×3, first 2 shown]
	v_dot4c_i32_i8 v82, 0x1010101, v60
	v_dot4c_i32_i8 v79, 0x1010101, v8
	;; [unrolled: 1-line block ×3, first 2 shown]
	v_cvt_f32_f16_e32 v90, v51
	v_dot4c_i32_i8 v80, 0x1010101, v53
	v_dot4c_i32_i8 v49, 0x1010101, v58
	v_cvt_f32_f16_e32 v92, v55
	v_dot4c_i32_i8 v81, 0x1010101, v57
	v_dot4c_i32_i8 v77, 0x1010101, v62
	v_cvt_f32_f16_e32 v93, v59
	v_dot4c_i32_i8 v82, 0x1010101, v61
	s_waitcnt vmcnt(3)
	v_and_b32_e32 v74, 0xff, v48
	s_waitcnt vmcnt(2)
	v_lshlrev_b32_e32 v75, 8, v71
	v_and_b32_sdwa v76, v34, v71 dst_sel:DWORD dst_unused:UNUSED_PAD src0_sel:DWORD src1_sel:BYTE_1
	v_bfe_u32 v87, v48, 8, 8
	v_lshlrev_b32_e32 v88, 4, v71
	v_lshrrev_b32_e32 v6, 24, v48
	v_and_or_b32 v74, 0x700, v75, v74
	v_bfe_u32 v48, v48, 16, 8
	v_lshlrev_b32_e32 v75, 8, v76
	v_and_or_b32 v87, 0x700, v88, v87
	v_lshlrev_b32_e32 v88, 4, v76
	v_lshlrev_b32_e32 v74, 2, v74
	v_dot4c_i32_i8 v43, 0x1010101, v2
	v_and_or_b32 v48, 0x700, v75, v48
	v_lshlrev_b32_e32 v75, 2, v87
	s_clause 0x1
	global_load_dword v74, v74, s[0:1]
	global_load_dword v75, v75, s[0:1]
	v_and_or_b32 v6, 0x700, v88, v6
	v_lshlrev_b32_e32 v48, 2, v48
	s_waitcnt vmcnt(2)
	v_pk_lshrrev_b16 v69, 0x8000c, v69
	v_cvt_f32_i32_e32 v43, v43
	v_dot4c_i32_i8 v41, 0x1010101, v3
	v_lshlrev_b32_e32 v6, 2, v6
	s_clause 0x1
	global_load_dword v48, v48, s[0:1]
	global_load_dword v87, v6, s[0:1]
	v_dot4c_i32_i8 v41, 0x1010101, v4
	v_dot4c_i32_i8 v40, 0x1010101, v5
	v_pk_lshrrev_b16 v70, 4, v70
	v_lshrrev_b32_e32 v72, v28, v72
	v_cvt_f32_i32_e32 v41, v41
	v_and_b32_e32 v70, 0xf0000f00, v70
	s_waitcnt vmcnt(3)
	v_lshrrev_b32_e32 v6, 4, v74
	v_and_b32_e32 v74, 0xf0f0f0f, v74
	s_waitcnt vmcnt(2)
	v_and_b32_e32 v88, 0xf0f0f0f, v75
	v_and_b32_e32 v89, 0xf0f0f0f, v6
	v_dot4c_i32_i8 v36, v74, v7
	v_dot4c_i32_i8 v38, v74, v52
	;; [unrolled: 1-line block ×9, first 2 shown]
	global_load_dwordx4 v[6:9], v[16:17], off offset:16
	v_dot4c_i32_i8 v38, v88, v54
	s_clause 0x1
	global_load_dwordx4 v[51:54], v[63:64], off offset:16
	global_load_dword v91, v[16:17], off offset:32
	v_dot4c_i32_i8 v46, v88, v58
	global_load_dwordx4 v[55:58], v[65:66], off
	v_dot4c_i32_i8 v47, v88, v62
	s_clause 0x1
	global_load_dwordx4 v[59:62], v[67:68], off
	global_load_dword v63, v[63:64], off offset:32
	v_cvt_f32_i32_e32 v16, v79
	v_cvt_f32_i32_e32 v17, v80
	s_waitcnt vmcnt(5)
	v_dot4c_i32_i8 v45, 0x1010101, v6
	s_waitcnt vmcnt(4)
	v_dot4c_i32_i8 v77, 0x1010101, v51
	v_dot4c_i32_i8 v44, 0x1010101, v7
	;; [unrolled: 1-line block ×3, first 2 shown]
	s_waitcnt vmcnt(2)
	v_dot4c_i32_i8 v50, v74, v56
	s_waitcnt vmcnt(1)
	v_dot4c_i32_i8 v84, v74, v60
	v_dot4c_i32_i8 v83, 0x1010101, v56
	;; [unrolled: 1-line block ×6, first 2 shown]
	v_cvt_f32_f16_e32 v64, v55
	v_dot4c_i32_i8 v83, 0x1010101, v57
	global_load_dword v74, v[14:15], off offset:16
	v_dot4c_i32_i8 v50, v88, v58
	global_load_dwordx4 v[55:58], v[67:68], off offset:16
	v_dot4c_i32_i8 v86, 0x1010101, v62
	v_cvt_f32_f16_e32 v89, v59
	v_dot4c_i32_i8 v85, 0x1010101, v61
	v_dot4c_i32_i8 v84, v88, v62
	s_clause 0x3
	global_load_dwordx4 v[59:62], v[18:19], off offset:16
	global_load_dword v88, v[18:19], off offset:32
	global_load_dword v94, v[65:66], off offset:32
	;; [unrolled: 1-line block ×3, first 2 shown]
	v_and_b32_e32 v18, 8, v71
	v_cvt_f32_i32_e32 v19, v82
	v_cvt_f32_i32_e32 v68, v81
	;; [unrolled: 1-line block ×4, first 2 shown]
	v_cvt_f32_ubyte0_e32 v18, v18
	v_cvt_f32_i32_e32 v45, v45
	v_dot4c_i32_i8 v44, 0x1010101, v8
	v_dot4c_i32_i8 v42, 0x1010101, v91
	v_add_co_u32 v14, vcc_lo, 0x480, v14
	v_fmaak_f32 v18, s12, v18, 0xbf600000
	v_cvt_f32_i32_e32 v44, v44
	v_cvt_f32_i32_e32 v42, v42
	v_add_co_ci_u32_e64 v15, null, 0, v15, vcc_lo
	v_fma_f32 v81, v18, v17, 0
	v_fma_f32 v82, v18, v16, 0
	;; [unrolled: 1-line block ×6, first 2 shown]
	global_load_dwordx4 v[16:19], v[65:66], off offset:16
	v_bfe_u32 v65, v71, 4, 4
	v_cvt_f32_i32_e32 v66, v77
	v_cmp_le_u32_e32 vcc_lo, s10, v25
	v_and_b32_e32 v65, 8, v65
	s_or_b32 s3, vcc_lo, s3
	v_cvt_f32_ubyte0_e32 v65, v65
	v_fmaak_f32 v65, s12, v65, 0xbf600000
	v_fmac_f32_e32 v81, v65, v45
	v_mov_b32_e32 v45, 0
	v_fmac_f32_e32 v82, v65, v43
	v_mov_b32_e32 v43, 0
	;; [unrolled: 2-line block ×3, first 2 shown]
	s_waitcnt vmcnt(6)
	v_dot4c_i32_i8 v40, 0x1010101, v74
	s_waitcnt vmcnt(5)
	v_dot4c_i32_i8 v86, 0x1010101, v55
	;; [unrolled: 2-line block ×3, first 2 shown]
	v_dot4c_i32_i8 v45, 0x1010101, v60
	v_dot4c_i32_i8 v43, 0x1010101, v62
	v_cvt_f32_i32_e32 v71, v86
	v_cvt_f32_i32_e32 v40, v40
	;; [unrolled: 1-line block ×3, first 2 shown]
	v_dot4c_i32_i8 v45, 0x1010101, v61
	s_waitcnt vmcnt(3)
	v_dot4c_i32_i8 v43, 0x1010101, v88
	v_fmac_f32_e32 v79, v65, v71
	v_mov_b32_e32 v71, 0
	v_fmac_f32_e32 v68, v65, v49
	v_mov_b32_e32 v49, 0
	v_cvt_f32_i32_e32 v45, v45
	v_cvt_f32_i32_e32 v43, v43
	v_and_b32_e32 v86, 0xf0f0f0f, v87
	v_lshrrev_b32_e32 v87, 4, v87
	v_dot4c_i32_i8 v49, 0x1010101, v52
	v_dot4c_i32_i8 v49, 0x1010101, v53
	s_waitcnt vmcnt(0)
	v_dot4c_i32_i8 v78, 0x1010101, v16
	v_dot4c_i32_i8 v71, 0x1010101, v17
	v_cvt_f32_i32_e32 v49, v49
	v_cvt_f32_i32_e32 v77, v78
	v_dot4c_i32_i8 v71, 0x1010101, v18
	v_fmac_f32_e32 v80, v65, v77
	v_and_b32_sdwa v77, v69, v35 dst_sel:DWORD dst_unused:UNUSED_PAD src0_sel:WORD_1 src1_sel:DWORD
	v_mov_b32_e32 v65, 0
	v_cvt_f32_i32_e32 v71, v71
	v_or_b32_e32 v69, v77, v69
	v_and_b32_e32 v77, 8, v76
	v_lshrrev_b32_e32 v76, 4, v76
	v_dot4c_i32_i8 v65, 0x1010101, v56
	v_or_b32_e32 v69, v69, v70
	v_cvt_f32_ubyte0_e32 v77, v77
	v_and_b32_e32 v76, 8, v76
	v_dot4c_i32_i8 v65, 0x1010101, v57
	v_or_b32_sdwa v69, v69, v70 dst_sel:DWORD dst_unused:UNUSED_PAD src0_sel:DWORD src1_sel:WORD_1
	v_fmaak_f32 v77, s12, v77, 0xbf600000
	v_cvt_f32_ubyte0_e32 v76, v76
	v_cvt_f32_i32_e32 v65, v65
	v_mov_b32_e32 v70, 0
	v_cvt_f32_f16_e32 v69, v69
	v_fma_f32 v41, v77, v41, 0
	v_fma_f32 v45, v77, v45, 0
	v_fmaak_f32 v76, s12, v76, 0xbf600000
	v_fma_f32 v44, v77, v44, 0
	v_fma_f32 v49, v77, v49, 0
	;; [unrolled: 1-line block ×4, first 2 shown]
	v_mov_b32_e32 v77, 0
	v_fmac_f32_e32 v41, v76, v40
	v_mov_b32_e32 v40, 0
	v_fmac_f32_e32 v45, v76, v43
	v_mov_b32_e32 v43, 0
	v_dot4c_i32_i8 v77, 0x1010101, v54
	v_fmac_f32_e32 v44, v76, v42
	v_dot4c_i32_i8 v40, 0x1010101, v19
	v_mov_b32_e32 v42, 0
	v_dot4c_i32_i8 v43, 0x1010101, v58
	v_dot4c_i32_i8 v77, 0x1010101, v63
	v_mul_f32_e32 v73, v69, v73
	v_dot4c_i32_i8 v40, 0x1010101, v94
	v_mul_f32_e32 v78, v69, v92
	v_dot4c_i32_i8 v43, 0x1010101, v67
	v_cvt_f32_i32_e32 v77, v77
	v_mul_f32_e32 v85, v69, v89
	v_cvt_f32_i32_e32 v40, v40
	v_mul_f32_e32 v64, v69, v64
	v_cvt_f32_i32_e32 v43, v43
	v_fmac_f32_e32 v49, v76, v77
	v_mov_b32_e32 v77, 0
	v_fmac_f32_e32 v71, v76, v40
	v_lshrrev_b32_e32 v40, 2, v72
	v_fmac_f32_e32 v65, v76, v43
	v_mul_f32_e32 v43, v69, v90
	v_mul_f32_e32 v76, v69, v93
	v_lshrrev_b32_e32 v69, 4, v75
	v_lshrrev_b32_e32 v75, 4, v48
	v_and_b32_e32 v48, 0xf0f0f0f, v48
	v_lshlrev_b32_e32 v72, 1, v72
	v_and_b32_e32 v40, 14, v40
	v_and_b32_e32 v69, 0xf0f0f0f, v69
	;; [unrolled: 1-line block ×3, first 2 shown]
	v_dot4c_i32_i8 v37, v48, v3
	v_dot4c_i32_i8 v39, v48, v7
	;; [unrolled: 1-line block ×10, first 2 shown]
	v_and_b32_e32 v72, 14, v72
	v_and_b32_e32 v3, 0xf0f0f0f, v87
	v_dot4c_i32_i8 v70, v75, v53
	v_dot4c_i32_i8 v77, v75, v57
	;; [unrolled: 1-line block ×7, first 2 shown]
	v_or_b32_e32 v72, 1, v72
	v_dot4c_i32_i8 v36, v69, v2
	v_dot4c_i32_i8 v47, v69, v51
	;; [unrolled: 1-line block ×9, first 2 shown]
	v_cvt_f32_i32_e32 v2, v38
	v_or_b32_e32 v40, 1, v40
	v_cvt_f32_ubyte0_e32 v72, v72
	v_dot4c_i32_i8 v46, v69, v59
	v_dot4c_i32_i8 v50, v69, v16
	;; [unrolled: 1-line block ×4, first 2 shown]
	v_cvt_f32_i32_e32 v4, v47
	v_cvt_f32_i32_e32 v6, v84
	;; [unrolled: 1-line block ×4, first 2 shown]
	v_add_f32_e32 v2, v81, v2
	v_cvt_f32_i32_e32 v16, v66
	v_cvt_f32_i32_e32 v18, v42
	v_cvt_f32_ubyte0_e32 v40, v40
	v_cvt_f32_i32_e32 v3, v36
	v_cvt_f32_i32_e32 v5, v46
	;; [unrolled: 1-line block ×4, first 2 shown]
	v_add_f32_e32 v4, v83, v4
	v_add_f32_e32 v6, v79, v6
	v_cvt_f32_i32_e32 v19, v77
	v_add_f32_e32 v8, v41, v8
	v_mul_f32_e32 v2, v2, v72
	v_add_f32_e32 v9, v44, v9
	v_add_f32_e32 v16, v45, v16
	v_add_f32_e32 v18, v71, v18
	v_add_f32_e32 v3, v82, v3
	v_add_f32_e32 v5, v68, v5
	v_add_f32_e32 v7, v80, v7
	v_mul_f32_e32 v4, v4, v72
	v_add_f32_e32 v17, v49, v17
	v_mul_f32_e32 v6, v6, v72
	v_add_f32_e32 v19, v65, v19
	v_mul_f32_e32 v8, v8, v40
	v_fmac_f32_e32 v2, v9, v40
	v_mul_f32_e32 v9, v16, v40
	v_mul_f32_e32 v16, v18, v40
	v_fmac_f32_e32 v4, v17, v40
	v_fmac_f32_e32 v6, v19, v40
	;; [unrolled: 1-line block ×11, first 2 shown]
	s_andn2_b32 exec_lo, exec_lo, s3
	s_cbranch_execnz .LBB225_2
; %bb.3:
	s_or_b32 exec_lo, exec_lo, s3
.LBB225_4:
	s_or_b32 exec_lo, exec_lo, s9
	s_mov_b32 s1, 0
	; wave barrier
	buffer_gl0_inv
	s_mov_b32 s0, exec_lo
	v_cmpx_eq_u32_e32 0, v1
	s_cbranch_execz .LBB225_17
; %bb.5:
	v_mbcnt_lo_u32_b32 v5, -1, 0
	s_load_dwordx2 s[4:5], s[4:5], 0x38
	s_mul_i32 s0, s14, s7
	s_mul_i32 s3, s18, s8
	s_add_i32 s0, s0, s6
	v_xor_b32_e32 v1, 16, v5
	v_xor_b32_e32 v2, 8, v5
	;; [unrolled: 1-line block ×3, first 2 shown]
	s_add_i32 s0, s0, s3
	s_lshl_b64 s[0:1], s[0:1], 2
	v_cmp_gt_i32_e32 vcc_lo, 32, v1
	v_cndmask_b32_e32 v1, v5, v1, vcc_lo
	v_cmp_gt_i32_e32 vcc_lo, 32, v2
	v_lshlrev_b32_e32 v1, 2, v1
	v_cndmask_b32_e32 v2, v5, v2, vcc_lo
	s_waitcnt lgkmcnt(0)
	s_add_u32 s0, s4, s0
	s_addc_u32 s1, s5, s1
	ds_bpermute_b32 v3, v1, v26
	v_lshlrev_b32_e32 v2, 2, v2
	s_waitcnt lgkmcnt(0)
	v_add_f32_e32 v4, v26, v3
	v_xor_b32_e32 v3, 4, v5
	ds_bpermute_b32 v6, v2, v4
	v_cmp_gt_i32_e32 vcc_lo, 32, v3
	v_cndmask_b32_e32 v3, v5, v3, vcc_lo
	v_lshlrev_b32_e32 v3, 2, v3
	s_waitcnt lgkmcnt(0)
	v_add_f32_e32 v6, v4, v6
	v_xor_b32_e32 v4, 2, v5
	ds_bpermute_b32 v7, v3, v6
	v_cmp_gt_i32_e32 vcc_lo, 32, v4
	v_cndmask_b32_e32 v4, v5, v4, vcc_lo
	v_cmp_gt_i32_e32 vcc_lo, 32, v8
	v_lshlrev_b32_e32 v4, 2, v4
	v_cndmask_b32_e32 v5, v5, v8, vcc_lo
	v_cmp_eq_u32_e32 vcc_lo, 0, v0
	v_lshlrev_b32_e32 v5, 2, v5
	s_waitcnt lgkmcnt(0)
	v_add_f32_e32 v6, v6, v7
	ds_bpermute_b32 v7, v4, v6
	s_waitcnt lgkmcnt(0)
	v_add_f32_e32 v6, v6, v7
	ds_bpermute_b32 v7, v5, v6
	s_and_saveexec_b32 s3, vcc_lo
	s_cbranch_execz .LBB225_7
; %bb.6:
	s_waitcnt lgkmcnt(0)
	v_add_f32_e32 v0, v6, v7
	v_mov_b32_e32 v6, 0
	global_store_dword v6, v0, s[0:1]
.LBB225_7:
	s_or_b32 exec_lo, exec_lo, s3
	ds_bpermute_b32 v0, v1, v24
	s_waitcnt lgkmcnt(0)
	v_add_f32_e32 v0, v24, v0
	ds_bpermute_b32 v6, v2, v0
	s_waitcnt lgkmcnt(0)
	v_add_f32_e32 v0, v0, v6
	;; [unrolled: 3-line block ×4, first 2 shown]
	ds_bpermute_b32 v6, v5, v0
	s_and_saveexec_b32 s4, vcc_lo
	s_cbranch_execz .LBB225_9
; %bb.8:
	s_mov_b32 s3, 0
	s_waitcnt lgkmcnt(0)
	v_add_f32_e32 v0, v0, v6
	s_lshl_b64 s[6:7], s[2:3], 2
	v_mov_b32_e32 v6, 0
	s_add_u32 s6, s0, s6
	s_addc_u32 s7, s1, s7
	global_store_dword v6, v0, s[6:7]
.LBB225_9:
	s_or_b32 exec_lo, exec_lo, s4
	ds_bpermute_b32 v0, v1, v23
	s_waitcnt lgkmcnt(0)
	v_add_f32_e32 v0, v23, v0
	ds_bpermute_b32 v6, v2, v0
	s_waitcnt lgkmcnt(0)
	v_add_f32_e32 v0, v0, v6
	;; [unrolled: 3-line block ×4, first 2 shown]
	ds_bpermute_b32 v6, v5, v0
	s_and_saveexec_b32 s3, vcc_lo
	s_cbranch_execz .LBB225_11
; %bb.10:
	s_lshl_b32 s4, s2, 1
	s_mov_b32 s5, 0
	s_waitcnt lgkmcnt(0)
	v_add_f32_e32 v0, v0, v6
	s_lshl_b64 s[4:5], s[4:5], 2
	v_mov_b32_e32 v6, 0
	s_add_u32 s4, s0, s4
	s_addc_u32 s5, s1, s5
	global_store_dword v6, v0, s[4:5]
.LBB225_11:
	s_or_b32 exec_lo, exec_lo, s3
	ds_bpermute_b32 v0, v1, v22
	s_waitcnt lgkmcnt(0)
	v_add_f32_e32 v0, v22, v0
	ds_bpermute_b32 v6, v2, v0
	s_waitcnt lgkmcnt(0)
	v_add_f32_e32 v0, v0, v6
	;; [unrolled: 3-line block ×4, first 2 shown]
	ds_bpermute_b32 v6, v5, v0
	s_and_saveexec_b32 s3, vcc_lo
	s_cbranch_execz .LBB225_13
; %bb.12:
	s_mul_i32 s4, s2, 3
	s_mov_b32 s5, 0
	s_waitcnt lgkmcnt(0)
	v_add_f32_e32 v0, v0, v6
	s_lshl_b64 s[4:5], s[4:5], 2
	v_mov_b32_e32 v6, 0
	s_add_u32 s4, s0, s4
	s_addc_u32 s5, s1, s5
	global_store_dword v6, v0, s[4:5]
.LBB225_13:
	s_or_b32 exec_lo, exec_lo, s3
	ds_bpermute_b32 v0, v1, v20
	s_waitcnt lgkmcnt(0)
	v_add_f32_e32 v0, v20, v0
	ds_bpermute_b32 v6, v2, v0
	s_waitcnt lgkmcnt(0)
	v_add_f32_e32 v0, v0, v6
	;; [unrolled: 3-line block ×4, first 2 shown]
	ds_bpermute_b32 v6, v5, v0
	s_and_saveexec_b32 s3, vcc_lo
	s_cbranch_execz .LBB225_15
; %bb.14:
	s_lshl_b32 s4, s2, 2
	s_mov_b32 s5, 0
	s_waitcnt lgkmcnt(0)
	v_add_f32_e32 v0, v0, v6
	s_lshl_b64 s[4:5], s[4:5], 2
	v_mov_b32_e32 v6, 0
	s_add_u32 s4, s0, s4
	s_addc_u32 s5, s1, s5
	global_store_dword v6, v0, s[4:5]
.LBB225_15:
	s_or_b32 exec_lo, exec_lo, s3
	ds_bpermute_b32 v0, v1, v21
	s_waitcnt lgkmcnt(0)
	v_add_f32_e32 v0, v21, v0
	ds_bpermute_b32 v1, v2, v0
	s_waitcnt lgkmcnt(0)
	v_add_f32_e32 v0, v0, v1
	;; [unrolled: 3-line block ×4, first 2 shown]
	ds_bpermute_b32 v1, v5, v0
	s_and_b32 exec_lo, exec_lo, vcc_lo
	s_cbranch_execz .LBB225_17
; %bb.16:
	s_mul_i32 s2, s2, 5
	s_mov_b32 s3, 0
	s_waitcnt lgkmcnt(0)
	v_add_f32_e32 v0, v0, v1
	s_lshl_b64 s[2:3], s[2:3], 2
	v_mov_b32_e32 v1, 0
	s_add_u32 s0, s0, s2
	s_addc_u32 s1, s1, s3
	global_store_dword v1, v0, s[0:1]
.LBB225_17:
	s_endpgm
	.section	.rodata,"a",@progbits
	.p2align	6, 0x0
	.amdhsa_kernel _ZL13mul_mat_vec_qIL9ggml_type29ELi6ELb0ELb0EEvPKvS2_PKi31ggml_cuda_mm_fusion_args_devicePfj15HIP_vector_typeIjLj3EEjjjS8_jjjS8_jjjj
		.amdhsa_group_segment_fixed_size 0
		.amdhsa_private_segment_fixed_size 0
		.amdhsa_kernarg_size 144
		.amdhsa_user_sgpr_count 6
		.amdhsa_user_sgpr_private_segment_buffer 1
		.amdhsa_user_sgpr_dispatch_ptr 0
		.amdhsa_user_sgpr_queue_ptr 0
		.amdhsa_user_sgpr_kernarg_segment_ptr 1
		.amdhsa_user_sgpr_dispatch_id 0
		.amdhsa_user_sgpr_flat_scratch_init 0
		.amdhsa_user_sgpr_private_segment_size 0
		.amdhsa_wavefront_size32 1
		.amdhsa_uses_dynamic_stack 0
		.amdhsa_system_sgpr_private_segment_wavefront_offset 0
		.amdhsa_system_sgpr_workgroup_id_x 1
		.amdhsa_system_sgpr_workgroup_id_y 1
		.amdhsa_system_sgpr_workgroup_id_z 1
		.amdhsa_system_sgpr_workgroup_info 0
		.amdhsa_system_vgpr_workitem_id 1
		.amdhsa_next_free_vgpr 95
		.amdhsa_next_free_sgpr 28
		.amdhsa_reserve_vcc 1
		.amdhsa_reserve_flat_scratch 0
		.amdhsa_float_round_mode_32 0
		.amdhsa_float_round_mode_16_64 0
		.amdhsa_float_denorm_mode_32 3
		.amdhsa_float_denorm_mode_16_64 3
		.amdhsa_dx10_clamp 1
		.amdhsa_ieee_mode 1
		.amdhsa_fp16_overflow 0
		.amdhsa_workgroup_processor_mode 1
		.amdhsa_memory_ordered 1
		.amdhsa_forward_progress 1
		.amdhsa_shared_vgpr_count 0
		.amdhsa_exception_fp_ieee_invalid_op 0
		.amdhsa_exception_fp_denorm_src 0
		.amdhsa_exception_fp_ieee_div_zero 0
		.amdhsa_exception_fp_ieee_overflow 0
		.amdhsa_exception_fp_ieee_underflow 0
		.amdhsa_exception_fp_ieee_inexact 0
		.amdhsa_exception_int_div_zero 0
	.end_amdhsa_kernel
	.section	.text._ZL13mul_mat_vec_qIL9ggml_type29ELi6ELb0ELb0EEvPKvS2_PKi31ggml_cuda_mm_fusion_args_devicePfj15HIP_vector_typeIjLj3EEjjjS8_jjjS8_jjjj,"axG",@progbits,_ZL13mul_mat_vec_qIL9ggml_type29ELi6ELb0ELb0EEvPKvS2_PKi31ggml_cuda_mm_fusion_args_devicePfj15HIP_vector_typeIjLj3EEjjjS8_jjjS8_jjjj,comdat
.Lfunc_end225:
	.size	_ZL13mul_mat_vec_qIL9ggml_type29ELi6ELb0ELb0EEvPKvS2_PKi31ggml_cuda_mm_fusion_args_devicePfj15HIP_vector_typeIjLj3EEjjjS8_jjjS8_jjjj, .Lfunc_end225-_ZL13mul_mat_vec_qIL9ggml_type29ELi6ELb0ELb0EEvPKvS2_PKi31ggml_cuda_mm_fusion_args_devicePfj15HIP_vector_typeIjLj3EEjjjS8_jjjS8_jjjj
                                        ; -- End function
	.set _ZL13mul_mat_vec_qIL9ggml_type29ELi6ELb0ELb0EEvPKvS2_PKi31ggml_cuda_mm_fusion_args_devicePfj15HIP_vector_typeIjLj3EEjjjS8_jjjS8_jjjj.num_vgpr, 95
	.set _ZL13mul_mat_vec_qIL9ggml_type29ELi6ELb0ELb0EEvPKvS2_PKi31ggml_cuda_mm_fusion_args_devicePfj15HIP_vector_typeIjLj3EEjjjS8_jjjS8_jjjj.num_agpr, 0
	.set _ZL13mul_mat_vec_qIL9ggml_type29ELi6ELb0ELb0EEvPKvS2_PKi31ggml_cuda_mm_fusion_args_devicePfj15HIP_vector_typeIjLj3EEjjjS8_jjjS8_jjjj.numbered_sgpr, 28
	.set _ZL13mul_mat_vec_qIL9ggml_type29ELi6ELb0ELb0EEvPKvS2_PKi31ggml_cuda_mm_fusion_args_devicePfj15HIP_vector_typeIjLj3EEjjjS8_jjjS8_jjjj.num_named_barrier, 0
	.set _ZL13mul_mat_vec_qIL9ggml_type29ELi6ELb0ELb0EEvPKvS2_PKi31ggml_cuda_mm_fusion_args_devicePfj15HIP_vector_typeIjLj3EEjjjS8_jjjS8_jjjj.private_seg_size, 0
	.set _ZL13mul_mat_vec_qIL9ggml_type29ELi6ELb0ELb0EEvPKvS2_PKi31ggml_cuda_mm_fusion_args_devicePfj15HIP_vector_typeIjLj3EEjjjS8_jjjS8_jjjj.uses_vcc, 1
	.set _ZL13mul_mat_vec_qIL9ggml_type29ELi6ELb0ELb0EEvPKvS2_PKi31ggml_cuda_mm_fusion_args_devicePfj15HIP_vector_typeIjLj3EEjjjS8_jjjS8_jjjj.uses_flat_scratch, 0
	.set _ZL13mul_mat_vec_qIL9ggml_type29ELi6ELb0ELb0EEvPKvS2_PKi31ggml_cuda_mm_fusion_args_devicePfj15HIP_vector_typeIjLj3EEjjjS8_jjjS8_jjjj.has_dyn_sized_stack, 0
	.set _ZL13mul_mat_vec_qIL9ggml_type29ELi6ELb0ELb0EEvPKvS2_PKi31ggml_cuda_mm_fusion_args_devicePfj15HIP_vector_typeIjLj3EEjjjS8_jjjS8_jjjj.has_recursion, 0
	.set _ZL13mul_mat_vec_qIL9ggml_type29ELi6ELb0ELb0EEvPKvS2_PKi31ggml_cuda_mm_fusion_args_devicePfj15HIP_vector_typeIjLj3EEjjjS8_jjjS8_jjjj.has_indirect_call, 0
	.section	.AMDGPU.csdata,"",@progbits
; Kernel info:
; codeLenInByte = 3324
; TotalNumSgprs: 30
; NumVgprs: 95
; ScratchSize: 0
; MemoryBound: 0
; FloatMode: 240
; IeeeMode: 1
; LDSByteSize: 0 bytes/workgroup (compile time only)
; SGPRBlocks: 0
; VGPRBlocks: 11
; NumSGPRsForWavesPerEU: 30
; NumVGPRsForWavesPerEU: 95
; Occupancy: 10
; WaveLimiterHint : 0
; COMPUTE_PGM_RSRC2:SCRATCH_EN: 0
; COMPUTE_PGM_RSRC2:USER_SGPR: 6
; COMPUTE_PGM_RSRC2:TRAP_HANDLER: 0
; COMPUTE_PGM_RSRC2:TGID_X_EN: 1
; COMPUTE_PGM_RSRC2:TGID_Y_EN: 1
; COMPUTE_PGM_RSRC2:TGID_Z_EN: 1
; COMPUTE_PGM_RSRC2:TIDIG_COMP_CNT: 1
	.section	.text._ZL13mul_mat_vec_qIL9ggml_type29ELi7ELb0ELb0EEvPKvS2_PKi31ggml_cuda_mm_fusion_args_devicePfj15HIP_vector_typeIjLj3EEjjjS8_jjjS8_jjjj,"axG",@progbits,_ZL13mul_mat_vec_qIL9ggml_type29ELi7ELb0ELb0EEvPKvS2_PKi31ggml_cuda_mm_fusion_args_devicePfj15HIP_vector_typeIjLj3EEjjjS8_jjjS8_jjjj,comdat
	.globl	_ZL13mul_mat_vec_qIL9ggml_type29ELi7ELb0ELb0EEvPKvS2_PKi31ggml_cuda_mm_fusion_args_devicePfj15HIP_vector_typeIjLj3EEjjjS8_jjjS8_jjjj ; -- Begin function _ZL13mul_mat_vec_qIL9ggml_type29ELi7ELb0ELb0EEvPKvS2_PKi31ggml_cuda_mm_fusion_args_devicePfj15HIP_vector_typeIjLj3EEjjjS8_jjjS8_jjjj
	.p2align	8
	.type	_ZL13mul_mat_vec_qIL9ggml_type29ELi7ELb0ELb0EEvPKvS2_PKi31ggml_cuda_mm_fusion_args_devicePfj15HIP_vector_typeIjLj3EEjjjS8_jjjS8_jjjj,@function
_ZL13mul_mat_vec_qIL9ggml_type29ELi7ELb0ELb0EEvPKvS2_PKi31ggml_cuda_mm_fusion_args_devicePfj15HIP_vector_typeIjLj3EEjjjS8_jjjS8_jjjj: ; @_ZL13mul_mat_vec_qIL9ggml_type29ELi7ELb0ELb0EEvPKvS2_PKi31ggml_cuda_mm_fusion_args_devicePfj15HIP_vector_typeIjLj3EEjjjS8_jjjS8_jjjj
; %bb.0:
	s_clause 0x5
	s_load_dword s9, s[4:5], 0x40
	s_load_dwordx4 s[0:3], s[4:5], 0x50
	s_load_dword s11, s[4:5], 0x60
	s_load_dwordx4 s[12:15], s[4:5], 0x68
	;; [unrolled: 2-line block ×3, first 2 shown]
	v_lshl_or_b32 v2, v1, 5, v0
	v_mov_b32_e32 v21, 0
	v_mov_b32_e32 v22, 0
	;; [unrolled: 1-line block ×4, first 2 shown]
	v_lshrrev_b32_e32 v27, 3, v2
	v_mov_b32_e32 v25, 0
	v_mov_b32_e32 v26, 0
	;; [unrolled: 1-line block ×3, first 2 shown]
	s_waitcnt lgkmcnt(0)
	s_lshr_b32 s10, s9, 8
	s_mov_b32 s9, exec_lo
	v_cmpx_gt_u32_e64 s10, v27
	s_cbranch_execz .LBB226_4
; %bb.1:
	s_mul_i32 s13, s13, s7
	s_load_dwordx4 s[20:23], s[4:5], 0x0
	s_mul_hi_u32 s27, s13, 36
	s_mul_i32 s26, s13, 36
	s_mul_i32 s17, s17, s8
	v_mad_u64_u32 v[2:3], null, 0x120, v27, s[26:27]
	v_and_b32_e32 v5, 7, v0
	v_and_b32_e32 v6, 1, v0
	s_mul_hi_u32 s3, s3, s7
	s_mul_hi_u32 s15, s15, s8
	s_add_i32 s3, s7, s3
	s_add_i32 s15, s8, s15
	v_mad_u64_u32 v[2:3], null, s17, 36, v[2:3]
	v_cmp_eq_u32_e32 vcc_lo, 1, v6
	s_mul_i32 s25, s17, 36
	s_lshr_b32 s3, s3, s11
	v_lshlrev_b32_e32 v4, 3, v27
	s_mul_hi_u32 s19, s17, 36
	s_lshr_b32 s11, s15, s24
	v_mad_u64_u32 v[2:3], null, v5, 36, v[2:3]
	s_mul_i32 s3, s3, s12
	s_waitcnt lgkmcnt(0)
	s_add_u32 s12, s22, s25
	s_addc_u32 s13, s23, s19
	v_cndmask_b32_e64 v30, 0, 6, vcc_lo
	s_add_u32 s12, s12, s26
	s_addc_u32 s13, s13, s27
	v_add_co_u32 v2, vcc_lo, s22, v2
	v_bfe_u32 v7, v0, 1, 2
	v_mad_u64_u32 v[16:17], null, s1, 6, v[4:5]
	v_add_co_ci_u32_e64 v3, null, s23, v3, vcc_lo
	v_mad_u64_u32 v[17:18], null, s1, 5, v[4:5]
	v_mad_u64_u32 v[14:15], null, v5, 36, s[12:13]
	;; [unrolled: 1-line block ×3, first 2 shown]
	v_add_co_u32 v19, vcc_lo, v2, 16
	s_mul_i32 s0, s0, s6
	v_mov_b32_e32 v28, 0
	v_lshlrev_b32_e32 v29, 1, v5
	v_add_nc_u32_e32 v31, s1, v4
	v_lshl_add_u32 v32, s1, 2, v4
	v_lshl_add_u32 v33, s1, 1, v4
	v_add_co_ci_u32_e64 v20, null, 0, v3, vcc_lo
	v_lshlrev_b32_e32 v34, 2, v5
	v_lshlrev_b32_e32 v35, 1, v7
	v_mov_b32_e32 v36, 0xffff
	v_mov_b32_e32 v37, 0xf0
	;; [unrolled: 1-line block ×8, first 2 shown]
	s_mul_i32 s11, s11, s16
	s_add_i32 s3, s3, s0
	s_mov_b32 s0, 0
	s_add_i32 s1, s11, s3
	s_mov_b32 s3, 0xbd000000
.LBB226_2:                              ; =>This Inner Loop Header: Depth=1
	v_add_nc_u32_e32 v2, s1, v27
	s_getpc_b64 s[12:13]
	s_add_u32 s12, s12, _ZL13iq1s_grid_gpu@rel32@lo+4
	s_addc_u32 s13, s13, _ZL13iq1s_grid_gpu@rel32@hi+12
	v_mov_b32_e32 v11, 0
	v_mov_b32_e32 v12, 0
	;; [unrolled: 1-line block ×3, first 2 shown]
	v_mad_i64_i32 v[2:3], null, v2, 56, s[20:21]
	v_mov_b32_e32 v40, 0
	v_mov_b32_e32 v82, 0
	;; [unrolled: 1-line block ×6, first 2 shown]
	v_add_co_u32 v4, vcc_lo, v2, v34
	v_add_co_ci_u32_e64 v5, null, 0, v3, vcc_lo
	v_mov_b32_e32 v57, 0
	v_mov_b32_e32 v90, 0
	;; [unrolled: 1-line block ×3, first 2 shown]
	global_load_dword v6, v[4:5], off
	v_add_co_u32 v4, vcc_lo, v2, v29
	v_add_co_ci_u32_e64 v5, null, 0, v3, vcc_lo
	v_mov_b32_e32 v89, 0
	v_mov_b32_e32 v91, 0
	;; [unrolled: 1-line block ×3, first 2 shown]
	global_load_ushort v4, v[4:5], off offset:32
	v_mov_b32_e32 v58, 0
	v_mov_b32_e32 v60, 0
	;; [unrolled: 1-line block ×15, first 2 shown]
	v_add_nc_u32_e32 v27, 4, v27
	s_waitcnt vmcnt(1)
	v_and_b32_e32 v5, 0xff, v6
	v_lshrrev_b32_e32 v7, 24, v6
	s_waitcnt vmcnt(0)
	v_lshlrev_b32_e32 v8, 8, v4
	v_and_b32_e32 v42, 8, v4
	v_bfe_u32 v41, v4, 4, 4
	v_and_or_b32 v5, 0x700, v8, v5
	v_lshlrev_b32_e32 v8, 4, v4
	v_and_b32_sdwa v4, v36, v4 dst_sel:DWORD dst_unused:UNUSED_PAD src0_sel:DWORD src1_sel:BYTE_1
	v_lshlrev_b32_e32 v5, 2, v5
	v_and_b32_e32 v45, 8, v4
	v_lshrrev_b32_e32 v43, 4, v4
	global_load_dword v5, v5, s[12:13]
	s_waitcnt vmcnt(0)
	v_and_b32_e32 v44, 0xf0f0f0f, v5
	v_lshrrev_b32_e32 v5, 4, v5
	v_and_b32_e32 v46, 0xf0f0f0f, v5
	v_bfe_u32 v5, v6, 8, 8
	v_and_or_b32 v5, 0x700, v8, v5
	v_lshlrev_b32_e32 v5, 2, v5
	global_load_dword v5, v5, s[12:13]
	s_waitcnt vmcnt(0)
	v_and_b32_e32 v47, 0xf0f0f0f, v5
	v_lshrrev_b32_e32 v5, 4, v5
	v_and_b32_e32 v48, 0xf0f0f0f, v5
	v_bfe_u32 v5, v6, 16, 8
	v_lshlrev_b32_e32 v6, 8, v4
	v_lshlrev_b32_e32 v4, 4, v4
	v_and_or_b32 v5, 0x700, v6, v5
	v_and_or_b32 v4, 0x700, v4, v7
	v_lshlrev_b32_e32 v5, 2, v5
	v_lshlrev_b32_e32 v4, 2, v4
	s_clause 0x1
	global_load_dword v5, v5, s[12:13]
	global_load_dword v4, v4, s[12:13]
	s_waitcnt vmcnt(1)
	v_and_b32_e32 v50, 0xf0f0f0f, v5
	v_lshrrev_b32_e32 v5, 4, v5
	s_waitcnt vmcnt(0)
	v_and_b32_e32 v53, 0xf0f0f0f, v4
	v_lshrrev_b32_e32 v4, 4, v4
	v_and_b32_e32 v51, 0xf0f0f0f, v5
	v_and_b32_e32 v55, 0xf0f0f0f, v4
	global_load_dwordx2 v[4:5], v[2:3], off offset:48
	v_add_co_u32 v2, vcc_lo, v2, v35
	v_add_co_ci_u32_e64 v3, null, 0, v3, vcc_lo
	global_load_ushort v2, v[2:3], off offset:48
	s_waitcnt vmcnt(1)
	v_pk_lshrrev_b16 v4, 0x8000c, v4
	v_pk_lshrrev_b16 v5, 4, v5
	v_and_b32_sdwa v6, v4, v37 dst_sel:DWORD dst_unused:UNUSED_PAD src0_sel:WORD_1 src1_sel:DWORD
	v_and_b32_e32 v5, 0xf0000f00, v5
	s_waitcnt vmcnt(0)
	v_lshrrev_b32_e32 v2, v30, v2
	v_or_b32_e32 v4, v6, v4
	v_lshlrev_b32_e32 v54, 1, v2
	v_lshrrev_b32_e32 v56, 2, v2
	v_or_b32_e32 v4, v4, v5
	v_or_b32_sdwa v4, v4, v5 dst_sel:DWORD dst_unused:UNUSED_PAD src0_sel:DWORD src1_sel:WORD_1
	v_cvt_f32_f16_e32 v38, v4
	s_clause 0x2
	global_load_dwordx4 v[2:5], v[19:20], off offset:-16
	global_load_dword v10, v[19:20], off offset:16
	global_load_dwordx4 v[6:9], v[19:20], off
	v_add_co_u32 v19, vcc_lo, 0x480, v19
	v_add_co_ci_u32_e64 v20, null, 0, v20, vcc_lo
	v_cmp_le_u32_e32 vcc_lo, s10, v27
	s_or_b32 s0, vcc_lo, s0
	s_waitcnt vmcnt(2)
	v_dot4c_i32_i8 v11, v44, v3
	v_dot4c_i32_i8 v12, 0x1010101, v3
	v_mov_b32_e32 v3, 0
	v_cvt_f32_f16_e32 v2, v2
	v_dot4c_i32_i8 v11, v46, v4
	v_dot4c_i32_i8 v12, 0x1010101, v4
	v_dot4c_i32_i8 v3, 0x1010101, v5
	v_mov_b32_e32 v4, 0
	v_mul_f32_e32 v70, v2, v38
	v_dot4c_i32_i8 v11, v47, v5
	v_cvt_f32_i32_e32 v61, v12
	s_waitcnt vmcnt(0)
	v_dot4c_i32_i8 v3, 0x1010101, v6
	v_dot4c_i32_i8 v4, 0x1010101, v7
	;; [unrolled: 1-line block ×3, first 2 shown]
	v_cvt_f32_i32_e32 v62, v3
	v_mov_b32_e32 v3, 0
	v_dot4c_i32_i8 v4, 0x1010101, v8
	v_cvt_f32_i32_e32 v72, v11
	v_dot4c_i32_i8 v3, v50, v7
	v_cvt_f32_i32_e32 v64, v4
	v_mov_b32_e32 v4, 0
	v_mad_u64_u32 v[6:7], null, v31, 36, v[14:15]
	v_dot4c_i32_i8 v3, v51, v8
	v_add_nc_u32_e32 v31, 32, v31
	v_dot4c_i32_i8 v4, 0x1010101, v9
	v_dot4c_i32_i8 v3, v53, v9
	;; [unrolled: 1-line block ×4, first 2 shown]
	v_cvt_f32_i32_e32 v71, v4
	v_cvt_f32_i32_e32 v73, v3
	s_clause 0x2
	global_load_dwordx4 v[2:5], v[6:7], off
	global_load_dword v10, v[6:7], off offset:32
	global_load_dwordx4 v[6:9], v[6:7], off offset:16
	s_waitcnt vmcnt(2)
	v_dot4c_i32_i8 v39, v44, v3
	v_dot4c_i32_i8 v76, 0x1010101, v3
	s_waitcnt vmcnt(0)
	v_dot4c_i32_i8 v40, v50, v7
	v_dot4c_i32_i8 v82, 0x1010101, v7
	;; [unrolled: 1-line block ×7, first 2 shown]
	v_mad_u64_u32 v[7:8], null, v33, 36, v[14:15]
	v_dot4c_i32_i8 v39, v47, v5
	v_dot4c_i32_i8 v40, v53, v9
	;; [unrolled: 1-line block ×7, first 2 shown]
	s_clause 0x2
	global_load_dwordx4 v[3:6], v[7:8], off
	global_load_dword v11, v[7:8], off offset:32
	global_load_dwordx4 v[7:10], v[7:8], off offset:16
	v_cvt_f32_f16_e32 v2, v2
	v_add_nc_u32_e32 v33, 32, v33
	v_cvt_f32_i32_e32 v39, v39
	v_cvt_f32_i32_e32 v40, v40
	v_mul_f32_e32 v2, v38, v2
	s_waitcnt vmcnt(2)
	v_dot4c_i32_i8 v49, v44, v4
	v_dot4c_i32_i8 v88, 0x1010101, v4
	s_waitcnt vmcnt(0)
	v_dot4c_i32_i8 v57, v50, v8
	v_dot4c_i32_i8 v90, 0x1010101, v8
	;; [unrolled: 1-line block ×7, first 2 shown]
	v_mad_u64_u32 v[8:9], null, v18, 36, v[14:15]
	v_dot4c_i32_i8 v49, v47, v6
	v_dot4c_i32_i8 v57, v53, v10
	;; [unrolled: 1-line block ×7, first 2 shown]
	s_clause 0x2
	global_load_dwordx4 v[4:7], v[8:9], off
	global_load_dword v12, v[8:9], off offset:32
	global_load_dwordx4 v[8:11], v[8:9], off offset:16
	v_cvt_f32_f16_e32 v3, v3
	v_add_nc_u32_e32 v18, 32, v18
	v_cvt_f32_i32_e32 v49, v49
	v_cvt_f32_i32_e32 v57, v57
	v_mul_f32_e32 v3, v38, v3
	s_waitcnt vmcnt(2)
	v_dot4c_i32_i8 v52, v44, v5
	v_dot4c_i32_i8 v60, 0x1010101, v5
	s_waitcnt vmcnt(0)
	v_dot4c_i32_i8 v58, v50, v9
	v_dot4c_i32_i8 v65, 0x1010101, v7
	;; [unrolled: 1-line block ×6, first 2 shown]
	v_mad_u64_u32 v[5:6], null, v32, 36, v[14:15]
	v_dot4c_i32_i8 v52, v47, v7
	v_dot4c_i32_i8 v68, 0x1010101, v11
	;; [unrolled: 1-line block ×8, first 2 shown]
	s_clause 0x2
	global_load_dwordx4 v[10:13], v[5:6], off
	global_load_dword v9, v[5:6], off offset:32
	global_load_dwordx4 v[5:8], v[5:6], off offset:16
	v_cvt_f32_f16_e32 v4, v4
	v_cvt_f32_i32_e32 v52, v52
	v_add_nc_u32_e32 v32, 32, v32
	v_mul_f32_e32 v4, v38, v4
	s_waitcnt vmcnt(2)
	v_dot4c_i32_i8 v59, v44, v11
	v_dot4c_i32_i8 v77, 0x1010101, v11
	s_waitcnt vmcnt(0)
	v_dot4c_i32_i8 v63, v50, v6
	v_dot4c_i32_i8 v79, 0x1010101, v13
	;; [unrolled: 1-line block ×6, first 2 shown]
	v_mad_u64_u32 v[11:12], null, v17, 36, v[14:15]
	v_dot4c_i32_i8 v59, v47, v13
	v_dot4c_i32_i8 v81, 0x1010101, v8
	;; [unrolled: 1-line block ×8, first 2 shown]
	s_clause 0x2
	global_load_dwordx4 v[5:8], v[11:12], off
	global_load_dword v9, v[11:12], off offset:32
	global_load_dwordx4 v[84:87], v[11:12], off offset:16
	v_mov_b32_e32 v11, 0
	v_mov_b32_e32 v12, 0
	;; [unrolled: 1-line block ×3, first 2 shown]
	v_cvt_f32_f16_e32 v10, v10
	v_add_nc_u32_e32 v17, 32, v17
	v_mul_f32_e32 v10, v38, v10
	s_waitcnt vmcnt(2)
	v_dot4c_i32_i8 v11, v44, v6
	v_dot4c_i32_i8 v69, 0x1010101, v8
	s_waitcnt vmcnt(0)
	v_dot4c_i32_i8 v12, v50, v85
	v_dot4c_i32_i8 v74, 0x1010101, v85
	v_dot4c_i32_i8 v67, 0x1010101, v6
	v_dot4c_i32_i8 v11, v46, v7
	v_dot4c_i32_i8 v69, 0x1010101, v84
	v_dot4c_i32_i8 v12, v51, v86
	v_dot4c_i32_i8 v75, 0x1010101, v87
	v_dot4c_i32_i8 v67, 0x1010101, v7
	v_dot4c_i32_i8 v11, v47, v8
	v_dot4c_i32_i8 v74, 0x1010101, v86
	v_dot4c_i32_i8 v12, v53, v87
	v_dot4c_i32_i8 v75, 0x1010101, v9
	v_cvt_f32_f16_e32 v5, v5
	v_dot4c_i32_i8 v11, v48, v84
	v_mad_u64_u32 v[84:85], null, v16, 36, v[14:15]
	v_dot4c_i32_i8 v12, v55, v9
	s_clause 0x2
	global_load_dwordx4 v[6:9], v[84:85], off
	global_load_dword v92, v[84:85], off offset:32
	global_load_dwordx4 v[84:87], v[84:85], off offset:16
	v_cvt_f32_i32_e32 v12, v12
	v_cvt_f32_i32_e32 v11, v11
	v_mul_f32_e32 v5, v38, v5
	v_add_nc_u32_e32 v16, 32, v16
	s_waitcnt vmcnt(2)
	v_dot4c_i32_i8 v13, v44, v7
	v_mov_b32_e32 v44, 0
	v_cvt_f32_f16_e32 v6, v6
	v_dot4c_i32_i8 v13, v46, v8
	v_dot4c_i32_i8 v44, 0x1010101, v7
	v_mov_b32_e32 v46, 0
	v_mov_b32_e32 v7, 0
	v_mul_f32_e32 v6, v38, v6
	v_dot4c_i32_i8 v13, v47, v9
	v_dot4c_i32_i8 v44, 0x1010101, v8
	v_cvt_f32_ubyte0_e32 v8, v42
	v_dot4c_i32_i8 v46, 0x1010101, v9
	v_cvt_f32_ubyte0_e32 v9, v45
	s_waitcnt vmcnt(0)
	v_dot4c_i32_i8 v7, v50, v85
	v_mov_b32_e32 v47, 0
	v_fmaak_f32 v45, s3, v8, 0xbf600000
	v_and_b32_e32 v8, 8, v43
	v_fmaak_f32 v42, s3, v9, 0xbf600000
	v_and_b32_e32 v9, 8, v41
	v_dot4c_i32_i8 v7, v51, v86
	v_dot4c_i32_i8 v13, v48, v84
	v_cvt_f32_ubyte0_e32 v8, v8
	v_fma_f32 v51, v42, v64, 0
	v_cvt_f32_ubyte0_e32 v9, v9
	v_dot4c_i32_i8 v7, v53, v87
	v_cvt_f32_i32_e32 v53, v89
	v_fmaak_f32 v41, s3, v8, 0xbf600000
	v_and_b32_e32 v8, 14, v56
	v_fmaak_f32 v43, s3, v9, 0xbf600000
	v_and_b32_e32 v9, 14, v54
	v_dot4c_i32_i8 v7, v55, v92
	v_fmac_f32_e32 v51, v41, v71
	v_or_b32_e32 v50, 1, v8
	v_cvt_f32_i32_e32 v54, v83
	v_or_b32_e32 v8, 1, v9
	v_cvt_f32_i32_e32 v55, v90
	v_add_f32_e32 v51, v51, v73
	v_cvt_f32_ubyte0_e32 v9, v50
	v_fma_f32 v50, v45, v61, 0
	v_cvt_f32_ubyte0_e32 v8, v8
	v_cvt_f32_i32_e32 v56, v76
	v_cvt_f32_i32_e32 v61, v78
	v_mul_f32_e32 v51, v51, v9
	v_fmac_f32_e32 v50, v43, v62
	v_cvt_f32_i32_e32 v62, v91
	v_dot4c_i32_i8 v46, 0x1010101, v84
	v_dot4c_i32_i8 v47, 0x1010101, v85
	v_mov_b32_e32 v48, 0
	v_add_f32_e32 v50, v50, v72
	v_cvt_f32_i32_e32 v13, v13
	v_cvt_f32_i32_e32 v7, v7
	v_dot4c_i32_i8 v47, 0x1010101, v86
	v_dot4c_i32_i8 v48, 0x1010101, v87
	v_fmac_f32_e32 v51, v50, v8
	v_cvt_f32_i32_e32 v50, v82
	v_dot4c_i32_i8 v48, 0x1010101, v92
	v_fmac_f32_e32 v28, v70, v51
	v_cvt_f32_i32_e32 v51, v88
	v_fma_f32 v50, v42, v50, 0
	v_fma_f32 v51, v45, v51, 0
	v_fmac_f32_e32 v50, v41, v54
	v_fma_f32 v54, v42, v55, 0
	v_cvt_f32_i32_e32 v55, v59
	v_fmac_f32_e32 v51, v43, v53
	v_fma_f32 v53, v45, v56, 0
	v_fmac_f32_e32 v54, v41, v62
	v_add_f32_e32 v40, v50, v40
	v_cvt_f32_i32_e32 v56, v63
	v_add_f32_e32 v49, v51, v49
	v_fmac_f32_e32 v53, v43, v61
	v_add_f32_e32 v50, v54, v57
	v_mul_f32_e32 v40, v40, v9
	v_cvt_f32_i32_e32 v51, v65
	v_mul_f32_e32 v49, v49, v8
	v_add_f32_e32 v39, v53, v39
	v_cvt_f32_i32_e32 v53, v81
	v_cvt_f32_i32_e32 v54, v58
	v_fmac_f32_e32 v49, v50, v9
	v_fmac_f32_e32 v40, v39, v8
	v_cvt_f32_i32_e32 v39, v79
	v_cvt_f32_i32_e32 v50, v60
	v_fmac_f32_e32 v25, v3, v49
	v_fmac_f32_e32 v26, v2, v40
	v_cvt_f32_i32_e32 v2, v66
	v_cvt_f32_i32_e32 v3, v77
	;; [unrolled: 1-line block ×4, first 2 shown]
	v_fma_f32 v2, v42, v2, 0
	v_fma_f32 v3, v45, v3, 0
	v_fmac_f32_e32 v2, v41, v40
	v_fmac_f32_e32 v3, v43, v39
	v_fma_f32 v39, v45, v50, 0
	v_fma_f32 v40, v42, v49, 0
	v_add_f32_e32 v2, v2, v54
	v_add_f32_e32 v3, v3, v55
	v_fmac_f32_e32 v39, v43, v51
	v_fmac_f32_e32 v40, v41, v53
	v_mul_f32_e32 v2, v2, v9
	v_mul_f32_e32 v3, v3, v8
	v_add_f32_e32 v39, v39, v52
	v_add_f32_e32 v40, v40, v56
	v_fmac_f32_e32 v2, v39, v8
	v_fmac_f32_e32 v3, v40, v9
	v_cvt_f32_i32_e32 v39, v69
	v_cvt_f32_i32_e32 v40, v48
	v_fmac_f32_e32 v24, v4, v2
	v_fmac_f32_e32 v23, v10, v3
	v_cvt_f32_i32_e32 v2, v74
	v_cvt_f32_i32_e32 v3, v44
	;; [unrolled: 1-line block ×4, first 2 shown]
	v_fma_f32 v2, v42, v2, 0
	v_fma_f32 v3, v45, v3, 0
	v_fmac_f32_e32 v2, v41, v10
	v_fmac_f32_e32 v3, v43, v4
	v_cvt_f32_i32_e32 v4, v47
	v_cvt_f32_i32_e32 v10, v67
	v_add_f32_e32 v2, v2, v12
	v_add_f32_e32 v3, v3, v13
	v_fma_f32 v4, v42, v4, 0
	v_fma_f32 v10, v45, v10, 0
	v_mul_f32_e32 v2, v2, v9
	v_mul_f32_e32 v3, v3, v8
	v_fmac_f32_e32 v4, v41, v40
	v_fmac_f32_e32 v10, v43, v39
	v_add_f32_e32 v4, v4, v7
	v_add_f32_e32 v10, v10, v11
	v_fmac_f32_e32 v3, v4, v9
	v_fmac_f32_e32 v2, v10, v8
	;; [unrolled: 1-line block ×4, first 2 shown]
	s_andn2_b32 exec_lo, exec_lo, s0
	s_cbranch_execnz .LBB226_2
; %bb.3:
	s_or_b32 exec_lo, exec_lo, s0
.LBB226_4:
	s_or_b32 exec_lo, exec_lo, s9
	s_mov_b32 s1, 0
	; wave barrier
	buffer_gl0_inv
	s_mov_b32 s0, exec_lo
	v_cmpx_eq_u32_e32 0, v1
	s_cbranch_execz .LBB226_19
; %bb.5:
	v_mbcnt_lo_u32_b32 v5, -1, 0
	s_load_dwordx2 s[4:5], s[4:5], 0x38
	s_mul_i32 s0, s14, s7
	s_mul_i32 s3, s18, s8
	s_add_i32 s0, s0, s6
	v_xor_b32_e32 v1, 16, v5
	v_xor_b32_e32 v2, 8, v5
	;; [unrolled: 1-line block ×3, first 2 shown]
	s_add_i32 s0, s0, s3
	s_lshl_b64 s[0:1], s[0:1], 2
	v_cmp_gt_i32_e32 vcc_lo, 32, v1
	v_cndmask_b32_e32 v1, v5, v1, vcc_lo
	v_cmp_gt_i32_e32 vcc_lo, 32, v2
	v_lshlrev_b32_e32 v1, 2, v1
	v_cndmask_b32_e32 v2, v5, v2, vcc_lo
	s_waitcnt lgkmcnt(0)
	s_add_u32 s0, s4, s0
	s_addc_u32 s1, s5, s1
	ds_bpermute_b32 v3, v1, v28
	v_lshlrev_b32_e32 v2, 2, v2
	s_waitcnt lgkmcnt(0)
	v_add_f32_e32 v4, v28, v3
	v_xor_b32_e32 v3, 4, v5
	ds_bpermute_b32 v6, v2, v4
	v_cmp_gt_i32_e32 vcc_lo, 32, v3
	v_cndmask_b32_e32 v3, v5, v3, vcc_lo
	v_lshlrev_b32_e32 v3, 2, v3
	s_waitcnt lgkmcnt(0)
	v_add_f32_e32 v6, v4, v6
	v_xor_b32_e32 v4, 2, v5
	ds_bpermute_b32 v7, v3, v6
	v_cmp_gt_i32_e32 vcc_lo, 32, v4
	v_cndmask_b32_e32 v4, v5, v4, vcc_lo
	v_cmp_gt_i32_e32 vcc_lo, 32, v8
	v_lshlrev_b32_e32 v4, 2, v4
	v_cndmask_b32_e32 v5, v5, v8, vcc_lo
	v_cmp_eq_u32_e32 vcc_lo, 0, v0
	v_lshlrev_b32_e32 v5, 2, v5
	s_waitcnt lgkmcnt(0)
	v_add_f32_e32 v6, v6, v7
	ds_bpermute_b32 v7, v4, v6
	s_waitcnt lgkmcnt(0)
	v_add_f32_e32 v6, v6, v7
	ds_bpermute_b32 v7, v5, v6
	s_and_saveexec_b32 s3, vcc_lo
	s_cbranch_execz .LBB226_7
; %bb.6:
	s_waitcnt lgkmcnt(0)
	v_add_f32_e32 v0, v6, v7
	v_mov_b32_e32 v6, 0
	global_store_dword v6, v0, s[0:1]
.LBB226_7:
	s_or_b32 exec_lo, exec_lo, s3
	ds_bpermute_b32 v0, v1, v26
	s_waitcnt lgkmcnt(0)
	v_add_f32_e32 v0, v26, v0
	ds_bpermute_b32 v6, v2, v0
	s_waitcnt lgkmcnt(0)
	v_add_f32_e32 v0, v0, v6
	;; [unrolled: 3-line block ×4, first 2 shown]
	ds_bpermute_b32 v6, v5, v0
	s_and_saveexec_b32 s4, vcc_lo
	s_cbranch_execz .LBB226_9
; %bb.8:
	s_mov_b32 s3, 0
	s_waitcnt lgkmcnt(0)
	v_add_f32_e32 v0, v0, v6
	s_lshl_b64 s[6:7], s[2:3], 2
	v_mov_b32_e32 v6, 0
	s_add_u32 s6, s0, s6
	s_addc_u32 s7, s1, s7
	global_store_dword v6, v0, s[6:7]
.LBB226_9:
	s_or_b32 exec_lo, exec_lo, s4
	ds_bpermute_b32 v0, v1, v25
	s_waitcnt lgkmcnt(0)
	v_add_f32_e32 v0, v25, v0
	ds_bpermute_b32 v6, v2, v0
	s_waitcnt lgkmcnt(0)
	v_add_f32_e32 v0, v0, v6
	;; [unrolled: 3-line block ×4, first 2 shown]
	ds_bpermute_b32 v6, v5, v0
	s_and_saveexec_b32 s3, vcc_lo
	s_cbranch_execz .LBB226_11
; %bb.10:
	s_lshl_b32 s4, s2, 1
	s_mov_b32 s5, 0
	s_waitcnt lgkmcnt(0)
	v_add_f32_e32 v0, v0, v6
	s_lshl_b64 s[4:5], s[4:5], 2
	v_mov_b32_e32 v6, 0
	s_add_u32 s4, s0, s4
	s_addc_u32 s5, s1, s5
	global_store_dword v6, v0, s[4:5]
.LBB226_11:
	s_or_b32 exec_lo, exec_lo, s3
	ds_bpermute_b32 v0, v1, v24
	s_waitcnt lgkmcnt(0)
	v_add_f32_e32 v0, v24, v0
	ds_bpermute_b32 v6, v2, v0
	s_waitcnt lgkmcnt(0)
	v_add_f32_e32 v0, v0, v6
	;; [unrolled: 3-line block ×4, first 2 shown]
	ds_bpermute_b32 v6, v5, v0
	s_and_saveexec_b32 s3, vcc_lo
	s_cbranch_execz .LBB226_13
; %bb.12:
	s_mul_i32 s4, s2, 3
	s_mov_b32 s5, 0
	s_waitcnt lgkmcnt(0)
	v_add_f32_e32 v0, v0, v6
	s_lshl_b64 s[4:5], s[4:5], 2
	v_mov_b32_e32 v6, 0
	s_add_u32 s4, s0, s4
	s_addc_u32 s5, s1, s5
	global_store_dword v6, v0, s[4:5]
.LBB226_13:
	s_or_b32 exec_lo, exec_lo, s3
	ds_bpermute_b32 v0, v1, v23
	s_waitcnt lgkmcnt(0)
	v_add_f32_e32 v0, v23, v0
	ds_bpermute_b32 v6, v2, v0
	s_waitcnt lgkmcnt(0)
	v_add_f32_e32 v0, v0, v6
	;; [unrolled: 3-line block ×4, first 2 shown]
	ds_bpermute_b32 v6, v5, v0
	s_and_saveexec_b32 s3, vcc_lo
	s_cbranch_execz .LBB226_15
; %bb.14:
	s_lshl_b32 s4, s2, 2
	s_mov_b32 s5, 0
	s_waitcnt lgkmcnt(0)
	v_add_f32_e32 v0, v0, v6
	s_lshl_b64 s[4:5], s[4:5], 2
	v_mov_b32_e32 v6, 0
	s_add_u32 s4, s0, s4
	s_addc_u32 s5, s1, s5
	global_store_dword v6, v0, s[4:5]
.LBB226_15:
	s_or_b32 exec_lo, exec_lo, s3
	ds_bpermute_b32 v0, v1, v22
	s_waitcnt lgkmcnt(0)
	v_add_f32_e32 v0, v22, v0
	ds_bpermute_b32 v6, v2, v0
	s_waitcnt lgkmcnt(0)
	v_add_f32_e32 v0, v0, v6
	;; [unrolled: 3-line block ×4, first 2 shown]
	ds_bpermute_b32 v6, v5, v0
	s_and_saveexec_b32 s3, vcc_lo
	s_cbranch_execz .LBB226_17
; %bb.16:
	s_mul_i32 s4, s2, 5
	s_mov_b32 s5, 0
	s_waitcnt lgkmcnt(0)
	v_add_f32_e32 v0, v0, v6
	s_lshl_b64 s[4:5], s[4:5], 2
	v_mov_b32_e32 v6, 0
	s_add_u32 s4, s0, s4
	s_addc_u32 s5, s1, s5
	global_store_dword v6, v0, s[4:5]
.LBB226_17:
	s_or_b32 exec_lo, exec_lo, s3
	ds_bpermute_b32 v0, v1, v21
	s_waitcnt lgkmcnt(0)
	v_add_f32_e32 v0, v21, v0
	ds_bpermute_b32 v1, v2, v0
	s_waitcnt lgkmcnt(0)
	v_add_f32_e32 v0, v0, v1
	ds_bpermute_b32 v1, v3, v0
	s_waitcnt lgkmcnt(0)
	v_add_f32_e32 v0, v0, v1
	ds_bpermute_b32 v1, v4, v0
	s_waitcnt lgkmcnt(0)
	v_add_f32_e32 v0, v0, v1
	ds_bpermute_b32 v1, v5, v0
	s_and_b32 exec_lo, exec_lo, vcc_lo
	s_cbranch_execz .LBB226_19
; %bb.18:
	s_mul_i32 s2, s2, 6
	s_mov_b32 s3, 0
	s_waitcnt lgkmcnt(0)
	v_add_f32_e32 v0, v0, v1
	s_lshl_b64 s[2:3], s[2:3], 2
	v_mov_b32_e32 v1, 0
	s_add_u32 s0, s0, s2
	s_addc_u32 s1, s1, s3
	global_store_dword v1, v0, s[0:1]
.LBB226_19:
	s_endpgm
	.section	.rodata,"a",@progbits
	.p2align	6, 0x0
	.amdhsa_kernel _ZL13mul_mat_vec_qIL9ggml_type29ELi7ELb0ELb0EEvPKvS2_PKi31ggml_cuda_mm_fusion_args_devicePfj15HIP_vector_typeIjLj3EEjjjS8_jjjS8_jjjj
		.amdhsa_group_segment_fixed_size 0
		.amdhsa_private_segment_fixed_size 0
		.amdhsa_kernarg_size 144
		.amdhsa_user_sgpr_count 6
		.amdhsa_user_sgpr_private_segment_buffer 1
		.amdhsa_user_sgpr_dispatch_ptr 0
		.amdhsa_user_sgpr_queue_ptr 0
		.amdhsa_user_sgpr_kernarg_segment_ptr 1
		.amdhsa_user_sgpr_dispatch_id 0
		.amdhsa_user_sgpr_flat_scratch_init 0
		.amdhsa_user_sgpr_private_segment_size 0
		.amdhsa_wavefront_size32 1
		.amdhsa_uses_dynamic_stack 0
		.amdhsa_system_sgpr_private_segment_wavefront_offset 0
		.amdhsa_system_sgpr_workgroup_id_x 1
		.amdhsa_system_sgpr_workgroup_id_y 1
		.amdhsa_system_sgpr_workgroup_id_z 1
		.amdhsa_system_sgpr_workgroup_info 0
		.amdhsa_system_vgpr_workitem_id 1
		.amdhsa_next_free_vgpr 93
		.amdhsa_next_free_sgpr 28
		.amdhsa_reserve_vcc 1
		.amdhsa_reserve_flat_scratch 0
		.amdhsa_float_round_mode_32 0
		.amdhsa_float_round_mode_16_64 0
		.amdhsa_float_denorm_mode_32 3
		.amdhsa_float_denorm_mode_16_64 3
		.amdhsa_dx10_clamp 1
		.amdhsa_ieee_mode 1
		.amdhsa_fp16_overflow 0
		.amdhsa_workgroup_processor_mode 1
		.amdhsa_memory_ordered 1
		.amdhsa_forward_progress 1
		.amdhsa_shared_vgpr_count 0
		.amdhsa_exception_fp_ieee_invalid_op 0
		.amdhsa_exception_fp_denorm_src 0
		.amdhsa_exception_fp_ieee_div_zero 0
		.amdhsa_exception_fp_ieee_overflow 0
		.amdhsa_exception_fp_ieee_underflow 0
		.amdhsa_exception_fp_ieee_inexact 0
		.amdhsa_exception_int_div_zero 0
	.end_amdhsa_kernel
	.section	.text._ZL13mul_mat_vec_qIL9ggml_type29ELi7ELb0ELb0EEvPKvS2_PKi31ggml_cuda_mm_fusion_args_devicePfj15HIP_vector_typeIjLj3EEjjjS8_jjjS8_jjjj,"axG",@progbits,_ZL13mul_mat_vec_qIL9ggml_type29ELi7ELb0ELb0EEvPKvS2_PKi31ggml_cuda_mm_fusion_args_devicePfj15HIP_vector_typeIjLj3EEjjjS8_jjjS8_jjjj,comdat
.Lfunc_end226:
	.size	_ZL13mul_mat_vec_qIL9ggml_type29ELi7ELb0ELb0EEvPKvS2_PKi31ggml_cuda_mm_fusion_args_devicePfj15HIP_vector_typeIjLj3EEjjjS8_jjjS8_jjjj, .Lfunc_end226-_ZL13mul_mat_vec_qIL9ggml_type29ELi7ELb0ELb0EEvPKvS2_PKi31ggml_cuda_mm_fusion_args_devicePfj15HIP_vector_typeIjLj3EEjjjS8_jjjS8_jjjj
                                        ; -- End function
	.set _ZL13mul_mat_vec_qIL9ggml_type29ELi7ELb0ELb0EEvPKvS2_PKi31ggml_cuda_mm_fusion_args_devicePfj15HIP_vector_typeIjLj3EEjjjS8_jjjS8_jjjj.num_vgpr, 93
	.set _ZL13mul_mat_vec_qIL9ggml_type29ELi7ELb0ELb0EEvPKvS2_PKi31ggml_cuda_mm_fusion_args_devicePfj15HIP_vector_typeIjLj3EEjjjS8_jjjS8_jjjj.num_agpr, 0
	.set _ZL13mul_mat_vec_qIL9ggml_type29ELi7ELb0ELb0EEvPKvS2_PKi31ggml_cuda_mm_fusion_args_devicePfj15HIP_vector_typeIjLj3EEjjjS8_jjjS8_jjjj.numbered_sgpr, 28
	.set _ZL13mul_mat_vec_qIL9ggml_type29ELi7ELb0ELb0EEvPKvS2_PKi31ggml_cuda_mm_fusion_args_devicePfj15HIP_vector_typeIjLj3EEjjjS8_jjjS8_jjjj.num_named_barrier, 0
	.set _ZL13mul_mat_vec_qIL9ggml_type29ELi7ELb0ELb0EEvPKvS2_PKi31ggml_cuda_mm_fusion_args_devicePfj15HIP_vector_typeIjLj3EEjjjS8_jjjS8_jjjj.private_seg_size, 0
	.set _ZL13mul_mat_vec_qIL9ggml_type29ELi7ELb0ELb0EEvPKvS2_PKi31ggml_cuda_mm_fusion_args_devicePfj15HIP_vector_typeIjLj3EEjjjS8_jjjS8_jjjj.uses_vcc, 1
	.set _ZL13mul_mat_vec_qIL9ggml_type29ELi7ELb0ELb0EEvPKvS2_PKi31ggml_cuda_mm_fusion_args_devicePfj15HIP_vector_typeIjLj3EEjjjS8_jjjS8_jjjj.uses_flat_scratch, 0
	.set _ZL13mul_mat_vec_qIL9ggml_type29ELi7ELb0ELb0EEvPKvS2_PKi31ggml_cuda_mm_fusion_args_devicePfj15HIP_vector_typeIjLj3EEjjjS8_jjjS8_jjjj.has_dyn_sized_stack, 0
	.set _ZL13mul_mat_vec_qIL9ggml_type29ELi7ELb0ELb0EEvPKvS2_PKi31ggml_cuda_mm_fusion_args_devicePfj15HIP_vector_typeIjLj3EEjjjS8_jjjS8_jjjj.has_recursion, 0
	.set _ZL13mul_mat_vec_qIL9ggml_type29ELi7ELb0ELb0EEvPKvS2_PKi31ggml_cuda_mm_fusion_args_devicePfj15HIP_vector_typeIjLj3EEjjjS8_jjjS8_jjjj.has_indirect_call, 0
	.section	.AMDGPU.csdata,"",@progbits
; Kernel info:
; codeLenInByte = 3712
; TotalNumSgprs: 30
; NumVgprs: 93
; ScratchSize: 0
; MemoryBound: 0
; FloatMode: 240
; IeeeMode: 1
; LDSByteSize: 0 bytes/workgroup (compile time only)
; SGPRBlocks: 0
; VGPRBlocks: 11
; NumSGPRsForWavesPerEU: 30
; NumVGPRsForWavesPerEU: 93
; Occupancy: 10
; WaveLimiterHint : 0
; COMPUTE_PGM_RSRC2:SCRATCH_EN: 0
; COMPUTE_PGM_RSRC2:USER_SGPR: 6
; COMPUTE_PGM_RSRC2:TRAP_HANDLER: 0
; COMPUTE_PGM_RSRC2:TGID_X_EN: 1
; COMPUTE_PGM_RSRC2:TGID_Y_EN: 1
; COMPUTE_PGM_RSRC2:TGID_Z_EN: 1
; COMPUTE_PGM_RSRC2:TIDIG_COMP_CNT: 1
	.section	.text._ZL13mul_mat_vec_qIL9ggml_type29ELi8ELb0ELb0EEvPKvS2_PKi31ggml_cuda_mm_fusion_args_devicePfj15HIP_vector_typeIjLj3EEjjjS8_jjjS8_jjjj,"axG",@progbits,_ZL13mul_mat_vec_qIL9ggml_type29ELi8ELb0ELb0EEvPKvS2_PKi31ggml_cuda_mm_fusion_args_devicePfj15HIP_vector_typeIjLj3EEjjjS8_jjjS8_jjjj,comdat
	.globl	_ZL13mul_mat_vec_qIL9ggml_type29ELi8ELb0ELb0EEvPKvS2_PKi31ggml_cuda_mm_fusion_args_devicePfj15HIP_vector_typeIjLj3EEjjjS8_jjjS8_jjjj ; -- Begin function _ZL13mul_mat_vec_qIL9ggml_type29ELi8ELb0ELb0EEvPKvS2_PKi31ggml_cuda_mm_fusion_args_devicePfj15HIP_vector_typeIjLj3EEjjjS8_jjjS8_jjjj
	.p2align	8
	.type	_ZL13mul_mat_vec_qIL9ggml_type29ELi8ELb0ELb0EEvPKvS2_PKi31ggml_cuda_mm_fusion_args_devicePfj15HIP_vector_typeIjLj3EEjjjS8_jjjS8_jjjj,@function
_ZL13mul_mat_vec_qIL9ggml_type29ELi8ELb0ELb0EEvPKvS2_PKi31ggml_cuda_mm_fusion_args_devicePfj15HIP_vector_typeIjLj3EEjjjS8_jjjS8_jjjj: ; @_ZL13mul_mat_vec_qIL9ggml_type29ELi8ELb0ELb0EEvPKvS2_PKi31ggml_cuda_mm_fusion_args_devicePfj15HIP_vector_typeIjLj3EEjjjS8_jjjS8_jjjj
; %bb.0:
	s_clause 0x5
	s_load_dword s9, s[4:5], 0x40
	s_load_dwordx4 s[0:3], s[4:5], 0x50
	s_load_dword s10, s[4:5], 0x60
	s_load_dwordx4 s[12:15], s[4:5], 0x68
	;; [unrolled: 2-line block ×3, first 2 shown]
	v_lshl_or_b32 v2, v1, 5, v0
	v_mov_b32_e32 v14, 0
	v_mov_b32_e32 v15, 0
	;; [unrolled: 1-line block ×4, first 2 shown]
	v_lshrrev_b32_e32 v21, 3, v2
	v_mov_b32_e32 v18, 0
	v_mov_b32_e32 v19, 0
	;; [unrolled: 1-line block ×4, first 2 shown]
	s_waitcnt lgkmcnt(0)
	s_lshr_b32 s19, s9, 8
	s_mov_b32 s9, exec_lo
	v_cmpx_gt_u32_e64 s19, v21
	s_cbranch_execz .LBB227_4
; %bb.1:
	s_mul_i32 s13, s13, s7
	s_load_dwordx4 s[20:23], s[4:5], 0x0
	s_mul_hi_u32 s25, s13, 36
	s_mul_i32 s24, s13, 36
	s_mul_i32 s17, s17, s8
	v_mad_u64_u32 v[2:3], null, 0x120, v21, s[24:25]
	v_and_b32_e32 v4, 7, v0
	v_and_b32_e32 v5, 1, v0
	s_mul_hi_u32 s3, s3, s7
	s_mul_hi_u32 s15, s15, s8
	s_add_i32 s3, s7, s3
	s_add_i32 s15, s8, s15
	v_mad_u64_u32 v[2:3], null, s17, 36, v[2:3]
	v_cmp_eq_u32_e32 vcc_lo, 1, v5
	s_mul_i32 s27, s17, 36
	s_lshr_b32 s3, s3, s10
	s_lshr_b32 s10, s15, s11
	s_mul_hi_u32 s26, s17, 36
	s_mul_i32 s3, s3, s12
	v_mad_u64_u32 v[2:3], null, v4, 36, v[2:3]
	s_mul_i32 s12, s10, s16
	s_waitcnt lgkmcnt(0)
	s_add_u32 s10, s22, s27
	s_addc_u32 s11, s23, s26
	v_cndmask_b32_e64 v24, 0, 6, vcc_lo
	s_add_u32 s10, s10, s24
	s_addc_u32 s11, s11, s25
	v_add_co_u32 v2, vcc_lo, s22, v2
	v_bfe_u32 v6, v0, 1, 2
	v_add_co_ci_u32_e64 v3, null, s23, v3, vcc_lo
	v_mad_u64_u32 v[10:11], null, v4, 36, s[10:11]
	v_add_co_u32 v12, vcc_lo, v2, 16
	s_mul_i32 s0, s0, s6
	v_mov_b32_e32 v15, 0
	v_lshlrev_b32_e32 v23, 1, v4
	v_lshlrev_b32_e32 v25, 3, v21
	v_add_co_ci_u32_e64 v13, null, 0, v3, vcc_lo
	v_lshlrev_b32_e32 v26, 2, v4
	v_lshlrev_b32_e32 v27, 1, v6
	v_mov_b32_e32 v28, 0xffff
	v_mov_b32_e32 v29, 0xf0
	;; [unrolled: 1-line block ×9, first 2 shown]
	s_add_i32 s3, s3, s0
	s_mul_i32 s13, s1, 6
	s_add_i32 s0, s12, s3
	s_mov_b32 s3, 0
	s_mul_i32 s12, s1, 7
	s_mul_i32 s15, s1, 5
	s_lshl_b32 s16, s1, 2
	s_mul_i32 s17, s1, 3
	s_lshl_b32 s22, s1, 1
	s_mov_b32 s23, 0xbd000000
	s_getpc_b64 s[10:11]
	s_add_u32 s10, s10, _ZL13iq1s_grid_gpu@rel32@lo+4
	s_addc_u32 s11, s11, _ZL13iq1s_grid_gpu@rel32@hi+12
.LBB227_2:                              ; =>This Inner Loop Header: Depth=1
	v_add_nc_u32_e32 v50, s0, v21
	v_add_nc_u32_e32 v58, s1, v25
	;; [unrolled: 1-line block ×5, first 2 shown]
	v_mad_i64_i32 v[89:90], null, v50, 56, s[20:21]
	v_add_nc_u32_e32 v67, s15, v25
	v_mad_u64_u32 v[91:92], null, v58, 36, v[10:11]
	v_mad_u64_u32 v[93:94], null, v61, 36, v[10:11]
	;; [unrolled: 1-line block ×3, first 2 shown]
	v_add_co_u32 v103, vcc_lo, v89, v26
	v_add_co_ci_u32_e64 v104, null, 0, v90, vcc_lo
	v_add_co_u32 v105, vcc_lo, v89, v23
	v_mad_u64_u32 v[64:65], null, v65, 36, v[10:11]
	v_add_nc_u32_e32 v69, s13, v25
	v_add_nc_u32_e32 v70, s12, v25
	v_mad_u64_u32 v[97:98], null, v67, 36, v[10:11]
	v_add_co_ci_u32_e64 v106, null, 0, v90, vcc_lo
	v_add_co_u32 v107, vcc_lo, v89, v27
	v_add_co_ci_u32_e64 v108, null, 0, v90, vcc_lo
	s_clause 0x1
	global_load_dwordx4 v[6:9], v[12:13], off offset:-16
	global_load_dwordx4 v[2:5], v[12:13], off
	v_mad_u64_u32 v[99:100], null, v69, 36, v[10:11]
	v_mad_u64_u32 v[101:102], null, v70, 36, v[10:11]
	s_clause 0x4
	global_load_dwordx4 v[69:72], v[91:92], off
	global_load_dwordx4 v[73:76], v[93:94], off
	;; [unrolled: 1-line block ×5, first 2 shown]
	s_clause 0x3
	global_load_dword v50, v[103:104], off
	global_load_ushort v58, v[105:106], off offset:32
	global_load_ushort v67, v[107:108], off offset:48
	global_load_dwordx2 v[89:90], v[89:90], off offset:48
	v_mov_b32_e32 v30, 0
	v_mov_b32_e32 v32, 0
	;; [unrolled: 1-line block ×35, first 2 shown]
	v_add_nc_u32_e32 v21, 4, v21
	v_add_nc_u32_e32 v25, 32, v25
	s_waitcnt vmcnt(10)
	v_dot4c_i32_i8 v43, 0x1010101, v7
	v_dot4c_i32_i8 v41, 0x1010101, v9
	v_cvt_f32_f16_e32 v108, v6
	s_waitcnt vmcnt(9)
	v_dot4c_i32_i8 v40, 0x1010101, v3
	s_waitcnt vmcnt(7)
	v_dot4c_i32_i8 v49, 0x1010101, v74
	s_waitcnt vmcnt(3)
	v_and_b32_e32 v61, 0xff, v50
	s_waitcnt vmcnt(2)
	v_lshlrev_b32_e32 v103, 8, v58
	v_bfe_u32 v104, v50, 8, 8
	v_lshlrev_b32_e32 v105, 4, v58
	v_and_b32_sdwa v106, v28, v58 dst_sel:DWORD dst_unused:UNUSED_PAD src0_sel:DWORD src1_sel:BYTE_1
	v_lshrrev_b32_e32 v107, 24, v50
	v_and_or_b32 v61, 0x700, v103, v61
	v_bfe_u32 v50, v50, 16, 8
	v_and_or_b32 v103, 0x700, v105, v104
	v_lshlrev_b32_e32 v104, 8, v106
	v_lshlrev_b32_e32 v105, 4, v106
	;; [unrolled: 1-line block ×3, first 2 shown]
	v_dot4c_i32_i8 v46, 0x1010101, v70
	v_lshlrev_b32_e32 v103, 2, v103
	s_clause 0x1
	global_load_dword v61, v61, s[10:11]
	global_load_dword v103, v103, s[10:11]
	v_and_or_b32 v50, 0x700, v104, v50
	v_and_or_b32 v104, 0x700, v105, v107
	v_dot4c_i32_i8 v56, 0x1010101, v78
	v_dot4c_i32_i8 v60, 0x1010101, v82
	;; [unrolled: 1-line block ×3, first 2 shown]
	v_lshlrev_b32_e32 v50, 2, v50
	v_lshlrev_b32_e32 v104, 2, v104
	s_clause 0x1
	global_load_dword v50, v50, s[10:11]
	global_load_dword v104, v104, s[10:11]
	v_dot4c_i32_i8 v47, 0x1010101, v72
	v_dot4c_i32_i8 v48, 0x1010101, v76
	;; [unrolled: 1-line block ×5, first 2 shown]
	v_cvt_f32_f16_e32 v112, v77
	v_dot4c_i32_i8 v56, 0x1010101, v79
	v_dot4c_i32_i8 v59, 0x1010101, v84
	;; [unrolled: 1-line block ×5, first 2 shown]
	v_cvt_f32_i32_e32 v43, v43
	v_cvt_f32_i32_e32 v46, v46
	;; [unrolled: 1-line block ×3, first 2 shown]
	v_dot4c_i32_i8 v63, 0x1010101, v87
	v_cvt_f32_i32_e32 v49, v49
	v_cvt_f32_i32_e32 v60, v60
	v_dot4c_i32_i8 v41, 0x1010101, v2
	v_dot4c_i32_i8 v40, 0x1010101, v4
	v_cvt_f32_i32_e32 v63, v63
	v_dot4c_i32_i8 v39, 0x1010101, v5
	v_cvt_f32_f16_e32 v85, v85
	v_cvt_f32_i32_e32 v41, v41
	v_cvt_f32_i32_e32 v40, v40
	s_waitcnt vmcnt(5)
	v_lshrrev_b32_e32 v67, v24, v67
	s_waitcnt vmcnt(3)
	v_lshrrev_b32_e32 v105, 4, v61
	v_and_b32_e32 v61, 0xf0f0f0f, v61
	s_waitcnt vmcnt(2)
	v_and_b32_e32 v107, 0xf0f0f0f, v103
	v_and_b32_e32 v105, 0xf0f0f0f, v105
	v_dot4c_i32_i8 v30, v61, v7
	v_dot4c_i32_i8 v32, v61, v70
	;; [unrolled: 1-line block ×11, first 2 shown]
	s_clause 0x1
	global_load_dword v111, v[91:92], off offset:32
	global_load_dwordx4 v[6:9], v[91:92], off offset:16
	v_dot4c_i32_i8 v32, v107, v72
	v_cvt_f32_f16_e32 v91, v69
	v_cvt_f32_f16_e32 v92, v73
	v_dot4c_i32_i8 v34, v107, v76
	global_load_dwordx4 v[69:72], v[95:96], off offset:16
	v_dot4c_i32_i8 v36, v107, v80
	s_clause 0x1
	global_load_dwordx4 v[73:76], v[99:100], off
	global_load_dword v95, v[95:96], off offset:32
	v_cvt_f32_f16_e32 v96, v81
	v_dot4c_i32_i8 v38, v107, v84
	global_load_dwordx4 v[77:80], v[97:98], off offset:16
	v_dot4c_i32_i8 v44, v61, v86
	s_clause 0x1
	global_load_dwordx4 v[81:84], v[101:102], off
	global_load_dword v86, v[97:98], off offset:32
	v_mov_b32_e32 v97, 0
	v_dot4c_i32_i8 v44, v105, v87
	v_dot4c_i32_i8 v44, v107, v88
	v_mov_b32_e32 v88, 0
	s_waitcnt vmcnt(6)
	v_dot4c_i32_i8 v47, 0x1010101, v6
	v_dot4c_i32_i8 v45, 0x1010101, v7
	;; [unrolled: 1-line block ×3, first 2 shown]
	s_waitcnt vmcnt(5)
	v_dot4c_i32_i8 v55, 0x1010101, v69
	s_waitcnt vmcnt(4)
	v_dot4c_i32_i8 v66, v61, v74
	v_dot4c_i32_i8 v109, 0x1010101, v74
	;; [unrolled: 1-line block ×3, first 2 shown]
	v_cvt_f32_f16_e32 v87, v73
	s_waitcnt vmcnt(2)
	v_dot4c_i32_i8 v62, 0x1010101, v77
	s_waitcnt vmcnt(1)
	v_dot4c_i32_i8 v68, v61, v82
	v_mov_b32_e32 v61, 0
	v_cvt_f32_f16_e32 v98, v81
	v_and_b32_e32 v81, 8, v58
	v_dot4c_i32_i8 v109, 0x1010101, v75
	v_dot4c_i32_i8 v66, v105, v75
	;; [unrolled: 1-line block ×4, first 2 shown]
	v_cvt_f32_ubyte0_e32 v81, v81
	v_cvt_f32_i32_e32 v82, v109
	v_dot4c_i32_i8 v66, v107, v76
	v_dot4c_i32_i8 v61, 0x1010101, v83
	global_load_dwordx4 v[73:76], v[101:102], off offset:16
	v_fmaak_f32 v81, s23, v81, 0xbf600000
	v_dot4c_i32_i8 v68, v107, v84
	v_dot4c_i32_i8 v88, 0x1010101, v84
	v_cvt_f32_i32_e32 v61, v61
	global_load_dword v105, v[12:13], off offset:16
	global_load_dword v107, v[93:94], off offset:32
	v_fma_f32 v109, v81, v46, 0
	v_fma_f32 v43, v81, v43, 0
	v_fma_f32 v56, v81, v56, 0
	v_fma_f32 v113, v81, v49, 0
	v_fma_f32 v63, v81, v63, 0
	v_fma_f32 v115, v81, v60, 0
	v_fma_f32 v116, v81, v61, 0
	v_fma_f32 v117, v81, v82, 0
	global_load_dwordx4 v[81:84], v[93:94], off offset:16
	v_bfe_u32 v58, v58, 4, 4
	v_cvt_f32_i32_e32 v46, v55
	v_cvt_f32_i32_e32 v55, v62
	;; [unrolled: 1-line block ×3, first 2 shown]
	v_dot4c_i32_i8 v45, 0x1010101, v8
	v_and_b32_e32 v58, 8, v58
	v_dot4c_i32_i8 v42, 0x1010101, v111
	v_dot4c_i32_i8 v54, 0x1010101, v70
	v_dot4c_i32_i8 v97, 0x1010101, v78
	v_cvt_f32_i32_e32 v45, v45
	v_cvt_f32_ubyte0_e32 v58, v58
	v_cvt_f32_i32_e32 v42, v42
	v_dot4c_i32_i8 v54, 0x1010101, v71
	v_dot4c_i32_i8 v97, 0x1010101, v79
	;; [unrolled: 1-line block ×3, first 2 shown]
	v_fmaak_f32 v114, s23, v58, 0xbf600000
	v_add_co_u32 v12, vcc_lo, 0x480, v12
	v_cvt_f32_i32_e32 v54, v54
	v_dot4c_i32_i8 v53, 0x1010101, v95
	v_fmac_f32_e32 v63, v114, v55
	global_load_dword v55, v[99:100], off offset:32
	v_fmac_f32_e32 v109, v114, v47
	v_fmac_f32_e32 v43, v114, v41
	global_load_dword v41, v[64:65], off offset:32
	v_fmac_f32_e32 v56, v114, v46
	v_lshrrev_b32_e32 v94, 4, v106
	v_cvt_f32_i32_e32 v93, v97
	v_cvt_f32_i32_e32 v53, v53
	v_add_co_ci_u32_e64 v13, null, 0, v13, vcc_lo
	v_and_b32_e32 v94, 8, v94
	v_cmp_le_u32_e32 vcc_lo, s19, v21
	v_cvt_f32_ubyte0_e32 v94, v94
	s_or_b32 s3, vcc_lo, s3
	v_fmaak_f32 v94, s23, v94, 0xbf600000
	s_waitcnt vmcnt(5)
	v_dot4c_i32_i8 v88, 0x1010101, v73
	s_waitcnt vmcnt(4)
	v_dot4c_i32_i8 v39, 0x1010101, v105
	v_cvt_f32_i32_e32 v39, v39
	s_waitcnt vmcnt(2)
	v_dot4c_i32_i8 v48, 0x1010101, v81
	v_dot4c_i32_i8 v52, 0x1010101, v82
	;; [unrolled: 1-line block ×3, first 2 shown]
	v_cvt_f32_i32_e32 v47, v48
	v_dot4c_i32_i8 v52, 0x1010101, v83
	v_dot4c_i32_i8 v51, 0x1010101, v107
	v_fmac_f32_e32 v113, v114, v47
	global_load_dwordx4 v[46:49], v[64:65], off offset:16
	v_cvt_f32_i32_e32 v52, v52
	v_mov_b32_e32 v64, 0
	v_cvt_f32_i32_e32 v51, v51
	global_load_dword v65, v[101:102], off offset:32
	v_dot4c_i32_i8 v64, 0x1010101, v74
	v_dot4c_i32_i8 v64, 0x1010101, v75
	v_cvt_f32_i32_e32 v64, v64
	s_waitcnt vmcnt(1)
	v_dot4c_i32_i8 v59, 0x1010101, v46
	v_dot4c_i32_i8 v57, 0x1010101, v47
	v_cvt_f32_i32_e32 v58, v59
	v_cvt_f32_i32_e32 v59, v88
	v_pk_lshrrev_b16 v88, 0x8000c, v89
	v_pk_lshrrev_b16 v89, 4, v90
	v_dot4c_i32_i8 v57, 0x1010101, v48
	v_fmac_f32_e32 v115, v114, v58
	v_fmac_f32_e32 v116, v114, v59
	global_load_dwordx4 v[58:61], v[99:100], off offset:16
	v_and_b32_sdwa v90, v88, v29 dst_sel:DWORD dst_unused:UNUSED_PAD src0_sel:WORD_1 src1_sel:DWORD
	v_and_b32_e32 v89, 0xf0000f00, v89
	v_cvt_f32_i32_e32 v57, v57
	v_and_b32_e32 v99, 0xf0f0f0f, v104
	v_lshrrev_b32_e32 v100, 4, v104
	v_or_b32_e32 v88, v90, v88
	v_and_b32_e32 v90, 8, v106
	v_or_b32_e32 v88, v88, v89
	v_cvt_f32_ubyte0_e32 v90, v90
	v_or_b32_sdwa v88, v88, v89 dst_sel:DWORD dst_unused:UNUSED_PAD src0_sel:DWORD src1_sel:WORD_1
	v_fmaak_f32 v90, s23, v90, 0xbf600000
	v_mov_b32_e32 v89, 0
	v_cvt_f32_f16_e32 v88, v88
	v_fma_f32 v40, v90, v40, 0
	v_fma_f32 v45, v90, v45, 0
	;; [unrolled: 1-line block ×3, first 2 shown]
	v_dot4c_i32_i8 v89, 0x1010101, v49
	v_fma_f32 v57, v90, v57, 0
	v_fmac_f32_e32 v40, v94, v39
	v_mov_b32_e32 v39, 0
	v_fmac_f32_e32 v45, v94, v42
	v_mov_b32_e32 v42, 0
	;; [unrolled: 2-line block ×3, first 2 shown]
	v_dot4c_i32_i8 v89, 0x1010101, v41
	v_dot4c_i32_i8 v39, 0x1010101, v80
	v_fma_f32 v54, v90, v54, 0
	v_fma_f32 v93, v90, v93, 0
	v_dot4c_i32_i8 v51, 0x1010101, v76
	v_cvt_f32_i32_e32 v89, v89
	v_dot4c_i32_i8 v39, 0x1010101, v86
	v_fma_f32 v64, v90, v64, 0
	v_mul_f32_e32 v97, v88, v98
	v_lshrrev_b32_e32 v98, 4, v50
	v_fmac_f32_e32 v57, v94, v89
	v_mov_b32_e32 v89, 0
	v_cvt_f32_i32_e32 v39, v39
	v_and_b32_e32 v50, 0xf0f0f0f, v50
	v_fmac_f32_e32 v54, v94, v53
	v_mov_b32_e32 v53, 0
	v_mul_f32_e32 v92, v88, v92
	v_fmac_f32_e32 v93, v94, v39
	v_mov_b32_e32 v39, 0
	v_mul_f32_e32 v85, v88, v85
	v_mul_f32_e32 v96, v88, v96
	v_mul_f32_e32 v87, v88, v87
	v_and_b32_e32 v98, 0xf0f0f0f, v98
	v_dot4c_i32_i8 v31, v50, v3
	v_dot4c_i32_i8 v33, v50, v7
	;; [unrolled: 1-line block ×10, first 2 shown]
	v_and_b32_e32 v3, 0xf0f0f0f, v100
	v_dot4c_i32_i8 v53, v98, v79
	v_dot4c_i32_i8 v39, v98, v75
	;; [unrolled: 1-line block ×13, first 2 shown]
	s_waitcnt vmcnt(1)
	v_dot4c_i32_i8 v51, 0x1010101, v65
	v_dot4c_i32_i8 v39, v3, v65
	v_cvt_f32_i32_e32 v51, v51
	v_fmac_f32_e32 v64, v94, v51
	v_mul_f32_e32 v51, v88, v91
	v_mul_f32_e32 v91, v88, v108
	s_waitcnt vmcnt(0)
	v_dot4c_i32_i8 v110, 0x1010101, v58
	v_dot4c_i32_i8 v42, 0x1010101, v61
	;; [unrolled: 1-line block ×3, first 2 shown]
	v_cvt_f32_i32_e32 v62, v110
	v_dot4c_i32_i8 v42, 0x1010101, v55
	v_dot4c_i32_i8 v89, v98, v60
	v_fmac_f32_e32 v117, v114, v62
	v_mov_b32_e32 v62, 0
	v_cvt_f32_i32_e32 v42, v42
	v_dot4c_i32_i8 v89, v99, v61
	v_dot4c_i32_i8 v62, 0x1010101, v59
	;; [unrolled: 1-line block ×4, first 2 shown]
	v_cvt_f32_i32_e32 v62, v62
	v_fma_f32 v62, v90, v62, 0
	v_mov_b32_e32 v90, 0
	v_fmac_f32_e32 v62, v94, v42
	v_mul_f32_e32 v94, v88, v112
	v_lshrrev_b32_e32 v88, 4, v103
	v_dot4c_i32_i8 v90, v50, v47
	v_lshlrev_b32_e32 v42, 1, v67
	v_lshrrev_b32_e32 v67, 2, v67
	v_and_b32_e32 v88, 0xf0f0f0f, v88
	v_dot4c_i32_i8 v90, v98, v48
	v_and_b32_e32 v42, 14, v42
	v_and_b32_e32 v67, 14, v67
	v_dot4c_i32_i8 v32, v88, v6
	v_dot4c_i32_i8 v36, v88, v69
	;; [unrolled: 1-line block ×3, first 2 shown]
	v_or_b32_e32 v42, 1, v42
	v_dot4c_i32_i8 v30, v88, v2
	v_dot4c_i32_i8 v34, v88, v81
	;; [unrolled: 1-line block ×5, first 2 shown]
	v_cvt_f32_i32_e32 v2, v32
	v_cvt_f32_i32_e32 v4, v36
	v_or_b32_e32 v67, 1, v67
	v_cvt_f32_ubyte0_e32 v42, v42
	v_dot4c_i32_i8 v38, v88, v46
	v_dot4c_i32_i8 v66, v88, v58
	v_cvt_f32_i32_e32 v3, v30
	v_cvt_f32_i32_e32 v5, v34
	;; [unrolled: 1-line block ×6, first 2 shown]
	v_add_f32_e32 v2, v109, v2
	v_cvt_f32_i32_e32 v32, v35
	v_cvt_f32_i32_e32 v33, v37
	v_add_f32_e32 v4, v56, v4
	v_cvt_f32_i32_e32 v34, v90
	v_cvt_f32_i32_e32 v36, v89
	v_cvt_f32_ubyte0_e32 v67, v67
	v_cvt_f32_i32_e32 v7, v38
	v_cvt_f32_i32_e32 v9, v66
	;; [unrolled: 1-line block ×3, first 2 shown]
	v_add_f32_e32 v6, v63, v6
	v_add_f32_e32 v8, v116, v8
	v_cvt_f32_i32_e32 v37, v39
	v_add_f32_e32 v30, v40, v30
	v_mul_f32_e32 v2, v2, v42
	v_add_f32_e32 v31, v45, v31
	v_add_f32_e32 v32, v52, v32
	v_mul_f32_e32 v4, v4, v42
	v_add_f32_e32 v33, v54, v33
	v_add_f32_e32 v34, v57, v34
	;; [unrolled: 1-line block ×7, first 2 shown]
	v_mul_f32_e32 v6, v6, v42
	v_add_f32_e32 v35, v93, v35
	v_mul_f32_e32 v8, v8, v42
	v_add_f32_e32 v37, v64, v37
	v_mul_f32_e32 v30, v30, v67
	v_fmac_f32_e32 v2, v31, v67
	v_mul_f32_e32 v31, v32, v67
	v_fmac_f32_e32 v4, v33, v67
	v_mul_f32_e32 v32, v34, v67
	v_mul_f32_e32 v33, v36, v67
	v_fmac_f32_e32 v6, v35, v67
	v_fmac_f32_e32 v8, v37, v67
	;; [unrolled: 1-line block ×14, first 2 shown]
	s_andn2_b32 exec_lo, exec_lo, s3
	s_cbranch_execnz .LBB227_2
; %bb.3:
	s_or_b32 exec_lo, exec_lo, s3
.LBB227_4:
	s_or_b32 exec_lo, exec_lo, s9
	s_mov_b32 s1, 0
	; wave barrier
	buffer_gl0_inv
	s_mov_b32 s0, exec_lo
	v_cmpx_eq_u32_e32 0, v1
	s_cbranch_execz .LBB227_21
; %bb.5:
	v_mbcnt_lo_u32_b32 v5, -1, 0
	s_load_dwordx2 s[4:5], s[4:5], 0x38
	s_mul_i32 s0, s14, s7
	s_mul_i32 s3, s18, s8
	s_add_i32 s0, s0, s6
	v_xor_b32_e32 v1, 16, v5
	v_xor_b32_e32 v2, 8, v5
	v_xor_b32_e32 v8, 1, v5
	s_add_i32 s0, s0, s3
	s_lshl_b64 s[0:1], s[0:1], 2
	v_cmp_gt_i32_e32 vcc_lo, 32, v1
	v_cndmask_b32_e32 v1, v5, v1, vcc_lo
	v_cmp_gt_i32_e32 vcc_lo, 32, v2
	v_lshlrev_b32_e32 v1, 2, v1
	v_cndmask_b32_e32 v2, v5, v2, vcc_lo
	s_waitcnt lgkmcnt(0)
	s_add_u32 s0, s4, s0
	s_addc_u32 s1, s5, s1
	ds_bpermute_b32 v3, v1, v22
	v_lshlrev_b32_e32 v2, 2, v2
	s_waitcnt lgkmcnt(0)
	v_add_f32_e32 v4, v22, v3
	v_xor_b32_e32 v3, 4, v5
	ds_bpermute_b32 v6, v2, v4
	v_cmp_gt_i32_e32 vcc_lo, 32, v3
	v_cndmask_b32_e32 v3, v5, v3, vcc_lo
	v_lshlrev_b32_e32 v3, 2, v3
	s_waitcnt lgkmcnt(0)
	v_add_f32_e32 v6, v4, v6
	v_xor_b32_e32 v4, 2, v5
	ds_bpermute_b32 v7, v3, v6
	v_cmp_gt_i32_e32 vcc_lo, 32, v4
	v_cndmask_b32_e32 v4, v5, v4, vcc_lo
	v_cmp_gt_i32_e32 vcc_lo, 32, v8
	v_lshlrev_b32_e32 v4, 2, v4
	v_cndmask_b32_e32 v5, v5, v8, vcc_lo
	v_cmp_eq_u32_e32 vcc_lo, 0, v0
	v_lshlrev_b32_e32 v5, 2, v5
	s_waitcnt lgkmcnt(0)
	v_add_f32_e32 v6, v6, v7
	ds_bpermute_b32 v7, v4, v6
	s_waitcnt lgkmcnt(0)
	v_add_f32_e32 v6, v6, v7
	ds_bpermute_b32 v7, v5, v6
	s_and_saveexec_b32 s3, vcc_lo
	s_cbranch_execz .LBB227_7
; %bb.6:
	s_waitcnt lgkmcnt(0)
	v_add_f32_e32 v0, v6, v7
	v_mov_b32_e32 v6, 0
	global_store_dword v6, v0, s[0:1]
.LBB227_7:
	s_or_b32 exec_lo, exec_lo, s3
	ds_bpermute_b32 v0, v1, v20
	s_waitcnt lgkmcnt(0)
	v_add_f32_e32 v0, v20, v0
	ds_bpermute_b32 v6, v2, v0
	s_waitcnt lgkmcnt(0)
	v_add_f32_e32 v0, v0, v6
	;; [unrolled: 3-line block ×4, first 2 shown]
	ds_bpermute_b32 v6, v5, v0
	s_and_saveexec_b32 s4, vcc_lo
	s_cbranch_execz .LBB227_9
; %bb.8:
	s_mov_b32 s3, 0
	s_waitcnt lgkmcnt(0)
	v_add_f32_e32 v0, v0, v6
	s_lshl_b64 s[6:7], s[2:3], 2
	v_mov_b32_e32 v6, 0
	s_add_u32 s6, s0, s6
	s_addc_u32 s7, s1, s7
	global_store_dword v6, v0, s[6:7]
.LBB227_9:
	s_or_b32 exec_lo, exec_lo, s4
	ds_bpermute_b32 v0, v1, v19
	s_waitcnt lgkmcnt(0)
	v_add_f32_e32 v0, v19, v0
	ds_bpermute_b32 v6, v2, v0
	s_waitcnt lgkmcnt(0)
	v_add_f32_e32 v0, v0, v6
	;; [unrolled: 3-line block ×4, first 2 shown]
	ds_bpermute_b32 v6, v5, v0
	s_and_saveexec_b32 s3, vcc_lo
	s_cbranch_execz .LBB227_11
; %bb.10:
	s_lshl_b32 s4, s2, 1
	s_mov_b32 s5, 0
	s_waitcnt lgkmcnt(0)
	v_add_f32_e32 v0, v0, v6
	s_lshl_b64 s[4:5], s[4:5], 2
	v_mov_b32_e32 v6, 0
	s_add_u32 s4, s0, s4
	s_addc_u32 s5, s1, s5
	global_store_dword v6, v0, s[4:5]
.LBB227_11:
	s_or_b32 exec_lo, exec_lo, s3
	ds_bpermute_b32 v0, v1, v18
	s_waitcnt lgkmcnt(0)
	v_add_f32_e32 v0, v18, v0
	ds_bpermute_b32 v6, v2, v0
	s_waitcnt lgkmcnt(0)
	v_add_f32_e32 v0, v0, v6
	;; [unrolled: 3-line block ×4, first 2 shown]
	ds_bpermute_b32 v6, v5, v0
	s_and_saveexec_b32 s3, vcc_lo
	s_cbranch_execz .LBB227_13
; %bb.12:
	s_mul_i32 s4, s2, 3
	s_mov_b32 s5, 0
	s_waitcnt lgkmcnt(0)
	v_add_f32_e32 v0, v0, v6
	s_lshl_b64 s[4:5], s[4:5], 2
	v_mov_b32_e32 v6, 0
	s_add_u32 s4, s0, s4
	s_addc_u32 s5, s1, s5
	global_store_dword v6, v0, s[4:5]
.LBB227_13:
	s_or_b32 exec_lo, exec_lo, s3
	ds_bpermute_b32 v0, v1, v17
	s_waitcnt lgkmcnt(0)
	v_add_f32_e32 v0, v17, v0
	ds_bpermute_b32 v6, v2, v0
	s_waitcnt lgkmcnt(0)
	v_add_f32_e32 v0, v0, v6
	;; [unrolled: 3-line block ×4, first 2 shown]
	ds_bpermute_b32 v6, v5, v0
	s_and_saveexec_b32 s3, vcc_lo
	s_cbranch_execz .LBB227_15
; %bb.14:
	s_lshl_b32 s4, s2, 2
	s_mov_b32 s5, 0
	s_waitcnt lgkmcnt(0)
	v_add_f32_e32 v0, v0, v6
	s_lshl_b64 s[4:5], s[4:5], 2
	v_mov_b32_e32 v6, 0
	s_add_u32 s4, s0, s4
	s_addc_u32 s5, s1, s5
	global_store_dword v6, v0, s[4:5]
.LBB227_15:
	s_or_b32 exec_lo, exec_lo, s3
	ds_bpermute_b32 v0, v1, v16
	s_waitcnt lgkmcnt(0)
	v_add_f32_e32 v0, v16, v0
	ds_bpermute_b32 v6, v2, v0
	s_waitcnt lgkmcnt(0)
	v_add_f32_e32 v0, v0, v6
	;; [unrolled: 3-line block ×4, first 2 shown]
	ds_bpermute_b32 v6, v5, v0
	s_and_saveexec_b32 s3, vcc_lo
	s_cbranch_execz .LBB227_17
; %bb.16:
	s_mul_i32 s4, s2, 5
	s_mov_b32 s5, 0
	s_waitcnt lgkmcnt(0)
	v_add_f32_e32 v0, v0, v6
	s_lshl_b64 s[4:5], s[4:5], 2
	v_mov_b32_e32 v6, 0
	s_add_u32 s4, s0, s4
	s_addc_u32 s5, s1, s5
	global_store_dword v6, v0, s[4:5]
.LBB227_17:
	s_or_b32 exec_lo, exec_lo, s3
	ds_bpermute_b32 v0, v1, v15
	s_waitcnt lgkmcnt(0)
	v_add_f32_e32 v0, v15, v0
	ds_bpermute_b32 v6, v2, v0
	s_waitcnt lgkmcnt(0)
	v_add_f32_e32 v0, v0, v6
	;; [unrolled: 3-line block ×4, first 2 shown]
	ds_bpermute_b32 v6, v5, v0
	s_and_saveexec_b32 s3, vcc_lo
	s_cbranch_execz .LBB227_19
; %bb.18:
	s_mul_i32 s4, s2, 6
	s_mov_b32 s5, 0
	s_waitcnt lgkmcnt(0)
	v_add_f32_e32 v0, v0, v6
	s_lshl_b64 s[4:5], s[4:5], 2
	v_mov_b32_e32 v6, 0
	s_add_u32 s4, s0, s4
	s_addc_u32 s5, s1, s5
	global_store_dword v6, v0, s[4:5]
.LBB227_19:
	s_or_b32 exec_lo, exec_lo, s3
	ds_bpermute_b32 v0, v1, v14
	s_waitcnt lgkmcnt(0)
	v_add_f32_e32 v0, v14, v0
	ds_bpermute_b32 v1, v2, v0
	s_waitcnt lgkmcnt(0)
	v_add_f32_e32 v0, v0, v1
	;; [unrolled: 3-line block ×4, first 2 shown]
	ds_bpermute_b32 v1, v5, v0
	s_and_b32 exec_lo, exec_lo, vcc_lo
	s_cbranch_execz .LBB227_21
; %bb.20:
	s_mul_i32 s2, s2, 7
	s_mov_b32 s3, 0
	s_waitcnt lgkmcnt(0)
	v_add_f32_e32 v0, v0, v1
	s_lshl_b64 s[2:3], s[2:3], 2
	v_mov_b32_e32 v1, 0
	s_add_u32 s0, s0, s2
	s_addc_u32 s1, s1, s3
	global_store_dword v1, v0, s[0:1]
.LBB227_21:
	s_endpgm
	.section	.rodata,"a",@progbits
	.p2align	6, 0x0
	.amdhsa_kernel _ZL13mul_mat_vec_qIL9ggml_type29ELi8ELb0ELb0EEvPKvS2_PKi31ggml_cuda_mm_fusion_args_devicePfj15HIP_vector_typeIjLj3EEjjjS8_jjjS8_jjjj
		.amdhsa_group_segment_fixed_size 0
		.amdhsa_private_segment_fixed_size 0
		.amdhsa_kernarg_size 144
		.amdhsa_user_sgpr_count 6
		.amdhsa_user_sgpr_private_segment_buffer 1
		.amdhsa_user_sgpr_dispatch_ptr 0
		.amdhsa_user_sgpr_queue_ptr 0
		.amdhsa_user_sgpr_kernarg_segment_ptr 1
		.amdhsa_user_sgpr_dispatch_id 0
		.amdhsa_user_sgpr_flat_scratch_init 0
		.amdhsa_user_sgpr_private_segment_size 0
		.amdhsa_wavefront_size32 1
		.amdhsa_uses_dynamic_stack 0
		.amdhsa_system_sgpr_private_segment_wavefront_offset 0
		.amdhsa_system_sgpr_workgroup_id_x 1
		.amdhsa_system_sgpr_workgroup_id_y 1
		.amdhsa_system_sgpr_workgroup_id_z 1
		.amdhsa_system_sgpr_workgroup_info 0
		.amdhsa_system_vgpr_workitem_id 1
		.amdhsa_next_free_vgpr 118
		.amdhsa_next_free_sgpr 28
		.amdhsa_reserve_vcc 1
		.amdhsa_reserve_flat_scratch 0
		.amdhsa_float_round_mode_32 0
		.amdhsa_float_round_mode_16_64 0
		.amdhsa_float_denorm_mode_32 3
		.amdhsa_float_denorm_mode_16_64 3
		.amdhsa_dx10_clamp 1
		.amdhsa_ieee_mode 1
		.amdhsa_fp16_overflow 0
		.amdhsa_workgroup_processor_mode 1
		.amdhsa_memory_ordered 1
		.amdhsa_forward_progress 1
		.amdhsa_shared_vgpr_count 0
		.amdhsa_exception_fp_ieee_invalid_op 0
		.amdhsa_exception_fp_denorm_src 0
		.amdhsa_exception_fp_ieee_div_zero 0
		.amdhsa_exception_fp_ieee_overflow 0
		.amdhsa_exception_fp_ieee_underflow 0
		.amdhsa_exception_fp_ieee_inexact 0
		.amdhsa_exception_int_div_zero 0
	.end_amdhsa_kernel
	.section	.text._ZL13mul_mat_vec_qIL9ggml_type29ELi8ELb0ELb0EEvPKvS2_PKi31ggml_cuda_mm_fusion_args_devicePfj15HIP_vector_typeIjLj3EEjjjS8_jjjS8_jjjj,"axG",@progbits,_ZL13mul_mat_vec_qIL9ggml_type29ELi8ELb0ELb0EEvPKvS2_PKi31ggml_cuda_mm_fusion_args_devicePfj15HIP_vector_typeIjLj3EEjjjS8_jjjS8_jjjj,comdat
.Lfunc_end227:
	.size	_ZL13mul_mat_vec_qIL9ggml_type29ELi8ELb0ELb0EEvPKvS2_PKi31ggml_cuda_mm_fusion_args_devicePfj15HIP_vector_typeIjLj3EEjjjS8_jjjS8_jjjj, .Lfunc_end227-_ZL13mul_mat_vec_qIL9ggml_type29ELi8ELb0ELb0EEvPKvS2_PKi31ggml_cuda_mm_fusion_args_devicePfj15HIP_vector_typeIjLj3EEjjjS8_jjjS8_jjjj
                                        ; -- End function
	.set _ZL13mul_mat_vec_qIL9ggml_type29ELi8ELb0ELb0EEvPKvS2_PKi31ggml_cuda_mm_fusion_args_devicePfj15HIP_vector_typeIjLj3EEjjjS8_jjjS8_jjjj.num_vgpr, 118
	.set _ZL13mul_mat_vec_qIL9ggml_type29ELi8ELb0ELb0EEvPKvS2_PKi31ggml_cuda_mm_fusion_args_devicePfj15HIP_vector_typeIjLj3EEjjjS8_jjjS8_jjjj.num_agpr, 0
	.set _ZL13mul_mat_vec_qIL9ggml_type29ELi8ELb0ELb0EEvPKvS2_PKi31ggml_cuda_mm_fusion_args_devicePfj15HIP_vector_typeIjLj3EEjjjS8_jjjS8_jjjj.numbered_sgpr, 28
	.set _ZL13mul_mat_vec_qIL9ggml_type29ELi8ELb0ELb0EEvPKvS2_PKi31ggml_cuda_mm_fusion_args_devicePfj15HIP_vector_typeIjLj3EEjjjS8_jjjS8_jjjj.num_named_barrier, 0
	.set _ZL13mul_mat_vec_qIL9ggml_type29ELi8ELb0ELb0EEvPKvS2_PKi31ggml_cuda_mm_fusion_args_devicePfj15HIP_vector_typeIjLj3EEjjjS8_jjjS8_jjjj.private_seg_size, 0
	.set _ZL13mul_mat_vec_qIL9ggml_type29ELi8ELb0ELb0EEvPKvS2_PKi31ggml_cuda_mm_fusion_args_devicePfj15HIP_vector_typeIjLj3EEjjjS8_jjjS8_jjjj.uses_vcc, 1
	.set _ZL13mul_mat_vec_qIL9ggml_type29ELi8ELb0ELb0EEvPKvS2_PKi31ggml_cuda_mm_fusion_args_devicePfj15HIP_vector_typeIjLj3EEjjjS8_jjjS8_jjjj.uses_flat_scratch, 0
	.set _ZL13mul_mat_vec_qIL9ggml_type29ELi8ELb0ELb0EEvPKvS2_PKi31ggml_cuda_mm_fusion_args_devicePfj15HIP_vector_typeIjLj3EEjjjS8_jjjS8_jjjj.has_dyn_sized_stack, 0
	.set _ZL13mul_mat_vec_qIL9ggml_type29ELi8ELb0ELb0EEvPKvS2_PKi31ggml_cuda_mm_fusion_args_devicePfj15HIP_vector_typeIjLj3EEjjjS8_jjjS8_jjjj.has_recursion, 0
	.set _ZL13mul_mat_vec_qIL9ggml_type29ELi8ELb0ELb0EEvPKvS2_PKi31ggml_cuda_mm_fusion_args_devicePfj15HIP_vector_typeIjLj3EEjjjS8_jjjS8_jjjj.has_indirect_call, 0
	.section	.AMDGPU.csdata,"",@progbits
; Kernel info:
; codeLenInByte = 4048
; TotalNumSgprs: 30
; NumVgprs: 118
; ScratchSize: 0
; MemoryBound: 0
; FloatMode: 240
; IeeeMode: 1
; LDSByteSize: 0 bytes/workgroup (compile time only)
; SGPRBlocks: 0
; VGPRBlocks: 14
; NumSGPRsForWavesPerEU: 30
; NumVGPRsForWavesPerEU: 118
; Occupancy: 8
; WaveLimiterHint : 0
; COMPUTE_PGM_RSRC2:SCRATCH_EN: 0
; COMPUTE_PGM_RSRC2:USER_SGPR: 6
; COMPUTE_PGM_RSRC2:TRAP_HANDLER: 0
; COMPUTE_PGM_RSRC2:TGID_X_EN: 1
; COMPUTE_PGM_RSRC2:TGID_Y_EN: 1
; COMPUTE_PGM_RSRC2:TGID_Z_EN: 1
; COMPUTE_PGM_RSRC2:TIDIG_COMP_CNT: 1
	.section	.text._ZL17mul_mat_vec_q_moeIL9ggml_type20ELi2EEvPKvS2_PKiPfj15HIP_vector_typeIjLj3EEjjjjjjjjj,"axG",@progbits,_ZL17mul_mat_vec_q_moeIL9ggml_type20ELi2EEvPKvS2_PKiPfj15HIP_vector_typeIjLj3EEjjjjjjjjj,comdat
	.globl	_ZL17mul_mat_vec_q_moeIL9ggml_type20ELi2EEvPKvS2_PKiPfj15HIP_vector_typeIjLj3EEjjjjjjjjj ; -- Begin function _ZL17mul_mat_vec_q_moeIL9ggml_type20ELi2EEvPKvS2_PKiPfj15HIP_vector_typeIjLj3EEjjjjjjjjj
	.p2align	8
	.type	_ZL17mul_mat_vec_q_moeIL9ggml_type20ELi2EEvPKvS2_PKiPfj15HIP_vector_typeIjLj3EEjjjjjjjjj,@function
_ZL17mul_mat_vec_q_moeIL9ggml_type20ELi2EEvPKvS2_PKiPfj15HIP_vector_typeIjLj3EEjjjjjjjjj: ; @_ZL17mul_mat_vec_q_moeIL9ggml_type20ELi2EEvPKvS2_PKiPfj15HIP_vector_typeIjLj3EEjjjjjjjjj
; %bb.0:
	s_load_dwordx8 s[16:23], s[4:5], 0x30
	s_mov_b32 s0, exec_lo
	s_waitcnt lgkmcnt(0)
	v_cmpx_gt_u32_e64 s23, v1
	s_cbranch_execz .LBB228_7
; %bb.1:
	s_clause 0x2
	s_load_dword s1, s[4:5], 0x20
	s_load_dword s0, s[4:5], 0x50
	s_load_dwordx8 s[8:15], s[4:5], 0x0
	v_lshrrev_b32_e32 v8, 1, v0
	v_mov_b32_e32 v2, 0
	v_mov_b32_e32 v3, 0
	s_mov_b32 s2, s7
	s_waitcnt lgkmcnt(0)
	s_lshr_b32 s3, s1, 5
	s_lshl_b32 s1, s6, 1
	s_mov_b32 s6, exec_lo
	v_cmpx_gt_u32_e64 s3, v8
	s_cbranch_execz .LBB228_5
; %bb.2:
	v_mad_u64_u32 v[2:3], null, s0, v1, s[2:3]
	v_mov_b32_e32 v3, 0
	s_load_dwordx4 s[24:27], s[4:5], 0x24
	v_lshrrev_b32_e32 v10, 1, v0
	v_lshlrev_b32_e32 v6, 2, v0
	s_add_i32 s0, s1, 1
	v_and_b32_e32 v7, 1, v0
	v_lshlrev_b64 v[4:5], 2, v[2:3]
	s_mov_b32 s7, 0x71594535
	v_and_b32_e32 v12, 4, v6
	v_lshlrev_b32_e32 v9, 3, v7
	v_add_co_u32 v4, vcc_lo, s12, v4
	v_add_co_ci_u32_e64 v5, null, s13, v5, vcc_lo
	global_load_dword v2, v[4:5], off
	v_mul_lo_u32 v4, s18, v1
	s_waitcnt lgkmcnt(0)
	s_mul_hi_u32 s4, s24, s2
	s_add_i32 s4, s2, s4
	s_lshr_b32 s4, s4, s25
	s_mul_i32 s4, s4, s26
	v_mad_u64_u32 v[4:5], null, v4, 36, 0
	s_sub_i32 s4, s2, s4
	s_mul_i32 s4, s4, s21
	s_mul_i32 s5, s4, 36
	s_mul_hi_u32 s4, s4, 36
	v_mad_u64_u32 v[10:11], null, v10, 36, v[4:5]
	s_add_u32 s5, s10, s5
	s_addc_u32 s4, s11, s4
	s_mov_b32 s10, 0x4040404
	s_waitcnt vmcnt(0)
	v_mul_lo_u32 v2, v2, s20
	v_mad_u64_u32 v[4:5], null, s1, s17, v[2:3]
	v_mad_u64_u32 v[5:6], null, s17, s0, v[2:3]
	v_add_co_u32 v6, vcc_lo, s5, v10
	v_add_co_ci_u32_e64 v7, null, s4, v11, vcc_lo
	v_lshlrev_b32_e32 v10, 1, v12
	v_mov_b32_e32 v2, v3
	s_mov_b32 s4, 0
	s_mov_b32 s5, 0xf6eaddcf
.LBB228_3:                              ; =>This Inner Loop Header: Depth=1
	v_add_nc_u32_e32 v13, v4, v8
	v_add_nc_u32_e32 v15, v5, v8
	v_add_co_u32 v11, vcc_lo, v6, v9
	v_add_co_ci_u32_e64 v12, null, 0, v7, vcc_lo
	v_mad_i64_i32 v[13:14], null, v13, 18, s[8:9]
	v_mad_i64_i32 v[15:16], null, v15, 18, s[8:9]
	s_clause 0x1
	global_load_dwordx2 v[17:18], v[11:12], off offset:4
	global_load_dwordx2 v[11:12], v[11:12], off offset:20
	v_add_nc_u32_e32 v8, 16, v8
	v_add_co_u32 v19, vcc_lo, v13, v10
	v_add_co_ci_u32_e64 v20, null, 0, v14, vcc_lo
	v_add_co_u32 v21, vcc_lo, v15, v10
	v_add_co_ci_u32_e64 v22, null, 0, v16, vcc_lo
	s_clause 0x1
	global_load_dwordx2 v[19:20], v[19:20], off offset:2
	global_load_dwordx2 v[21:22], v[21:22], off offset:2
	global_load_dword v23, v[6:7], off
	s_clause 0x1
	global_load_ushort v15, v[15:16], off
	global_load_ushort v13, v[13:14], off
	v_mov_b32_e32 v14, 0
	v_mov_b32_e32 v16, 0
	v_add_co_u32 v6, vcc_lo, 0x240, v6
	v_cmp_le_u32_e64 s0, s3, v8
	v_add_co_ci_u32_e64 v7, null, 0, v7, vcc_lo
	s_or_b32 s4, s0, s4
	s_waitcnt vmcnt(4)
	v_ashrrev_i32_e32 v24, 4, v19
	v_and_b32_e32 v25, 0x7070707, v19
	v_lshrrev_b32_e32 v19, 1, v19
	v_ashrrev_i32_e32 v26, 4, v20
	v_and_b32_e32 v27, 0x7070707, v20
	v_lshrrev_b32_e32 v20, 1, v20
	s_waitcnt vmcnt(3)
	v_ashrrev_i32_e32 v28, 4, v21
	v_and_b32_e32 v29, 0x7070707, v21
	v_lshrrev_b32_e32 v21, 1, v21
	v_perm_b32 v32, s5, 0xbfad9881, v25
	v_and_b32_e32 v33, 0x7070707, v24
	v_perm_b32 v25, s7, 0x26190d01, v25
	v_and_or_b32 v19, v19, s10, 0x3020100
	v_lshrrev_b32_e32 v24, 1, v24
	v_perm_b32 v34, s5, 0xbfad9881, v27
	v_perm_b32 v27, s7, 0x26190d01, v27
	v_and_or_b32 v20, v20, s10, 0x3020100
	v_perm_b32 v36, s5, 0xbfad9881, v29
	v_and_b32_e32 v37, 0x7070707, v28
	v_perm_b32 v29, s7, 0x26190d01, v29
	v_and_or_b32 v21, v21, s10, 0x3020100
	v_lshrrev_b32_e32 v28, 1, v28
	v_ashrrev_i32_e32 v30, 4, v22
	v_and_b32_e32 v31, 0x7070707, v22
	v_lshrrev_b32_e32 v22, 1, v22
	v_perm_b32 v40, s5, 0xbfad9881, v33
	v_perm_b32 v33, s7, 0x26190d01, v33
	;; [unrolled: 1-line block ×3, first 2 shown]
	v_and_or_b32 v24, v24, s10, 0x3020100
	v_perm_b32 v20, v27, v34, v20
	v_perm_b32 v27, s5, 0xbfad9881, v37
	;; [unrolled: 1-line block ×4, first 2 shown]
	v_and_or_b32 v28, v28, s10, 0x3020100
	v_and_b32_e32 v35, 0x7070707, v26
	v_lshrrev_b32_e32 v26, 1, v26
	v_perm_b32 v38, s5, 0xbfad9881, v31
	v_and_b32_e32 v39, 0x7070707, v30
	v_perm_b32 v31, s7, 0x26190d01, v31
	v_and_or_b32 v22, v22, s10, 0x3020100
	v_lshrrev_b32_e32 v30, 1, v30
	v_perm_b32 v24, v33, v40, v24
	v_dot4c_i32_i8 v14, v19, v17
	v_perm_b32 v19, v34, v27, v28
	v_dot4c_i32_i8 v16, v21, v17
	v_perm_b32 v25, s5, 0xbfad9881, v35
	v_perm_b32 v32, s7, 0x26190d01, v35
	v_and_or_b32 v26, v26, s10, 0x3020100
	v_perm_b32 v29, s5, 0xbfad9881, v39
	v_perm_b32 v35, s7, 0x26190d01, v39
	;; [unrolled: 1-line block ×3, first 2 shown]
	v_and_or_b32 v21, v30, s10, 0x3020100
	v_dot4c_i32_i8 v14, v24, v11
	v_dot4c_i32_i8 v16, v19, v11
	v_perm_b32 v11, v32, v25, v26
	s_waitcnt vmcnt(2)
	v_cvt_f32_f16_e32 v23, v23
	v_perm_b32 v19, v35, v29, v21
	v_dot4c_i32_i8 v14, v20, v18
	v_dot4c_i32_i8 v16, v17, v18
	s_waitcnt vmcnt(0)
	v_cvt_f32_f16_e32 v13, v13
	v_cvt_f32_f16_e32 v15, v15
	v_dot4c_i32_i8 v14, v11, v12
	v_dot4c_i32_i8 v16, v19, v12
	v_mul_f32_e32 v11, v13, v23
	v_mul_f32_e32 v12, v15, v23
	v_cvt_f32_i32_e32 v13, v14
	v_cvt_f32_i32_e32 v14, v16
	v_fmac_f32_e32 v3, v11, v13
	v_fmac_f32_e32 v2, v12, v14
	s_andn2_b32 exec_lo, exec_lo, s4
	s_cbranch_execnz .LBB228_3
; %bb.4:
	s_or_b32 exec_lo, exec_lo, s4
.LBB228_5:
	s_or_b32 exec_lo, exec_lo, s6
	v_mbcnt_lo_u32_b32 v4, -1, 0
	v_xor_b32_e32 v5, 16, v4
	v_xor_b32_e32 v7, 8, v4
	v_cmp_gt_i32_e32 vcc_lo, 32, v5
	v_cndmask_b32_e32 v5, v4, v5, vcc_lo
	v_cmp_gt_i32_e32 vcc_lo, 32, v7
	v_lshlrev_b32_e32 v5, 2, v5
	v_cndmask_b32_e32 v7, v4, v7, vcc_lo
	ds_bpermute_b32 v6, v5, v3
	ds_bpermute_b32 v5, v5, v2
	v_lshlrev_b32_e32 v7, 2, v7
	s_waitcnt lgkmcnt(1)
	v_add_f32_e32 v3, v3, v6
	s_waitcnt lgkmcnt(0)
	v_add_f32_e32 v2, v2, v5
	ds_bpermute_b32 v5, v7, v3
	ds_bpermute_b32 v6, v7, v2
	v_xor_b32_e32 v7, 4, v4
	v_cmp_gt_i32_e32 vcc_lo, 32, v7
	v_cndmask_b32_e32 v7, v4, v7, vcc_lo
	v_lshlrev_b32_e32 v7, 2, v7
	s_waitcnt lgkmcnt(1)
	v_add_f32_e32 v3, v3, v5
	s_waitcnt lgkmcnt(0)
	v_add_f32_e32 v2, v2, v6
	ds_bpermute_b32 v5, v7, v3
	ds_bpermute_b32 v6, v7, v2
	v_xor_b32_e32 v7, 2, v4
	v_cmp_gt_i32_e32 vcc_lo, 32, v7
	v_cndmask_b32_e32 v7, v4, v7, vcc_lo
	;; [unrolled: 10-line block ×3, first 2 shown]
	v_cmp_gt_u32_e32 vcc_lo, 2, v0
	v_lshlrev_b32_e32 v7, 2, v4
	s_waitcnt lgkmcnt(1)
	v_add_f32_e32 v2, v3, v2
	s_waitcnt lgkmcnt(0)
	v_add_f32_e32 v3, v5, v6
	v_add_nc_u32_e32 v6, s1, v0
	ds_bpermute_b32 v4, v7, v2
	ds_bpermute_b32 v5, v7, v3
	v_cmp_gt_u32_e64 s0, s16, v6
	s_and_b32 s0, vcc_lo, s0
	s_and_b32 exec_lo, exec_lo, s0
	s_cbranch_execz .LBB228_7
; %bb.6:
	v_mul_lo_u32 v1, s19, v1
	v_or_b32_e32 v6, s1, v0
	s_mul_i32 s0, s22, s2
	v_mov_b32_e32 v7, 0
	s_waitcnt lgkmcnt(1)
	v_add_f32_e32 v4, v2, v4
	s_waitcnt lgkmcnt(0)
	v_add_f32_e32 v3, v3, v5
	v_cmp_eq_u32_e32 vcc_lo, 1, v0
	v_add3_u32 v6, v6, v1, s0
	v_cndmask_b32_e32 v3, v4, v3, vcc_lo
	v_lshlrev_b64 v[1:2], 2, v[6:7]
	v_add_co_u32 v0, vcc_lo, s14, v1
	v_add_co_ci_u32_e64 v1, null, s15, v2, vcc_lo
	global_store_dword v[0:1], v3, off
.LBB228_7:
	s_endpgm
	.section	.rodata,"a",@progbits
	.p2align	6, 0x0
	.amdhsa_kernel _ZL17mul_mat_vec_q_moeIL9ggml_type20ELi2EEvPKvS2_PKiPfj15HIP_vector_typeIjLj3EEjjjjjjjjj
		.amdhsa_group_segment_fixed_size 0
		.amdhsa_private_segment_fixed_size 0
		.amdhsa_kernarg_size 84
		.amdhsa_user_sgpr_count 6
		.amdhsa_user_sgpr_private_segment_buffer 1
		.amdhsa_user_sgpr_dispatch_ptr 0
		.amdhsa_user_sgpr_queue_ptr 0
		.amdhsa_user_sgpr_kernarg_segment_ptr 1
		.amdhsa_user_sgpr_dispatch_id 0
		.amdhsa_user_sgpr_flat_scratch_init 0
		.amdhsa_user_sgpr_private_segment_size 0
		.amdhsa_wavefront_size32 1
		.amdhsa_uses_dynamic_stack 0
		.amdhsa_system_sgpr_private_segment_wavefront_offset 0
		.amdhsa_system_sgpr_workgroup_id_x 1
		.amdhsa_system_sgpr_workgroup_id_y 1
		.amdhsa_system_sgpr_workgroup_id_z 0
		.amdhsa_system_sgpr_workgroup_info 0
		.amdhsa_system_vgpr_workitem_id 1
		.amdhsa_next_free_vgpr 41
		.amdhsa_next_free_sgpr 28
		.amdhsa_reserve_vcc 1
		.amdhsa_reserve_flat_scratch 0
		.amdhsa_float_round_mode_32 0
		.amdhsa_float_round_mode_16_64 0
		.amdhsa_float_denorm_mode_32 3
		.amdhsa_float_denorm_mode_16_64 3
		.amdhsa_dx10_clamp 1
		.amdhsa_ieee_mode 1
		.amdhsa_fp16_overflow 0
		.amdhsa_workgroup_processor_mode 1
		.amdhsa_memory_ordered 1
		.amdhsa_forward_progress 1
		.amdhsa_shared_vgpr_count 0
		.amdhsa_exception_fp_ieee_invalid_op 0
		.amdhsa_exception_fp_denorm_src 0
		.amdhsa_exception_fp_ieee_div_zero 0
		.amdhsa_exception_fp_ieee_overflow 0
		.amdhsa_exception_fp_ieee_underflow 0
		.amdhsa_exception_fp_ieee_inexact 0
		.amdhsa_exception_int_div_zero 0
	.end_amdhsa_kernel
	.section	.text._ZL17mul_mat_vec_q_moeIL9ggml_type20ELi2EEvPKvS2_PKiPfj15HIP_vector_typeIjLj3EEjjjjjjjjj,"axG",@progbits,_ZL17mul_mat_vec_q_moeIL9ggml_type20ELi2EEvPKvS2_PKiPfj15HIP_vector_typeIjLj3EEjjjjjjjjj,comdat
.Lfunc_end228:
	.size	_ZL17mul_mat_vec_q_moeIL9ggml_type20ELi2EEvPKvS2_PKiPfj15HIP_vector_typeIjLj3EEjjjjjjjjj, .Lfunc_end228-_ZL17mul_mat_vec_q_moeIL9ggml_type20ELi2EEvPKvS2_PKiPfj15HIP_vector_typeIjLj3EEjjjjjjjjj
                                        ; -- End function
	.set _ZL17mul_mat_vec_q_moeIL9ggml_type20ELi2EEvPKvS2_PKiPfj15HIP_vector_typeIjLj3EEjjjjjjjjj.num_vgpr, 41
	.set _ZL17mul_mat_vec_q_moeIL9ggml_type20ELi2EEvPKvS2_PKiPfj15HIP_vector_typeIjLj3EEjjjjjjjjj.num_agpr, 0
	.set _ZL17mul_mat_vec_q_moeIL9ggml_type20ELi2EEvPKvS2_PKiPfj15HIP_vector_typeIjLj3EEjjjjjjjjj.numbered_sgpr, 28
	.set _ZL17mul_mat_vec_q_moeIL9ggml_type20ELi2EEvPKvS2_PKiPfj15HIP_vector_typeIjLj3EEjjjjjjjjj.num_named_barrier, 0
	.set _ZL17mul_mat_vec_q_moeIL9ggml_type20ELi2EEvPKvS2_PKiPfj15HIP_vector_typeIjLj3EEjjjjjjjjj.private_seg_size, 0
	.set _ZL17mul_mat_vec_q_moeIL9ggml_type20ELi2EEvPKvS2_PKiPfj15HIP_vector_typeIjLj3EEjjjjjjjjj.uses_vcc, 1
	.set _ZL17mul_mat_vec_q_moeIL9ggml_type20ELi2EEvPKvS2_PKiPfj15HIP_vector_typeIjLj3EEjjjjjjjjj.uses_flat_scratch, 0
	.set _ZL17mul_mat_vec_q_moeIL9ggml_type20ELi2EEvPKvS2_PKiPfj15HIP_vector_typeIjLj3EEjjjjjjjjj.has_dyn_sized_stack, 0
	.set _ZL17mul_mat_vec_q_moeIL9ggml_type20ELi2EEvPKvS2_PKiPfj15HIP_vector_typeIjLj3EEjjjjjjjjj.has_recursion, 0
	.set _ZL17mul_mat_vec_q_moeIL9ggml_type20ELi2EEvPKvS2_PKiPfj15HIP_vector_typeIjLj3EEjjjjjjjjj.has_indirect_call, 0
	.section	.AMDGPU.csdata,"",@progbits
; Kernel info:
; codeLenInByte = 1420
; TotalNumSgprs: 30
; NumVgprs: 41
; ScratchSize: 0
; MemoryBound: 0
; FloatMode: 240
; IeeeMode: 1
; LDSByteSize: 0 bytes/workgroup (compile time only)
; SGPRBlocks: 0
; VGPRBlocks: 5
; NumSGPRsForWavesPerEU: 30
; NumVGPRsForWavesPerEU: 41
; Occupancy: 16
; WaveLimiterHint : 1
; COMPUTE_PGM_RSRC2:SCRATCH_EN: 0
; COMPUTE_PGM_RSRC2:USER_SGPR: 6
; COMPUTE_PGM_RSRC2:TRAP_HANDLER: 0
; COMPUTE_PGM_RSRC2:TGID_X_EN: 1
; COMPUTE_PGM_RSRC2:TGID_Y_EN: 1
; COMPUTE_PGM_RSRC2:TGID_Z_EN: 0
; COMPUTE_PGM_RSRC2:TIDIG_COMP_CNT: 1
	.section	.text._ZL13mul_mat_vec_qIL9ggml_type20ELi1ELb1ELb1EEvPKvS2_PKi31ggml_cuda_mm_fusion_args_devicePfj15HIP_vector_typeIjLj3EEjjjS8_jjjS8_jjjj,"axG",@progbits,_ZL13mul_mat_vec_qIL9ggml_type20ELi1ELb1ELb1EEvPKvS2_PKi31ggml_cuda_mm_fusion_args_devicePfj15HIP_vector_typeIjLj3EEjjjS8_jjjS8_jjjj,comdat
	.globl	_ZL13mul_mat_vec_qIL9ggml_type20ELi1ELb1ELb1EEvPKvS2_PKi31ggml_cuda_mm_fusion_args_devicePfj15HIP_vector_typeIjLj3EEjjjS8_jjjS8_jjjj ; -- Begin function _ZL13mul_mat_vec_qIL9ggml_type20ELi1ELb1ELb1EEvPKvS2_PKi31ggml_cuda_mm_fusion_args_devicePfj15HIP_vector_typeIjLj3EEjjjS8_jjjS8_jjjj
	.p2align	8
	.type	_ZL13mul_mat_vec_qIL9ggml_type20ELi1ELb1ELb1EEvPKvS2_PKi31ggml_cuda_mm_fusion_args_devicePfj15HIP_vector_typeIjLj3EEjjjS8_jjjS8_jjjj,@function
_ZL13mul_mat_vec_qIL9ggml_type20ELi1ELb1ELb1EEvPKvS2_PKi31ggml_cuda_mm_fusion_args_devicePfj15HIP_vector_typeIjLj3EEjjjS8_jjjS8_jjjj: ; @_ZL13mul_mat_vec_qIL9ggml_type20ELi1ELb1ELb1EEvPKvS2_PKi31ggml_cuda_mm_fusion_args_devicePfj15HIP_vector_typeIjLj3EEjjjS8_jjjS8_jjjj
; %bb.0:
	s_clause 0x3
	s_load_dwordx8 s[12:19], s[4:5], 0x0
	s_load_dwordx4 s[28:31], s[4:5], 0x20
	s_load_dwordx4 s[36:39], s[4:5], 0x40
	;; [unrolled: 1-line block ×3, first 2 shown]
	s_mov_b32 s10, s7
	s_waitcnt lgkmcnt(0)
	s_cmp_lg_u64 s[16:17], 0
	s_cselect_b32 s0, -1, 0
	s_cmp_eq_u64 s[16:17], 0
	s_cbranch_scc1 .LBB229_5
; %bb.1:
	s_mov_b32 s11, 0
	s_lshl_b64 s[2:3], s[10:11], 2
	s_add_u32 s2, s16, s2
	s_addc_u32 s3, s17, s3
	s_load_dword s33, s[2:3], 0x0
	s_clause 0x1
	s_load_dword s34, s[4:5], 0x50
	s_load_dword s35, s[4:5], 0x78
	s_cbranch_execnz .LBB229_3
.LBB229_2:
	s_load_dwordx2 s[2:3], s[4:5], 0x5c
	s_waitcnt lgkmcnt(0)
	s_mul_hi_u32 s1, s2, s10
	s_add_i32 s1, s10, s1
	s_lshr_b32 s33, s1, s3
.LBB229_3:
	s_andn2_b32 vcc_lo, exec_lo, s0
	s_cbranch_vccnz .LBB229_6
; %bb.4:
	s_mul_hi_u32 s0, s37, s10
	s_waitcnt lgkmcnt(0)
	s_mov_b32 s1, s33
	s_add_i32 s0, s10, s0
	s_lshr_b32 s0, s0, s38
	s_mul_i32 s0, s0, s39
	s_sub_i32 s11, s10, s0
	s_branch .LBB229_7
.LBB229_5:
                                        ; implicit-def: $sgpr33
	s_clause 0x1
	s_load_dword s34, s[4:5], 0x50
	s_load_dword s35, s[4:5], 0x78
	s_branch .LBB229_2
.LBB229_6:
	s_mov_b32 s1, s10
	s_mov_b32 s11, s10
.LBB229_7:
	s_load_dwordx4 s[24:27], s[4:5], 0x80
	v_or_b32_e32 v2, v0, v1
	s_cmp_lg_u64 s[18:19], 0
	v_mov_b32_e32 v10, 0
	v_mov_b32_e32 v11, 0
	s_cselect_b32 s0, -1, 0
	v_cmp_eq_u32_e32 vcc_lo, 0, v2
	s_mov_b32 s17, 0
	s_mul_i32 s2, s1, s22
	s_and_b32 s3, s0, vcc_lo
	s_and_saveexec_b32 s1, s3
	s_cbranch_execz .LBB229_9
; %bb.8:
	s_waitcnt lgkmcnt(0)
	s_mul_i32 s16, s26, s8
	s_mov_b32 s3, s17
	s_lshl_b64 s[38:39], s[16:17], 2
	v_lshlrev_b32_e32 v2, 2, v0
	s_add_u32 s7, s18, s38
	s_addc_u32 s9, s19, s39
	s_lshl_b64 s[16:17], s[2:3], 2
	s_add_u32 s3, s7, s16
	s_addc_u32 s9, s9, s17
	s_ashr_i32 s7, s6, 31
	s_lshl_b64 s[16:17], s[6:7], 2
	s_add_u32 s16, s3, s16
	s_addc_u32 s17, s9, s17
	global_load_dword v11, v2, s[16:17]
.LBB229_9:
	s_or_b32 exec_lo, exec_lo, s1
	s_cmp_lg_u64 s[28:29], 0
	s_cselect_b32 s9, -1, 0
	s_cmp_lg_u64 s[30:31], 0
	s_cselect_b32 s1, -1, 0
	s_and_b32 s3, s1, s9
	s_and_b32 s3, s3, vcc_lo
	s_and_saveexec_b32 s16, s3
	s_cbranch_execz .LBB229_11
; %bb.10:
	s_waitcnt lgkmcnt(0)
	s_mul_i32 s18, s26, s8
	s_mov_b32 s19, 0
	v_lshlrev_b32_e32 v2, 2, v0
	s_lshl_b64 s[38:39], s[18:19], 2
	s_mov_b32 s3, s19
	s_add_u32 s7, s30, s38
	s_addc_u32 s17, s31, s39
	s_lshl_b64 s[2:3], s[2:3], 2
	s_add_u32 s18, s7, s2
	s_addc_u32 s17, s17, s3
	s_ashr_i32 s7, s6, 31
	s_lshl_b64 s[2:3], s[6:7], 2
	s_add_u32 s2, s18, s2
	s_addc_u32 s3, s17, s3
	global_load_dword v10, v2, s[2:3]
.LBB229_11:
	s_or_b32 exec_lo, exec_lo, s16
	v_lshl_or_b32 v2, v1, 5, v0
	v_mov_b32_e32 v14, 0
	v_cndmask_b32_e64 v12, 0, 1, s9
	v_mov_b32_e32 v13, 0
	s_lshr_b32 s3, s36, 5
	v_lshrrev_b16 v3, 1, v2
	s_mov_b32 s7, exec_lo
	v_and_b32_e32 v15, 0xffff, v3
	v_cmpx_gt_u32_e64 s3, v15
	s_cbranch_execz .LBB229_17
; %bb.12:
	s_mul_hi_u32 s2, s23, s8
	s_waitcnt lgkmcnt(0)
	s_mul_i32 s34, s34, s6
	s_add_i32 s2, s8, s2
	s_mul_i32 s16, s25, s8
	s_lshr_b32 s2, s2, s35
	s_mul_i32 s17, s33, s20
	s_mul_i32 s2, s2, s24
	v_lshlrev_b32_e32 v3, 2, v0
	s_add_i32 s2, s2, s34
	s_mul_i32 s18, s11, s21
	s_add_i32 s11, s17, s2
	s_mul_i32 s17, s16, 36
	s_mul_hi_u32 s16, s16, 36
	v_lshrrev_b32_e32 v2, 1, v2
	s_mul_hi_u32 s2, s18, 36
	s_mul_i32 s18, s18, 36
	s_add_u32 s14, s14, s17
	s_addc_u32 s15, s15, s16
	s_add_u32 s14, s14, s18
	v_and_b32_e32 v4, 1, v0
	v_and_b32_e32 v5, 4, v3
	s_addc_u32 s15, s15, s2
	v_mov_b32_e32 v14, 0
	v_mad_u64_u32 v[2:3], null, v2, 36, s[14:15]
	v_lshlrev_b32_e32 v16, 3, v4
	v_lshlrev_b32_e32 v17, 1, v5
	v_mov_b32_e32 v13, 0
	s_mov_b32 s14, 0
	s_mov_b32 s15, 0xf6eaddcf
	;; [unrolled: 1-line block ×4, first 2 shown]
	s_branch .LBB229_14
.LBB229_13:                             ;   in Loop: Header=BB229_14 Depth=1
	s_waitcnt vmcnt(1)
	v_ashrrev_i32_e32 v20, 4, v8
	v_and_b32_e32 v21, 0x7070707, v8
	v_lshrrev_b32_e32 v8, 1, v8
	v_mov_b32_e32 v25, 0
	v_add_nc_u32_e32 v15, 16, v15
	v_and_b32_e32 v22, 0x7070707, v20
	v_perm_b32 v23, s15, 0xbfad9881, v21
	v_perm_b32 v21, s16, 0x26190d01, v21
	v_and_or_b32 v8, v8, s17, 0x3020100
	v_lshrrev_b32_e32 v20, 1, v20
	v_perm_b32 v24, s15, 0xbfad9881, v22
	v_perm_b32 v22, s16, 0x26190d01, v22
	v_cmp_le_u32_e32 vcc_lo, s3, v15
	v_perm_b32 v8, v21, v23, v8
	v_and_or_b32 v20, v20, s17, 0x3020100
	v_and_b32_e32 v21, 0x7070707, v9
	v_ashrrev_i32_e32 v23, 4, v9
	v_add_co_u32 v2, s2, 0x240, v2
	v_dot4c_i32_i8 v25, v8, v6
	v_lshrrev_b32_e32 v6, 1, v9
	v_perm_b32 v20, v22, v24, v20
	v_perm_b32 v8, s15, 0xbfad9881, v21
	v_and_b32_e32 v9, 0x7070707, v23
	v_perm_b32 v21, s16, 0x26190d01, v21
	v_lshrrev_b32_e32 v22, 1, v23
	v_and_or_b32 v6, v6, s17, 0x3020100
	v_dot4c_i32_i8 v25, v20, v4
	v_perm_b32 v4, s15, 0xbfad9881, v9
	v_perm_b32 v9, s16, 0x26190d01, v9
	v_and_or_b32 v20, v22, s17, 0x3020100
	v_perm_b32 v6, v21, v8, v6
	v_add_co_ci_u32_e64 v3, null, 0, v3, s2
	s_or_b32 s14, vcc_lo, s14
	v_perm_b32 v4, v9, v4, v20
	v_dot4c_i32_i8 v25, v6, v7
	s_waitcnt vmcnt(0)
	v_cvt_f32_f16_e32 v6, v19
	v_dot4c_i32_i8 v25, v4, v5
	v_mul_f32_e32 v4, v6, v18
	v_cvt_f32_i32_e32 v5, v25
	v_fmac_f32_e32 v14, v4, v5
	s_andn2_b32 exec_lo, exec_lo, s14
	s_cbranch_execz .LBB229_16
.LBB229_14:                             ; =>This Inner Loop Header: Depth=1
	v_add_nc_u32_e32 v20, s11, v15
	v_add_co_u32 v4, vcc_lo, v2, v16
	v_add_co_ci_u32_e64 v5, null, 0, v3, vcc_lo
	v_mad_i64_i32 v[18:19], null, v20, 18, s[12:13]
	v_add_co_u32 v8, vcc_lo, v18, v17
	v_add_co_ci_u32_e64 v9, null, 0, v19, vcc_lo
	s_clause 0x2
	global_load_dword v21, v[2:3], off
	global_load_dwordx2 v[6:7], v[4:5], off offset:4
	global_load_dwordx2 v[4:5], v[4:5], off offset:20
	s_clause 0x1
	global_load_dwordx2 v[8:9], v[8:9], off offset:2
	global_load_ushort v19, v[18:19], off
	s_andn2_b32 vcc_lo, exec_lo, s9
	s_waitcnt vmcnt(4)
	v_cvt_f32_f16_e32 v18, v21
	s_cbranch_vccnz .LBB229_13
; %bb.15:                               ;   in Loop: Header=BB229_14 Depth=1
	v_mad_i64_i32 v[20:21], null, v20, 18, s[28:29]
	v_add_co_u32 v22, vcc_lo, v20, v17
	v_add_co_ci_u32_e64 v23, null, 0, v21, vcc_lo
	s_clause 0x1
	global_load_dwordx2 v[22:23], v[22:23], off offset:2
	global_load_ushort v20, v[20:21], off
	v_mov_b32_e32 v21, 0
	s_waitcnt vmcnt(1)
	v_ashrrev_i32_e32 v24, 4, v22
	v_and_b32_e32 v25, 0x7070707, v22
	v_lshrrev_b32_e32 v22, 1, v22
	v_ashrrev_i32_e32 v26, 4, v23
	v_and_b32_e32 v27, 0x7070707, v23
	v_and_b32_e32 v29, 0x7070707, v24
	v_perm_b32 v28, s15, 0xbfad9881, v25
	v_perm_b32 v25, s16, 0x26190d01, v25
	v_lshrrev_b32_e32 v24, 1, v24
	v_and_or_b32 v22, v22, s17, 0x3020100
	v_lshrrev_b32_e32 v23, 1, v23
	v_perm_b32 v31, s15, 0xbfad9881, v29
	v_perm_b32 v29, s16, 0x26190d01, v29
	v_and_or_b32 v24, v24, s17, 0x3020100
	v_perm_b32 v22, v25, v28, v22
	v_perm_b32 v30, s15, 0xbfad9881, v27
	v_and_b32_e32 v25, 0x7070707, v26
	v_perm_b32 v27, s16, 0x26190d01, v27
	v_lshrrev_b32_e32 v26, 1, v26
	v_perm_b32 v24, v29, v31, v24
	v_dot4c_i32_i8 v21, v22, v6
	v_and_or_b32 v22, v23, s17, 0x3020100
	v_perm_b32 v23, s15, 0xbfad9881, v25
	v_perm_b32 v25, s16, 0x26190d01, v25
	v_and_or_b32 v26, v26, s17, 0x3020100
	v_dot4c_i32_i8 v21, v24, v4
	v_perm_b32 v22, v27, v30, v22
	s_waitcnt vmcnt(0)
	v_cvt_f32_f16_e32 v20, v20
	v_perm_b32 v23, v25, v23, v26
	v_dot4c_i32_i8 v21, v22, v7
	v_mul_f32_e32 v20, v18, v20
	v_dot4c_i32_i8 v21, v23, v5
	v_cvt_f32_i32_e32 v21, v21
	v_fmac_f32_e32 v13, v20, v21
	s_branch .LBB229_13
.LBB229_16:
	s_or_b32 exec_lo, exec_lo, s14
.LBB229_17:
	s_or_b32 exec_lo, exec_lo, s7
	s_load_dword s2, s[4:5], 0x30
	s_waitcnt vmcnt(0) lgkmcnt(0)
	; wave barrier
	buffer_gl0_inv
	s_mov_b32 s3, exec_lo
	v_cmpx_eq_u32_e32 0, v1
	s_cbranch_execz .LBB229_44
; %bb.18:
	v_mbcnt_lo_u32_b32 v2, -1, 0
	v_xor_b32_e32 v1, 16, v2
	v_xor_b32_e32 v4, 8, v2
	;; [unrolled: 1-line block ×3, first 2 shown]
	v_cmp_gt_i32_e32 vcc_lo, 32, v1
	v_cndmask_b32_e32 v1, v2, v1, vcc_lo
	v_cmp_gt_i32_e32 vcc_lo, 32, v4
	v_lshlrev_b32_e32 v1, 2, v1
	v_cndmask_b32_e32 v4, v2, v4, vcc_lo
	v_cmp_gt_i32_e32 vcc_lo, 32, v5
	ds_bpermute_b32 v3, v1, v14
	v_lshlrev_b32_e32 v4, 2, v4
	v_cndmask_b32_e32 v5, v2, v5, vcc_lo
	v_lshlrev_b32_e32 v5, 2, v5
	s_waitcnt lgkmcnt(0)
	v_add_f32_e32 v3, v14, v3
	ds_bpermute_b32 v6, v4, v3
	s_waitcnt lgkmcnt(0)
	v_add_f32_e32 v3, v3, v6
	v_xor_b32_e32 v6, 2, v2
	ds_bpermute_b32 v7, v5, v3
	v_cmp_gt_i32_e32 vcc_lo, 32, v6
	v_cndmask_b32_e32 v6, v2, v6, vcc_lo
	v_lshlrev_b32_e32 v6, 2, v6
	s_waitcnt lgkmcnt(0)
	v_add_f32_e32 v3, v3, v7
	v_xor_b32_e32 v7, 1, v2
	ds_bpermute_b32 v8, v6, v3
	v_cmp_gt_i32_e32 vcc_lo, 32, v7
	v_cndmask_b32_e32 v2, v2, v7, vcc_lo
	v_cmp_ne_u32_e32 vcc_lo, 1, v12
	v_lshlrev_b32_e32 v7, 2, v2
	s_waitcnt lgkmcnt(0)
	v_add_f32_e32 v2, v3, v8
	ds_bpermute_b32 v3, v7, v2
	s_cbranch_vccnz .LBB229_20
; %bb.19:
	ds_bpermute_b32 v1, v1, v13
	s_waitcnt lgkmcnt(0)
	v_add_f32_e32 v1, v13, v1
	ds_bpermute_b32 v4, v4, v1
	s_waitcnt lgkmcnt(0)
	v_add_f32_e32 v1, v1, v4
	;; [unrolled: 3-line block ×5, first 2 shown]
.LBB229_20:
	v_cmp_eq_u32_e32 vcc_lo, 0, v0
	s_and_b32 exec_lo, exec_lo, vcc_lo
	s_cbranch_execz .LBB229_44
; %bb.21:
	s_waitcnt lgkmcnt(0)
	v_add_f32_e32 v1, v2, v3
	v_cmp_ne_u32_e32 vcc_lo, 1, v12
	v_add_f32_e32 v2, v11, v1
	v_cndmask_b32_e64 v1, v1, v2, s0
	s_cbranch_vccnz .LBB229_43
; %bb.22:
	v_add_f32_e32 v2, v10, v13
	s_cmp_lt_i32 s2, 2
	s_mov_b32 s0, 0
	v_cndmask_b32_e64 v2, v13, v2, s1
	s_cbranch_scc1 .LBB229_26
; %bb.23:
	s_cmp_gt_i32 s2, 2
	s_cbranch_scc0 .LBB229_27
; %bb.24:
	s_cmp_eq_u32 s2, 3
	s_cbranch_scc0 .LBB229_28
; %bb.25:
	v_max_f32_e32 v3, v2, v2
	s_mov_b32 s1, 0
	v_min_f32_e32 v3, 0x40e00000, v3
	v_mul_f32_e32 v4, 0xbfd9db23, v3
	v_mul_f32_e32 v5, 0x3fb8aa3b, v4
	v_cmp_ngt_f32_e32 vcc_lo, 0xc2ce8ed0, v4
	v_fma_f32 v6, 0x3fb8aa3b, v4, -v5
	v_rndne_f32_e32 v7, v5
	v_fmamk_f32 v6, v4, 0x32a5705f, v6
	v_sub_f32_e32 v5, v5, v7
	v_add_f32_e32 v5, v5, v6
	v_cvt_i32_f32_e32 v6, v7
	v_exp_f32_e32 v5, v5
	v_ldexp_f32 v5, v5, v6
	v_cndmask_b32_e32 v5, 0, v5, vcc_lo
	v_cmp_nlt_f32_e32 vcc_lo, 0x42b17218, v4
	v_cndmask_b32_e32 v4, 0x7f800000, v5, vcc_lo
	v_add_f32_e32 v4, 1.0, v4
	v_div_scale_f32 v5, null, v4, v4, v3
	v_div_scale_f32 v8, vcc_lo, v3, v4, v3
	v_rcp_f32_e32 v6, v5
	v_fma_f32 v7, -v5, v6, 1.0
	v_fmac_f32_e32 v6, v7, v6
	v_mul_f32_e32 v7, v8, v6
	v_fma_f32 v9, -v5, v7, v8
	v_fmac_f32_e32 v7, v9, v6
	v_max_f32_e32 v9, v1, v1
	v_fma_f32 v5, -v5, v7, v8
	v_min_f32_e32 v8, 0x40e00000, v9
	v_div_fmas_f32 v5, v5, v6, v7
	v_max_f32_e32 v6, 0xc0e00000, v8
	v_div_fixup_f32 v3, v5, v4, v3
	v_add_f32_e32 v4, 1.0, v6
	v_mul_f32_e32 v3, v4, v3
	s_branch .LBB229_29
.LBB229_26:
	s_mov_b32 s1, 0
                                        ; implicit-def: $vgpr3
	s_cbranch_execnz .LBB229_33
	s_branch .LBB229_34
.LBB229_27:
	s_mov_b32 s3, -1
	s_mov_b32 s1, 0
                                        ; implicit-def: $vgpr3
	s_branch .LBB229_30
.LBB229_28:
	s_mov_b32 s1, -1
                                        ; implicit-def: $vgpr3
.LBB229_29:
	s_mov_b32 s3, 0
.LBB229_30:
	s_and_b32 vcc_lo, exec_lo, s3
	s_cbranch_vccz .LBB229_32
; %bb.31:
	v_mul_f32_e32 v3, 0xbfb8aa3b, v2
	v_cmp_nlt_f32_e32 vcc_lo, 0x42ce8ed0, v2
	v_rndne_f32_e32 v4, v3
	v_fma_f32 v5, 0xbfb8aa3b, v2, -v3
	v_sub_f32_e32 v3, v3, v4
	v_fmamk_f32 v5, v2, 0xb2a5705f, v5
	v_cvt_i32_f32_e32 v4, v4
	v_add_f32_e32 v3, v3, v5
	v_exp_f32_e32 v3, v3
	v_ldexp_f32 v3, v3, v4
	v_cndmask_b32_e32 v3, 0, v3, vcc_lo
	v_cmp_ngt_f32_e32 vcc_lo, 0xc2b17218, v2
	v_cndmask_b32_e32 v3, 0x7f800000, v3, vcc_lo
	v_add_f32_e32 v3, 1.0, v3
	v_div_scale_f32 v4, null, v3, v3, v2
	v_rcp_f32_e32 v5, v4
	v_fma_f32 v6, -v4, v5, 1.0
	v_fmac_f32_e32 v5, v6, v5
	v_div_scale_f32 v6, vcc_lo, v2, v3, v2
	v_mul_f32_e32 v7, v6, v5
	v_fma_f32 v8, -v4, v7, v6
	v_fmac_f32_e32 v7, v8, v5
	v_fma_f32 v4, -v4, v7, v6
	v_div_fmas_f32 v4, v4, v5, v7
	v_div_fixup_f32 v3, v4, v3, v2
	v_mul_f32_e32 v3, v1, v3
.LBB229_32:
	s_branch .LBB229_34
.LBB229_33:
	s_cmp_lg_u32 s2, 1
	s_mov_b32 s0, -1
	s_cselect_b32 s1, -1, 0
.LBB229_34:
	s_andn2_b32 vcc_lo, exec_lo, s1
	s_cbranch_vccz .LBB229_36
; %bb.35:
	s_andn2_b32 vcc_lo, exec_lo, s0
	s_cbranch_vccz .LBB229_37
	s_branch .LBB229_42
.LBB229_36:
	v_mul_f32_e32 v3, v2, v1
	s_cbranch_execnz .LBB229_42
.LBB229_37:
	v_mul_f32_e32 v3, 0x3d372713, v2
	v_mul_f32_e32 v4, 0x3f4c422a, v2
	v_fma_f32 v3, v2, v3, 1.0
	v_mul_f32_e32 v3, v4, v3
                                        ; implicit-def: $vgpr4
	v_cmp_ngt_f32_e64 s0, 0x3f200000, |v3|
	s_and_saveexec_b32 s1, s0
	s_xor_b32 s0, exec_lo, s1
	s_cbranch_execz .LBB229_39
; %bb.38:
	v_add_f32_e64 v4, |v3|, |v3|
	v_mul_f32_e32 v5, 0x3fb8aa3b, v4
	v_cmp_ngt_f32_e32 vcc_lo, 0xc2ce8ed0, v4
	v_rndne_f32_e32 v6, v5
	v_fma_f32 v7, 0x3fb8aa3b, v4, -v5
	v_sub_f32_e32 v5, v5, v6
	v_fmamk_f32 v7, v4, 0x32a5705f, v7
	v_cvt_i32_f32_e32 v6, v6
	v_add_f32_e32 v5, v5, v7
	v_exp_f32_e32 v5, v5
	v_ldexp_f32 v5, v5, v6
	v_cndmask_b32_e32 v5, 0, v5, vcc_lo
	v_cmp_nlt_f32_e32 vcc_lo, 0x42b17218, v4
	v_cndmask_b32_e32 v4, 0x7f800000, v5, vcc_lo
	v_add_f32_e32 v4, 1.0, v4
	v_rcp_f32_e32 v4, v4
	v_fma_f32 v4, v4, -2.0, 1.0
.LBB229_39:
	s_andn2_saveexec_b32 s0, s0
	s_cbranch_execz .LBB229_41
; %bb.40:
	v_mul_f32_e32 v4, v3, v3
	s_mov_b32 s1, 0xbbbac73d
	v_fmaak_f32 v5, s1, v4, 0x3ca908c9
	v_fmaak_f32 v5, v4, v5, 0xbd5c1c4e
	;; [unrolled: 1-line block ×4, first 2 shown]
	v_mul_f32_e64 v5, |v3|, v5
	v_fma_f32 v4, v4, v5, |v3|
.LBB229_41:
	s_or_b32 exec_lo, exec_lo, s0
	v_bfi_b32 v3, 0x7fffffff, v4, v3
	v_mul_f32_e32 v2, 0.5, v2
	v_add_f32_e32 v3, 1.0, v3
	v_mul_f32_e32 v2, v2, v3
	v_mul_f32_e32 v3, v1, v2
.LBB229_42:
	v_mov_b32_e32 v1, v3
.LBB229_43:
	s_load_dwordx2 s[0:1], s[4:5], 0x38
	s_mul_i32 s2, s22, s10
	s_mul_i32 s3, s26, s8
	s_add_i32 s2, s2, s6
	v_lshlrev_b32_e32 v0, 2, v0
	s_add_i32 s2, s2, s3
	s_mov_b32 s3, 0
	s_lshl_b64 s[2:3], s[2:3], 2
	s_waitcnt lgkmcnt(0)
	s_add_u32 s0, s0, s2
	s_addc_u32 s1, s1, s3
	global_store_dword v0, v1, s[0:1]
.LBB229_44:
	s_endpgm
	.section	.rodata,"a",@progbits
	.p2align	6, 0x0
	.amdhsa_kernel _ZL13mul_mat_vec_qIL9ggml_type20ELi1ELb1ELb1EEvPKvS2_PKi31ggml_cuda_mm_fusion_args_devicePfj15HIP_vector_typeIjLj3EEjjjS8_jjjS8_jjjj
		.amdhsa_group_segment_fixed_size 0
		.amdhsa_private_segment_fixed_size 0
		.amdhsa_kernarg_size 144
		.amdhsa_user_sgpr_count 6
		.amdhsa_user_sgpr_private_segment_buffer 1
		.amdhsa_user_sgpr_dispatch_ptr 0
		.amdhsa_user_sgpr_queue_ptr 0
		.amdhsa_user_sgpr_kernarg_segment_ptr 1
		.amdhsa_user_sgpr_dispatch_id 0
		.amdhsa_user_sgpr_flat_scratch_init 0
		.amdhsa_user_sgpr_private_segment_size 0
		.amdhsa_wavefront_size32 1
		.amdhsa_uses_dynamic_stack 0
		.amdhsa_system_sgpr_private_segment_wavefront_offset 0
		.amdhsa_system_sgpr_workgroup_id_x 1
		.amdhsa_system_sgpr_workgroup_id_y 1
		.amdhsa_system_sgpr_workgroup_id_z 1
		.amdhsa_system_sgpr_workgroup_info 0
		.amdhsa_system_vgpr_workitem_id 1
		.amdhsa_next_free_vgpr 32
		.amdhsa_next_free_sgpr 40
		.amdhsa_reserve_vcc 1
		.amdhsa_reserve_flat_scratch 0
		.amdhsa_float_round_mode_32 0
		.amdhsa_float_round_mode_16_64 0
		.amdhsa_float_denorm_mode_32 3
		.amdhsa_float_denorm_mode_16_64 3
		.amdhsa_dx10_clamp 1
		.amdhsa_ieee_mode 1
		.amdhsa_fp16_overflow 0
		.amdhsa_workgroup_processor_mode 1
		.amdhsa_memory_ordered 1
		.amdhsa_forward_progress 1
		.amdhsa_shared_vgpr_count 0
		.amdhsa_exception_fp_ieee_invalid_op 0
		.amdhsa_exception_fp_denorm_src 0
		.amdhsa_exception_fp_ieee_div_zero 0
		.amdhsa_exception_fp_ieee_overflow 0
		.amdhsa_exception_fp_ieee_underflow 0
		.amdhsa_exception_fp_ieee_inexact 0
		.amdhsa_exception_int_div_zero 0
	.end_amdhsa_kernel
	.section	.text._ZL13mul_mat_vec_qIL9ggml_type20ELi1ELb1ELb1EEvPKvS2_PKi31ggml_cuda_mm_fusion_args_devicePfj15HIP_vector_typeIjLj3EEjjjS8_jjjS8_jjjj,"axG",@progbits,_ZL13mul_mat_vec_qIL9ggml_type20ELi1ELb1ELb1EEvPKvS2_PKi31ggml_cuda_mm_fusion_args_devicePfj15HIP_vector_typeIjLj3EEjjjS8_jjjS8_jjjj,comdat
.Lfunc_end229:
	.size	_ZL13mul_mat_vec_qIL9ggml_type20ELi1ELb1ELb1EEvPKvS2_PKi31ggml_cuda_mm_fusion_args_devicePfj15HIP_vector_typeIjLj3EEjjjS8_jjjS8_jjjj, .Lfunc_end229-_ZL13mul_mat_vec_qIL9ggml_type20ELi1ELb1ELb1EEvPKvS2_PKi31ggml_cuda_mm_fusion_args_devicePfj15HIP_vector_typeIjLj3EEjjjS8_jjjS8_jjjj
                                        ; -- End function
	.set _ZL13mul_mat_vec_qIL9ggml_type20ELi1ELb1ELb1EEvPKvS2_PKi31ggml_cuda_mm_fusion_args_devicePfj15HIP_vector_typeIjLj3EEjjjS8_jjjS8_jjjj.num_vgpr, 32
	.set _ZL13mul_mat_vec_qIL9ggml_type20ELi1ELb1ELb1EEvPKvS2_PKi31ggml_cuda_mm_fusion_args_devicePfj15HIP_vector_typeIjLj3EEjjjS8_jjjS8_jjjj.num_agpr, 0
	.set _ZL13mul_mat_vec_qIL9ggml_type20ELi1ELb1ELb1EEvPKvS2_PKi31ggml_cuda_mm_fusion_args_devicePfj15HIP_vector_typeIjLj3EEjjjS8_jjjS8_jjjj.numbered_sgpr, 40
	.set _ZL13mul_mat_vec_qIL9ggml_type20ELi1ELb1ELb1EEvPKvS2_PKi31ggml_cuda_mm_fusion_args_devicePfj15HIP_vector_typeIjLj3EEjjjS8_jjjS8_jjjj.num_named_barrier, 0
	.set _ZL13mul_mat_vec_qIL9ggml_type20ELi1ELb1ELb1EEvPKvS2_PKi31ggml_cuda_mm_fusion_args_devicePfj15HIP_vector_typeIjLj3EEjjjS8_jjjS8_jjjj.private_seg_size, 0
	.set _ZL13mul_mat_vec_qIL9ggml_type20ELi1ELb1ELb1EEvPKvS2_PKi31ggml_cuda_mm_fusion_args_devicePfj15HIP_vector_typeIjLj3EEjjjS8_jjjS8_jjjj.uses_vcc, 1
	.set _ZL13mul_mat_vec_qIL9ggml_type20ELi1ELb1ELb1EEvPKvS2_PKi31ggml_cuda_mm_fusion_args_devicePfj15HIP_vector_typeIjLj3EEjjjS8_jjjS8_jjjj.uses_flat_scratch, 0
	.set _ZL13mul_mat_vec_qIL9ggml_type20ELi1ELb1ELb1EEvPKvS2_PKi31ggml_cuda_mm_fusion_args_devicePfj15HIP_vector_typeIjLj3EEjjjS8_jjjS8_jjjj.has_dyn_sized_stack, 0
	.set _ZL13mul_mat_vec_qIL9ggml_type20ELi1ELb1ELb1EEvPKvS2_PKi31ggml_cuda_mm_fusion_args_devicePfj15HIP_vector_typeIjLj3EEjjjS8_jjjS8_jjjj.has_recursion, 0
	.set _ZL13mul_mat_vec_qIL9ggml_type20ELi1ELb1ELb1EEvPKvS2_PKi31ggml_cuda_mm_fusion_args_devicePfj15HIP_vector_typeIjLj3EEjjjS8_jjjS8_jjjj.has_indirect_call, 0
	.section	.AMDGPU.csdata,"",@progbits
; Kernel info:
; codeLenInByte = 2540
; TotalNumSgprs: 42
; NumVgprs: 32
; ScratchSize: 0
; MemoryBound: 0
; FloatMode: 240
; IeeeMode: 1
; LDSByteSize: 0 bytes/workgroup (compile time only)
; SGPRBlocks: 0
; VGPRBlocks: 3
; NumSGPRsForWavesPerEU: 42
; NumVGPRsForWavesPerEU: 32
; Occupancy: 16
; WaveLimiterHint : 0
; COMPUTE_PGM_RSRC2:SCRATCH_EN: 0
; COMPUTE_PGM_RSRC2:USER_SGPR: 6
; COMPUTE_PGM_RSRC2:TRAP_HANDLER: 0
; COMPUTE_PGM_RSRC2:TGID_X_EN: 1
; COMPUTE_PGM_RSRC2:TGID_Y_EN: 1
; COMPUTE_PGM_RSRC2:TGID_Z_EN: 1
; COMPUTE_PGM_RSRC2:TIDIG_COMP_CNT: 1
	.section	.text._ZL13mul_mat_vec_qIL9ggml_type20ELi1ELb0ELb1EEvPKvS2_PKi31ggml_cuda_mm_fusion_args_devicePfj15HIP_vector_typeIjLj3EEjjjS8_jjjS8_jjjj,"axG",@progbits,_ZL13mul_mat_vec_qIL9ggml_type20ELi1ELb0ELb1EEvPKvS2_PKi31ggml_cuda_mm_fusion_args_devicePfj15HIP_vector_typeIjLj3EEjjjS8_jjjS8_jjjj,comdat
	.globl	_ZL13mul_mat_vec_qIL9ggml_type20ELi1ELb0ELb1EEvPKvS2_PKi31ggml_cuda_mm_fusion_args_devicePfj15HIP_vector_typeIjLj3EEjjjS8_jjjS8_jjjj ; -- Begin function _ZL13mul_mat_vec_qIL9ggml_type20ELi1ELb0ELb1EEvPKvS2_PKi31ggml_cuda_mm_fusion_args_devicePfj15HIP_vector_typeIjLj3EEjjjS8_jjjS8_jjjj
	.p2align	8
	.type	_ZL13mul_mat_vec_qIL9ggml_type20ELi1ELb0ELb1EEvPKvS2_PKi31ggml_cuda_mm_fusion_args_devicePfj15HIP_vector_typeIjLj3EEjjjS8_jjjS8_jjjj,@function
_ZL13mul_mat_vec_qIL9ggml_type20ELi1ELb0ELb1EEvPKvS2_PKi31ggml_cuda_mm_fusion_args_devicePfj15HIP_vector_typeIjLj3EEjjjS8_jjjS8_jjjj: ; @_ZL13mul_mat_vec_qIL9ggml_type20ELi1ELb0ELb1EEvPKvS2_PKi31ggml_cuda_mm_fusion_args_devicePfj15HIP_vector_typeIjLj3EEjjjS8_jjjS8_jjjj
; %bb.0:
	s_clause 0x1
	s_load_dwordx2 s[0:1], s[4:5], 0x10
	s_load_dwordx4 s[16:19], s[4:5], 0x40
	s_mov_b32 s10, s7
	s_waitcnt lgkmcnt(0)
	s_cmp_lg_u64 s[0:1], 0
	s_cselect_b32 s7, -1, 0
	s_cmp_eq_u64 s[0:1], 0
	s_cbranch_scc1 .LBB230_5
; %bb.1:
	s_mov_b32 s11, 0
	s_lshl_b64 s[2:3], s[10:11], 2
	s_add_u32 s0, s0, s2
	s_addc_u32 s1, s1, s3
	s_load_dword s20, s[0:1], 0x0
	s_clause 0x1
	s_load_dwordx4 s[0:3], s[4:5], 0x68
	s_load_dword s21, s[4:5], 0x50
	s_cbranch_execnz .LBB230_3
.LBB230_2:
	s_load_dwordx2 s[12:13], s[4:5], 0x5c
	s_waitcnt lgkmcnt(0)
	s_mul_hi_u32 s9, s12, s10
	s_add_i32 s9, s10, s9
	s_lshr_b32 s20, s9, s13
.LBB230_3:
	s_load_dword s11, s[4:5], 0x78
	s_andn2_b32 vcc_lo, exec_lo, s7
	s_cbranch_vccnz .LBB230_6
; %bb.4:
	s_mul_hi_u32 s7, s17, s10
	s_add_i32 s7, s10, s7
	s_lshr_b32 s7, s7, s18
	s_mul_i32 s7, s7, s19
	s_sub_i32 s22, s10, s7
	s_branch .LBB230_7
.LBB230_5:
                                        ; implicit-def: $sgpr20
	s_clause 0x1
	s_load_dwordx4 s[0:3], s[4:5], 0x68
	s_load_dword s21, s[4:5], 0x50
	s_branch .LBB230_2
.LBB230_6:
	s_mov_b32 s22, s10
.LBB230_7:
	s_load_dwordx4 s[12:15], s[4:5], 0x80
	v_lshl_or_b32 v2, v1, 5, v0
	v_mov_b32_e32 v4, 0
	s_lshr_b32 s9, s16, 5
	s_mov_b32 s7, exec_lo
	v_lshrrev_b16 v3, 1, v2
	v_and_b32_e32 v5, 0xffff, v3
	v_cmpx_gt_u32_e64 s9, v5
	s_cbranch_execz .LBB230_11
; %bb.8:
	s_load_dwordx4 s[16:19], s[4:5], 0x0
	s_waitcnt lgkmcnt(0)
	s_mul_hi_u32 s3, s3, s8
	s_mul_i32 s21, s21, s6
	s_add_i32 s3, s8, s3
	s_mul_i32 s13, s13, s8
	s_lshr_b32 s3, s3, s11
	s_mul_i32 s0, s20, s0
	s_mul_i32 s3, s3, s12
	v_lshlrev_b32_e32 v3, 2, v0
	s_add_i32 s3, s3, s21
	s_mul_i32 s11, s22, s1
	s_add_i32 s1, s0, s3
	s_mul_i32 s3, s13, 36
	s_mul_hi_u32 s12, s13, 36
	v_lshrrev_b32_e32 v2, 1, v2
	s_mul_hi_u32 s0, s11, 36
	s_mul_i32 s11, s11, 36
	v_and_b32_e32 v7, 4, v3
	v_and_b32_e32 v6, 1, v0
	v_mov_b32_e32 v4, 0
	s_add_u32 s3, s18, s3
	s_addc_u32 s13, s19, s12
	s_add_u32 s12, s3, s11
	s_addc_u32 s13, s13, s0
	v_lshlrev_b32_e32 v6, 3, v6
	v_mad_u64_u32 v[2:3], null, v2, 36, s[12:13]
	v_lshlrev_b32_e32 v7, 1, v7
	s_mov_b32 s3, 0
	s_mov_b32 s11, 0xf6eaddcf
	;; [unrolled: 1-line block ×4, first 2 shown]
.LBB230_9:                              ; =>This Inner Loop Header: Depth=1
	v_add_nc_u32_e32 v8, s1, v5
	v_add_nc_u32_e32 v5, 16, v5
	v_mad_i64_i32 v[8:9], null, v8, 18, s[16:17]
	v_cmp_le_u32_e64 s0, s9, v5
	s_or_b32 s3, s0, s3
	v_add_co_u32 v10, vcc_lo, v8, v7
	v_add_co_ci_u32_e64 v11, null, 0, v9, vcc_lo
	v_add_co_u32 v12, vcc_lo, v2, v6
	v_add_co_ci_u32_e64 v13, null, 0, v3, vcc_lo
	global_load_dwordx2 v[10:11], v[10:11], off offset:2
	s_clause 0x2
	global_load_dwordx2 v[14:15], v[12:13], off offset:4
	global_load_dwordx2 v[12:13], v[12:13], off offset:20
	global_load_dword v16, v[2:3], off
	global_load_ushort v8, v[8:9], off
	v_mov_b32_e32 v9, 0
	v_add_co_u32 v2, vcc_lo, 0x240, v2
	v_add_co_ci_u32_e64 v3, null, 0, v3, vcc_lo
	s_waitcnt vmcnt(4)
	v_ashrrev_i32_e32 v17, 4, v10
	v_and_b32_e32 v18, 0x7070707, v10
	v_lshrrev_b32_e32 v10, 1, v10
	v_ashrrev_i32_e32 v19, 4, v11
	v_and_b32_e32 v20, 0x7070707, v11
	v_and_b32_e32 v22, 0x7070707, v17
	v_perm_b32 v21, s11, 0xbfad9881, v18
	v_perm_b32 v18, s12, 0x26190d01, v18
	v_and_or_b32 v10, v10, s13, 0x3020100
	v_lshrrev_b32_e32 v17, 1, v17
	v_lshrrev_b32_e32 v11, 1, v11
	v_perm_b32 v25, s11, 0xbfad9881, v22
	v_perm_b32 v22, s12, 0x26190d01, v22
	;; [unrolled: 1-line block ×3, first 2 shown]
	v_and_or_b32 v17, v17, s13, 0x3020100
	v_perm_b32 v23, s11, 0xbfad9881, v20
	v_and_b32_e32 v24, 0x7070707, v19
	v_perm_b32 v20, s12, 0x26190d01, v20
	v_and_or_b32 v11, v11, s13, 0x3020100
	v_lshrrev_b32_e32 v18, 1, v19
	v_perm_b32 v17, v22, v25, v17
	s_waitcnt vmcnt(3)
	v_dot4c_i32_i8 v9, v10, v14
	v_perm_b32 v19, s11, 0xbfad9881, v24
	v_perm_b32 v10, s12, 0x26190d01, v24
	;; [unrolled: 1-line block ×3, first 2 shown]
	v_and_or_b32 v14, v18, s13, 0x3020100
	s_waitcnt vmcnt(2)
	v_dot4c_i32_i8 v9, v17, v12
	s_waitcnt vmcnt(0)
	v_cvt_f32_f16_e32 v8, v8
	v_perm_b32 v10, v10, v19, v14
	v_dot4c_i32_i8 v9, v11, v15
	v_cvt_f32_f16_e32 v11, v16
	v_dot4c_i32_i8 v9, v10, v13
	v_mul_f32_e32 v8, v8, v11
	v_cvt_f32_i32_e32 v9, v9
	v_fmac_f32_e32 v4, v8, v9
	s_andn2_b32 exec_lo, exec_lo, s3
	s_cbranch_execnz .LBB230_9
; %bb.10:
	s_or_b32 exec_lo, exec_lo, s3
.LBB230_11:
	s_or_b32 exec_lo, exec_lo, s7
	s_waitcnt lgkmcnt(0)
	; wave barrier
	buffer_gl0_inv
	s_mov_b32 s0, exec_lo
	v_cmpx_eq_u32_e32 0, v1
	s_cbranch_execz .LBB230_14
; %bb.12:
	v_mbcnt_lo_u32_b32 v1, -1, 0
	v_xor_b32_e32 v2, 16, v1
	v_xor_b32_e32 v3, 8, v1
	v_cmp_gt_i32_e32 vcc_lo, 32, v2
	v_cndmask_b32_e32 v2, v1, v2, vcc_lo
	v_cmp_gt_i32_e32 vcc_lo, 32, v3
	v_lshlrev_b32_e32 v2, 2, v2
	v_cndmask_b32_e32 v3, v1, v3, vcc_lo
	ds_bpermute_b32 v2, v2, v4
	v_lshlrev_b32_e32 v3, 2, v3
	s_waitcnt lgkmcnt(0)
	v_add_f32_e32 v2, v4, v2
	v_xor_b32_e32 v4, 4, v1
	ds_bpermute_b32 v3, v3, v2
	v_cmp_gt_i32_e32 vcc_lo, 32, v4
	v_cndmask_b32_e32 v4, v1, v4, vcc_lo
	v_lshlrev_b32_e32 v4, 2, v4
	s_waitcnt lgkmcnt(0)
	v_add_f32_e32 v2, v2, v3
	ds_bpermute_b32 v3, v4, v2
	v_xor_b32_e32 v4, 2, v1
	v_cmp_gt_i32_e32 vcc_lo, 32, v4
	v_cndmask_b32_e32 v4, v1, v4, vcc_lo
	v_lshlrev_b32_e32 v4, 2, v4
	s_waitcnt lgkmcnt(0)
	v_add_f32_e32 v2, v2, v3
	ds_bpermute_b32 v3, v4, v2
	v_xor_b32_e32 v4, 1, v1
	v_cmp_gt_i32_e32 vcc_lo, 32, v4
	v_cndmask_b32_e32 v1, v1, v4, vcc_lo
	v_cmp_eq_u32_e32 vcc_lo, 0, v0
	v_lshlrev_b32_e32 v4, 2, v1
	s_waitcnt lgkmcnt(0)
	v_add_f32_e32 v1, v2, v3
	ds_bpermute_b32 v2, v4, v1
	s_and_b32 exec_lo, exec_lo, vcc_lo
	s_cbranch_execz .LBB230_14
; %bb.13:
	s_load_dwordx2 s[0:1], s[4:5], 0x38
	s_mul_i32 s2, s2, s10
	s_mul_i32 s3, s14, s8
	s_add_i32 s2, s2, s6
	s_waitcnt lgkmcnt(0)
	v_add_f32_e32 v0, v1, v2
	s_add_i32 s2, s2, s3
	s_mov_b32 s3, 0
	v_mov_b32_e32 v1, 0
	s_lshl_b64 s[2:3], s[2:3], 2
	s_add_u32 s0, s0, s2
	s_addc_u32 s1, s1, s3
	global_store_dword v1, v0, s[0:1]
.LBB230_14:
	s_endpgm
	.section	.rodata,"a",@progbits
	.p2align	6, 0x0
	.amdhsa_kernel _ZL13mul_mat_vec_qIL9ggml_type20ELi1ELb0ELb1EEvPKvS2_PKi31ggml_cuda_mm_fusion_args_devicePfj15HIP_vector_typeIjLj3EEjjjS8_jjjS8_jjjj
		.amdhsa_group_segment_fixed_size 0
		.amdhsa_private_segment_fixed_size 0
		.amdhsa_kernarg_size 144
		.amdhsa_user_sgpr_count 6
		.amdhsa_user_sgpr_private_segment_buffer 1
		.amdhsa_user_sgpr_dispatch_ptr 0
		.amdhsa_user_sgpr_queue_ptr 0
		.amdhsa_user_sgpr_kernarg_segment_ptr 1
		.amdhsa_user_sgpr_dispatch_id 0
		.amdhsa_user_sgpr_flat_scratch_init 0
		.amdhsa_user_sgpr_private_segment_size 0
		.amdhsa_wavefront_size32 1
		.amdhsa_uses_dynamic_stack 0
		.amdhsa_system_sgpr_private_segment_wavefront_offset 0
		.amdhsa_system_sgpr_workgroup_id_x 1
		.amdhsa_system_sgpr_workgroup_id_y 1
		.amdhsa_system_sgpr_workgroup_id_z 1
		.amdhsa_system_sgpr_workgroup_info 0
		.amdhsa_system_vgpr_workitem_id 1
		.amdhsa_next_free_vgpr 26
		.amdhsa_next_free_sgpr 23
		.amdhsa_reserve_vcc 1
		.amdhsa_reserve_flat_scratch 0
		.amdhsa_float_round_mode_32 0
		.amdhsa_float_round_mode_16_64 0
		.amdhsa_float_denorm_mode_32 3
		.amdhsa_float_denorm_mode_16_64 3
		.amdhsa_dx10_clamp 1
		.amdhsa_ieee_mode 1
		.amdhsa_fp16_overflow 0
		.amdhsa_workgroup_processor_mode 1
		.amdhsa_memory_ordered 1
		.amdhsa_forward_progress 1
		.amdhsa_shared_vgpr_count 0
		.amdhsa_exception_fp_ieee_invalid_op 0
		.amdhsa_exception_fp_denorm_src 0
		.amdhsa_exception_fp_ieee_div_zero 0
		.amdhsa_exception_fp_ieee_overflow 0
		.amdhsa_exception_fp_ieee_underflow 0
		.amdhsa_exception_fp_ieee_inexact 0
		.amdhsa_exception_int_div_zero 0
	.end_amdhsa_kernel
	.section	.text._ZL13mul_mat_vec_qIL9ggml_type20ELi1ELb0ELb1EEvPKvS2_PKi31ggml_cuda_mm_fusion_args_devicePfj15HIP_vector_typeIjLj3EEjjjS8_jjjS8_jjjj,"axG",@progbits,_ZL13mul_mat_vec_qIL9ggml_type20ELi1ELb0ELb1EEvPKvS2_PKi31ggml_cuda_mm_fusion_args_devicePfj15HIP_vector_typeIjLj3EEjjjS8_jjjS8_jjjj,comdat
.Lfunc_end230:
	.size	_ZL13mul_mat_vec_qIL9ggml_type20ELi1ELb0ELb1EEvPKvS2_PKi31ggml_cuda_mm_fusion_args_devicePfj15HIP_vector_typeIjLj3EEjjjS8_jjjS8_jjjj, .Lfunc_end230-_ZL13mul_mat_vec_qIL9ggml_type20ELi1ELb0ELb1EEvPKvS2_PKi31ggml_cuda_mm_fusion_args_devicePfj15HIP_vector_typeIjLj3EEjjjS8_jjjS8_jjjj
                                        ; -- End function
	.set _ZL13mul_mat_vec_qIL9ggml_type20ELi1ELb0ELb1EEvPKvS2_PKi31ggml_cuda_mm_fusion_args_devicePfj15HIP_vector_typeIjLj3EEjjjS8_jjjS8_jjjj.num_vgpr, 26
	.set _ZL13mul_mat_vec_qIL9ggml_type20ELi1ELb0ELb1EEvPKvS2_PKi31ggml_cuda_mm_fusion_args_devicePfj15HIP_vector_typeIjLj3EEjjjS8_jjjS8_jjjj.num_agpr, 0
	.set _ZL13mul_mat_vec_qIL9ggml_type20ELi1ELb0ELb1EEvPKvS2_PKi31ggml_cuda_mm_fusion_args_devicePfj15HIP_vector_typeIjLj3EEjjjS8_jjjS8_jjjj.numbered_sgpr, 23
	.set _ZL13mul_mat_vec_qIL9ggml_type20ELi1ELb0ELb1EEvPKvS2_PKi31ggml_cuda_mm_fusion_args_devicePfj15HIP_vector_typeIjLj3EEjjjS8_jjjS8_jjjj.num_named_barrier, 0
	.set _ZL13mul_mat_vec_qIL9ggml_type20ELi1ELb0ELb1EEvPKvS2_PKi31ggml_cuda_mm_fusion_args_devicePfj15HIP_vector_typeIjLj3EEjjjS8_jjjS8_jjjj.private_seg_size, 0
	.set _ZL13mul_mat_vec_qIL9ggml_type20ELi1ELb0ELb1EEvPKvS2_PKi31ggml_cuda_mm_fusion_args_devicePfj15HIP_vector_typeIjLj3EEjjjS8_jjjS8_jjjj.uses_vcc, 1
	.set _ZL13mul_mat_vec_qIL9ggml_type20ELi1ELb0ELb1EEvPKvS2_PKi31ggml_cuda_mm_fusion_args_devicePfj15HIP_vector_typeIjLj3EEjjjS8_jjjS8_jjjj.uses_flat_scratch, 0
	.set _ZL13mul_mat_vec_qIL9ggml_type20ELi1ELb0ELb1EEvPKvS2_PKi31ggml_cuda_mm_fusion_args_devicePfj15HIP_vector_typeIjLj3EEjjjS8_jjjS8_jjjj.has_dyn_sized_stack, 0
	.set _ZL13mul_mat_vec_qIL9ggml_type20ELi1ELb0ELb1EEvPKvS2_PKi31ggml_cuda_mm_fusion_args_devicePfj15HIP_vector_typeIjLj3EEjjjS8_jjjS8_jjjj.has_recursion, 0
	.set _ZL13mul_mat_vec_qIL9ggml_type20ELi1ELb0ELb1EEvPKvS2_PKi31ggml_cuda_mm_fusion_args_devicePfj15HIP_vector_typeIjLj3EEjjjS8_jjjS8_jjjj.has_indirect_call, 0
	.section	.AMDGPU.csdata,"",@progbits
; Kernel info:
; codeLenInByte = 1076
; TotalNumSgprs: 25
; NumVgprs: 26
; ScratchSize: 0
; MemoryBound: 0
; FloatMode: 240
; IeeeMode: 1
; LDSByteSize: 0 bytes/workgroup (compile time only)
; SGPRBlocks: 0
; VGPRBlocks: 3
; NumSGPRsForWavesPerEU: 25
; NumVGPRsForWavesPerEU: 26
; Occupancy: 16
; WaveLimiterHint : 0
; COMPUTE_PGM_RSRC2:SCRATCH_EN: 0
; COMPUTE_PGM_RSRC2:USER_SGPR: 6
; COMPUTE_PGM_RSRC2:TRAP_HANDLER: 0
; COMPUTE_PGM_RSRC2:TGID_X_EN: 1
; COMPUTE_PGM_RSRC2:TGID_Y_EN: 1
; COMPUTE_PGM_RSRC2:TGID_Z_EN: 1
; COMPUTE_PGM_RSRC2:TIDIG_COMP_CNT: 1
	.section	.text._ZL13mul_mat_vec_qIL9ggml_type20ELi1ELb1ELb0EEvPKvS2_PKi31ggml_cuda_mm_fusion_args_devicePfj15HIP_vector_typeIjLj3EEjjjS8_jjjS8_jjjj,"axG",@progbits,_ZL13mul_mat_vec_qIL9ggml_type20ELi1ELb1ELb0EEvPKvS2_PKi31ggml_cuda_mm_fusion_args_devicePfj15HIP_vector_typeIjLj3EEjjjS8_jjjS8_jjjj,comdat
	.globl	_ZL13mul_mat_vec_qIL9ggml_type20ELi1ELb1ELb0EEvPKvS2_PKi31ggml_cuda_mm_fusion_args_devicePfj15HIP_vector_typeIjLj3EEjjjS8_jjjS8_jjjj ; -- Begin function _ZL13mul_mat_vec_qIL9ggml_type20ELi1ELb1ELb0EEvPKvS2_PKi31ggml_cuda_mm_fusion_args_devicePfj15HIP_vector_typeIjLj3EEjjjS8_jjjS8_jjjj
	.p2align	8
	.type	_ZL13mul_mat_vec_qIL9ggml_type20ELi1ELb1ELb0EEvPKvS2_PKi31ggml_cuda_mm_fusion_args_devicePfj15HIP_vector_typeIjLj3EEjjjS8_jjjS8_jjjj,@function
_ZL13mul_mat_vec_qIL9ggml_type20ELi1ELb1ELb0EEvPKvS2_PKi31ggml_cuda_mm_fusion_args_devicePfj15HIP_vector_typeIjLj3EEjjjS8_jjjS8_jjjj: ; @_ZL13mul_mat_vec_qIL9ggml_type20ELi1ELb1ELb0EEvPKvS2_PKi31ggml_cuda_mm_fusion_args_devicePfj15HIP_vector_typeIjLj3EEjjjS8_jjjS8_jjjj
; %bb.0:
	s_clause 0x3
	s_load_dwordx8 s[12:19], s[4:5], 0x0
	s_load_dwordx4 s[28:31], s[4:5], 0x20
	s_load_dwordx4 s[36:39], s[4:5], 0x40
	;; [unrolled: 1-line block ×3, first 2 shown]
	s_mov_b32 s10, s7
	s_waitcnt lgkmcnt(0)
	s_cmp_lg_u64 s[16:17], 0
	s_cselect_b32 s0, -1, 0
	s_cmp_eq_u64 s[16:17], 0
	s_cbranch_scc1 .LBB231_5
; %bb.1:
	s_mov_b32 s11, 0
	s_lshl_b64 s[2:3], s[10:11], 2
	s_add_u32 s2, s16, s2
	s_addc_u32 s3, s17, s3
	s_load_dword s33, s[2:3], 0x0
	s_clause 0x1
	s_load_dword s34, s[4:5], 0x50
	s_load_dword s35, s[4:5], 0x78
	s_cbranch_execnz .LBB231_3
.LBB231_2:
	s_load_dwordx2 s[2:3], s[4:5], 0x5c
	s_waitcnt lgkmcnt(0)
	s_mul_hi_u32 s1, s2, s10
	s_add_i32 s1, s10, s1
	s_lshr_b32 s33, s1, s3
.LBB231_3:
	s_andn2_b32 vcc_lo, exec_lo, s0
	s_cbranch_vccnz .LBB231_6
; %bb.4:
	s_mul_hi_u32 s0, s37, s10
	s_waitcnt lgkmcnt(0)
	s_mov_b32 s1, s33
	s_add_i32 s0, s10, s0
	s_lshr_b32 s0, s0, s38
	s_mul_i32 s0, s0, s39
	s_sub_i32 s11, s10, s0
	s_branch .LBB231_7
.LBB231_5:
                                        ; implicit-def: $sgpr33
	s_clause 0x1
	s_load_dword s34, s[4:5], 0x50
	s_load_dword s35, s[4:5], 0x78
	s_branch .LBB231_2
.LBB231_6:
	s_mov_b32 s1, s10
	s_mov_b32 s11, s10
.LBB231_7:
	s_load_dwordx4 s[24:27], s[4:5], 0x80
	v_or_b32_e32 v2, v0, v1
	s_cmp_lg_u64 s[18:19], 0
	v_mov_b32_e32 v10, 0
	v_mov_b32_e32 v11, 0
	s_cselect_b32 s0, -1, 0
	v_cmp_eq_u32_e32 vcc_lo, 0, v2
	s_mov_b32 s17, 0
	s_mul_i32 s2, s1, s22
	s_and_b32 s3, s0, vcc_lo
	s_and_saveexec_b32 s1, s3
	s_cbranch_execz .LBB231_9
; %bb.8:
	s_waitcnt lgkmcnt(0)
	s_mul_i32 s16, s26, s8
	s_mov_b32 s3, s17
	s_lshl_b64 s[38:39], s[16:17], 2
	v_lshlrev_b32_e32 v2, 2, v0
	s_add_u32 s7, s18, s38
	s_addc_u32 s9, s19, s39
	s_lshl_b64 s[16:17], s[2:3], 2
	s_add_u32 s3, s7, s16
	s_addc_u32 s9, s9, s17
	s_ashr_i32 s7, s6, 31
	s_lshl_b64 s[16:17], s[6:7], 2
	s_add_u32 s16, s3, s16
	s_addc_u32 s17, s9, s17
	global_load_dword v11, v2, s[16:17]
.LBB231_9:
	s_or_b32 exec_lo, exec_lo, s1
	s_cmp_lg_u64 s[28:29], 0
	s_cselect_b32 s9, -1, 0
	s_cmp_lg_u64 s[30:31], 0
	s_cselect_b32 s1, -1, 0
	s_and_b32 s3, s1, s9
	s_and_b32 s3, s3, vcc_lo
	s_and_saveexec_b32 s16, s3
	s_cbranch_execz .LBB231_11
; %bb.10:
	s_waitcnt lgkmcnt(0)
	s_mul_i32 s18, s26, s8
	s_mov_b32 s19, 0
	v_lshlrev_b32_e32 v2, 2, v0
	s_lshl_b64 s[38:39], s[18:19], 2
	s_mov_b32 s3, s19
	s_add_u32 s7, s30, s38
	s_addc_u32 s17, s31, s39
	s_lshl_b64 s[2:3], s[2:3], 2
	s_add_u32 s18, s7, s2
	s_addc_u32 s17, s17, s3
	s_ashr_i32 s7, s6, 31
	s_lshl_b64 s[2:3], s[6:7], 2
	s_add_u32 s2, s18, s2
	s_addc_u32 s3, s17, s3
	global_load_dword v10, v2, s[2:3]
.LBB231_11:
	s_or_b32 exec_lo, exec_lo, s16
	v_lshl_or_b32 v2, v1, 5, v0
	v_mov_b32_e32 v14, 0
	v_cndmask_b32_e64 v12, 0, 1, s9
	v_mov_b32_e32 v13, 0
	s_lshr_b32 s3, s36, 5
	v_lshrrev_b16 v3, 1, v2
	s_mov_b32 s7, exec_lo
	v_and_b32_e32 v15, 0xffff, v3
	v_cmpx_gt_u32_e64 s3, v15
	s_cbranch_execz .LBB231_17
; %bb.12:
	s_mul_hi_u32 s2, s23, s8
	s_waitcnt lgkmcnt(0)
	s_mul_i32 s34, s34, s6
	s_add_i32 s2, s8, s2
	s_mul_i32 s16, s25, s8
	s_lshr_b32 s2, s2, s35
	s_mul_i32 s17, s33, s20
	s_mul_i32 s2, s2, s24
	v_lshlrev_b32_e32 v3, 2, v0
	s_add_i32 s2, s2, s34
	s_mul_i32 s18, s11, s21
	s_add_i32 s11, s17, s2
	s_mul_i32 s17, s16, 36
	s_mul_hi_u32 s16, s16, 36
	v_lshrrev_b32_e32 v2, 1, v2
	s_mul_hi_u32 s2, s18, 36
	s_mul_i32 s18, s18, 36
	s_add_u32 s14, s14, s17
	s_addc_u32 s15, s15, s16
	s_add_u32 s14, s14, s18
	v_and_b32_e32 v4, 1, v0
	v_and_b32_e32 v5, 4, v3
	s_addc_u32 s15, s15, s2
	v_mov_b32_e32 v14, 0
	v_mad_u64_u32 v[2:3], null, v2, 36, s[14:15]
	v_lshlrev_b32_e32 v16, 3, v4
	v_lshlrev_b32_e32 v17, 1, v5
	v_mov_b32_e32 v13, 0
	s_mov_b32 s14, 0
	s_mov_b32 s15, 0xf6eaddcf
	;; [unrolled: 1-line block ×4, first 2 shown]
	s_branch .LBB231_14
.LBB231_13:                             ;   in Loop: Header=BB231_14 Depth=1
	s_waitcnt vmcnt(1)
	v_ashrrev_i32_e32 v20, 4, v8
	v_and_b32_e32 v21, 0x7070707, v8
	v_lshrrev_b32_e32 v8, 1, v8
	v_mov_b32_e32 v25, 0
	v_add_nc_u32_e32 v15, 16, v15
	v_and_b32_e32 v22, 0x7070707, v20
	v_perm_b32 v23, s15, 0xbfad9881, v21
	v_perm_b32 v21, s16, 0x26190d01, v21
	v_and_or_b32 v8, v8, s17, 0x3020100
	v_lshrrev_b32_e32 v20, 1, v20
	v_perm_b32 v24, s15, 0xbfad9881, v22
	v_perm_b32 v22, s16, 0x26190d01, v22
	v_cmp_le_u32_e32 vcc_lo, s3, v15
	v_perm_b32 v8, v21, v23, v8
	v_and_or_b32 v20, v20, s17, 0x3020100
	v_and_b32_e32 v21, 0x7070707, v9
	v_ashrrev_i32_e32 v23, 4, v9
	v_add_co_u32 v2, s2, 0x240, v2
	v_dot4c_i32_i8 v25, v8, v6
	v_lshrrev_b32_e32 v6, 1, v9
	v_perm_b32 v20, v22, v24, v20
	v_perm_b32 v8, s15, 0xbfad9881, v21
	v_and_b32_e32 v9, 0x7070707, v23
	v_perm_b32 v21, s16, 0x26190d01, v21
	v_lshrrev_b32_e32 v22, 1, v23
	v_and_or_b32 v6, v6, s17, 0x3020100
	v_dot4c_i32_i8 v25, v20, v4
	v_perm_b32 v4, s15, 0xbfad9881, v9
	v_perm_b32 v9, s16, 0x26190d01, v9
	v_and_or_b32 v20, v22, s17, 0x3020100
	v_perm_b32 v6, v21, v8, v6
	v_add_co_ci_u32_e64 v3, null, 0, v3, s2
	s_or_b32 s14, vcc_lo, s14
	v_perm_b32 v4, v9, v4, v20
	v_dot4c_i32_i8 v25, v6, v7
	s_waitcnt vmcnt(0)
	v_cvt_f32_f16_e32 v6, v19
	v_dot4c_i32_i8 v25, v4, v5
	v_mul_f32_e32 v4, v6, v18
	v_cvt_f32_i32_e32 v5, v25
	v_fmac_f32_e32 v14, v4, v5
	s_andn2_b32 exec_lo, exec_lo, s14
	s_cbranch_execz .LBB231_16
.LBB231_14:                             ; =>This Inner Loop Header: Depth=1
	v_add_nc_u32_e32 v20, s11, v15
	v_add_co_u32 v4, vcc_lo, v2, v16
	v_add_co_ci_u32_e64 v5, null, 0, v3, vcc_lo
	v_mad_i64_i32 v[18:19], null, v20, 18, s[12:13]
	v_add_co_u32 v8, vcc_lo, v18, v17
	v_add_co_ci_u32_e64 v9, null, 0, v19, vcc_lo
	s_clause 0x2
	global_load_dword v21, v[2:3], off
	global_load_dwordx2 v[6:7], v[4:5], off offset:4
	global_load_dwordx2 v[4:5], v[4:5], off offset:20
	s_clause 0x1
	global_load_dwordx2 v[8:9], v[8:9], off offset:2
	global_load_ushort v19, v[18:19], off
	s_andn2_b32 vcc_lo, exec_lo, s9
	s_waitcnt vmcnt(4)
	v_cvt_f32_f16_e32 v18, v21
	s_cbranch_vccnz .LBB231_13
; %bb.15:                               ;   in Loop: Header=BB231_14 Depth=1
	v_mad_i64_i32 v[20:21], null, v20, 18, s[28:29]
	v_add_co_u32 v22, vcc_lo, v20, v17
	v_add_co_ci_u32_e64 v23, null, 0, v21, vcc_lo
	s_clause 0x1
	global_load_dwordx2 v[22:23], v[22:23], off offset:2
	global_load_ushort v20, v[20:21], off
	v_mov_b32_e32 v21, 0
	s_waitcnt vmcnt(1)
	v_ashrrev_i32_e32 v24, 4, v22
	v_and_b32_e32 v25, 0x7070707, v22
	v_lshrrev_b32_e32 v22, 1, v22
	v_ashrrev_i32_e32 v26, 4, v23
	v_and_b32_e32 v27, 0x7070707, v23
	v_and_b32_e32 v29, 0x7070707, v24
	v_perm_b32 v28, s15, 0xbfad9881, v25
	v_perm_b32 v25, s16, 0x26190d01, v25
	v_lshrrev_b32_e32 v24, 1, v24
	v_and_or_b32 v22, v22, s17, 0x3020100
	v_lshrrev_b32_e32 v23, 1, v23
	v_perm_b32 v31, s15, 0xbfad9881, v29
	v_perm_b32 v29, s16, 0x26190d01, v29
	v_and_or_b32 v24, v24, s17, 0x3020100
	v_perm_b32 v22, v25, v28, v22
	v_perm_b32 v30, s15, 0xbfad9881, v27
	v_and_b32_e32 v25, 0x7070707, v26
	v_perm_b32 v27, s16, 0x26190d01, v27
	v_lshrrev_b32_e32 v26, 1, v26
	v_perm_b32 v24, v29, v31, v24
	v_dot4c_i32_i8 v21, v22, v6
	v_and_or_b32 v22, v23, s17, 0x3020100
	v_perm_b32 v23, s15, 0xbfad9881, v25
	v_perm_b32 v25, s16, 0x26190d01, v25
	v_and_or_b32 v26, v26, s17, 0x3020100
	v_dot4c_i32_i8 v21, v24, v4
	v_perm_b32 v22, v27, v30, v22
	s_waitcnt vmcnt(0)
	v_cvt_f32_f16_e32 v20, v20
	v_perm_b32 v23, v25, v23, v26
	v_dot4c_i32_i8 v21, v22, v7
	v_mul_f32_e32 v20, v18, v20
	v_dot4c_i32_i8 v21, v23, v5
	v_cvt_f32_i32_e32 v21, v21
	v_fmac_f32_e32 v13, v20, v21
	s_branch .LBB231_13
.LBB231_16:
	s_or_b32 exec_lo, exec_lo, s14
.LBB231_17:
	s_or_b32 exec_lo, exec_lo, s7
	s_load_dword s2, s[4:5], 0x30
	s_waitcnt vmcnt(0) lgkmcnt(0)
	; wave barrier
	buffer_gl0_inv
	s_mov_b32 s3, exec_lo
	v_cmpx_eq_u32_e32 0, v1
	s_cbranch_execz .LBB231_44
; %bb.18:
	v_mbcnt_lo_u32_b32 v2, -1, 0
	v_xor_b32_e32 v1, 16, v2
	v_xor_b32_e32 v4, 8, v2
	;; [unrolled: 1-line block ×3, first 2 shown]
	v_cmp_gt_i32_e32 vcc_lo, 32, v1
	v_cndmask_b32_e32 v1, v2, v1, vcc_lo
	v_cmp_gt_i32_e32 vcc_lo, 32, v4
	v_lshlrev_b32_e32 v1, 2, v1
	v_cndmask_b32_e32 v4, v2, v4, vcc_lo
	v_cmp_gt_i32_e32 vcc_lo, 32, v5
	ds_bpermute_b32 v3, v1, v14
	v_lshlrev_b32_e32 v4, 2, v4
	v_cndmask_b32_e32 v5, v2, v5, vcc_lo
	v_lshlrev_b32_e32 v5, 2, v5
	s_waitcnt lgkmcnt(0)
	v_add_f32_e32 v3, v14, v3
	ds_bpermute_b32 v6, v4, v3
	s_waitcnt lgkmcnt(0)
	v_add_f32_e32 v3, v3, v6
	v_xor_b32_e32 v6, 2, v2
	ds_bpermute_b32 v7, v5, v3
	v_cmp_gt_i32_e32 vcc_lo, 32, v6
	v_cndmask_b32_e32 v6, v2, v6, vcc_lo
	v_lshlrev_b32_e32 v6, 2, v6
	s_waitcnt lgkmcnt(0)
	v_add_f32_e32 v3, v3, v7
	v_xor_b32_e32 v7, 1, v2
	ds_bpermute_b32 v8, v6, v3
	v_cmp_gt_i32_e32 vcc_lo, 32, v7
	v_cndmask_b32_e32 v2, v2, v7, vcc_lo
	v_cmp_ne_u32_e32 vcc_lo, 1, v12
	v_lshlrev_b32_e32 v7, 2, v2
	s_waitcnt lgkmcnt(0)
	v_add_f32_e32 v2, v3, v8
	ds_bpermute_b32 v3, v7, v2
	s_cbranch_vccnz .LBB231_20
; %bb.19:
	ds_bpermute_b32 v1, v1, v13
	s_waitcnt lgkmcnt(0)
	v_add_f32_e32 v1, v13, v1
	ds_bpermute_b32 v4, v4, v1
	s_waitcnt lgkmcnt(0)
	v_add_f32_e32 v1, v1, v4
	;; [unrolled: 3-line block ×5, first 2 shown]
.LBB231_20:
	v_cmp_eq_u32_e32 vcc_lo, 0, v0
	s_and_b32 exec_lo, exec_lo, vcc_lo
	s_cbranch_execz .LBB231_44
; %bb.21:
	s_waitcnt lgkmcnt(0)
	v_add_f32_e32 v1, v2, v3
	v_cmp_ne_u32_e32 vcc_lo, 1, v12
	v_add_f32_e32 v2, v11, v1
	v_cndmask_b32_e64 v1, v1, v2, s0
	s_cbranch_vccnz .LBB231_43
; %bb.22:
	v_add_f32_e32 v2, v10, v13
	s_cmp_lt_i32 s2, 2
	s_mov_b32 s0, 0
	v_cndmask_b32_e64 v2, v13, v2, s1
	s_cbranch_scc1 .LBB231_26
; %bb.23:
	s_cmp_gt_i32 s2, 2
	s_cbranch_scc0 .LBB231_27
; %bb.24:
	s_cmp_eq_u32 s2, 3
	s_cbranch_scc0 .LBB231_28
; %bb.25:
	v_max_f32_e32 v3, v2, v2
	s_mov_b32 s1, 0
	v_min_f32_e32 v3, 0x40e00000, v3
	v_mul_f32_e32 v4, 0xbfd9db23, v3
	v_mul_f32_e32 v5, 0x3fb8aa3b, v4
	v_cmp_ngt_f32_e32 vcc_lo, 0xc2ce8ed0, v4
	v_fma_f32 v6, 0x3fb8aa3b, v4, -v5
	v_rndne_f32_e32 v7, v5
	v_fmamk_f32 v6, v4, 0x32a5705f, v6
	v_sub_f32_e32 v5, v5, v7
	v_add_f32_e32 v5, v5, v6
	v_cvt_i32_f32_e32 v6, v7
	v_exp_f32_e32 v5, v5
	v_ldexp_f32 v5, v5, v6
	v_cndmask_b32_e32 v5, 0, v5, vcc_lo
	v_cmp_nlt_f32_e32 vcc_lo, 0x42b17218, v4
	v_cndmask_b32_e32 v4, 0x7f800000, v5, vcc_lo
	v_add_f32_e32 v4, 1.0, v4
	v_div_scale_f32 v5, null, v4, v4, v3
	v_div_scale_f32 v8, vcc_lo, v3, v4, v3
	v_rcp_f32_e32 v6, v5
	v_fma_f32 v7, -v5, v6, 1.0
	v_fmac_f32_e32 v6, v7, v6
	v_mul_f32_e32 v7, v8, v6
	v_fma_f32 v9, -v5, v7, v8
	v_fmac_f32_e32 v7, v9, v6
	v_max_f32_e32 v9, v1, v1
	v_fma_f32 v5, -v5, v7, v8
	v_min_f32_e32 v8, 0x40e00000, v9
	v_div_fmas_f32 v5, v5, v6, v7
	v_max_f32_e32 v6, 0xc0e00000, v8
	v_div_fixup_f32 v3, v5, v4, v3
	v_add_f32_e32 v4, 1.0, v6
	v_mul_f32_e32 v3, v4, v3
	s_branch .LBB231_29
.LBB231_26:
	s_mov_b32 s1, 0
                                        ; implicit-def: $vgpr3
	s_cbranch_execnz .LBB231_33
	s_branch .LBB231_34
.LBB231_27:
	s_mov_b32 s3, -1
	s_mov_b32 s1, 0
                                        ; implicit-def: $vgpr3
	s_branch .LBB231_30
.LBB231_28:
	s_mov_b32 s1, -1
                                        ; implicit-def: $vgpr3
.LBB231_29:
	s_mov_b32 s3, 0
.LBB231_30:
	s_and_b32 vcc_lo, exec_lo, s3
	s_cbranch_vccz .LBB231_32
; %bb.31:
	v_mul_f32_e32 v3, 0xbfb8aa3b, v2
	v_cmp_nlt_f32_e32 vcc_lo, 0x42ce8ed0, v2
	v_rndne_f32_e32 v4, v3
	v_fma_f32 v5, 0xbfb8aa3b, v2, -v3
	v_sub_f32_e32 v3, v3, v4
	v_fmamk_f32 v5, v2, 0xb2a5705f, v5
	v_cvt_i32_f32_e32 v4, v4
	v_add_f32_e32 v3, v3, v5
	v_exp_f32_e32 v3, v3
	v_ldexp_f32 v3, v3, v4
	v_cndmask_b32_e32 v3, 0, v3, vcc_lo
	v_cmp_ngt_f32_e32 vcc_lo, 0xc2b17218, v2
	v_cndmask_b32_e32 v3, 0x7f800000, v3, vcc_lo
	v_add_f32_e32 v3, 1.0, v3
	v_div_scale_f32 v4, null, v3, v3, v2
	v_rcp_f32_e32 v5, v4
	v_fma_f32 v6, -v4, v5, 1.0
	v_fmac_f32_e32 v5, v6, v5
	v_div_scale_f32 v6, vcc_lo, v2, v3, v2
	v_mul_f32_e32 v7, v6, v5
	v_fma_f32 v8, -v4, v7, v6
	v_fmac_f32_e32 v7, v8, v5
	v_fma_f32 v4, -v4, v7, v6
	v_div_fmas_f32 v4, v4, v5, v7
	v_div_fixup_f32 v3, v4, v3, v2
	v_mul_f32_e32 v3, v1, v3
.LBB231_32:
	s_branch .LBB231_34
.LBB231_33:
	s_cmp_lg_u32 s2, 1
	s_mov_b32 s0, -1
	s_cselect_b32 s1, -1, 0
.LBB231_34:
	s_andn2_b32 vcc_lo, exec_lo, s1
	s_cbranch_vccz .LBB231_36
; %bb.35:
	s_andn2_b32 vcc_lo, exec_lo, s0
	s_cbranch_vccz .LBB231_37
	s_branch .LBB231_42
.LBB231_36:
	v_mul_f32_e32 v3, v2, v1
	s_cbranch_execnz .LBB231_42
.LBB231_37:
	v_mul_f32_e32 v3, 0x3d372713, v2
	v_mul_f32_e32 v4, 0x3f4c422a, v2
	v_fma_f32 v3, v2, v3, 1.0
	v_mul_f32_e32 v3, v4, v3
                                        ; implicit-def: $vgpr4
	v_cmp_ngt_f32_e64 s0, 0x3f200000, |v3|
	s_and_saveexec_b32 s1, s0
	s_xor_b32 s0, exec_lo, s1
	s_cbranch_execz .LBB231_39
; %bb.38:
	v_add_f32_e64 v4, |v3|, |v3|
	v_mul_f32_e32 v5, 0x3fb8aa3b, v4
	v_cmp_ngt_f32_e32 vcc_lo, 0xc2ce8ed0, v4
	v_rndne_f32_e32 v6, v5
	v_fma_f32 v7, 0x3fb8aa3b, v4, -v5
	v_sub_f32_e32 v5, v5, v6
	v_fmamk_f32 v7, v4, 0x32a5705f, v7
	v_cvt_i32_f32_e32 v6, v6
	v_add_f32_e32 v5, v5, v7
	v_exp_f32_e32 v5, v5
	v_ldexp_f32 v5, v5, v6
	v_cndmask_b32_e32 v5, 0, v5, vcc_lo
	v_cmp_nlt_f32_e32 vcc_lo, 0x42b17218, v4
	v_cndmask_b32_e32 v4, 0x7f800000, v5, vcc_lo
	v_add_f32_e32 v4, 1.0, v4
	v_rcp_f32_e32 v4, v4
	v_fma_f32 v4, v4, -2.0, 1.0
.LBB231_39:
	s_andn2_saveexec_b32 s0, s0
	s_cbranch_execz .LBB231_41
; %bb.40:
	v_mul_f32_e32 v4, v3, v3
	s_mov_b32 s1, 0xbbbac73d
	v_fmaak_f32 v5, s1, v4, 0x3ca908c9
	v_fmaak_f32 v5, v4, v5, 0xbd5c1c4e
	;; [unrolled: 1-line block ×4, first 2 shown]
	v_mul_f32_e64 v5, |v3|, v5
	v_fma_f32 v4, v4, v5, |v3|
.LBB231_41:
	s_or_b32 exec_lo, exec_lo, s0
	v_bfi_b32 v3, 0x7fffffff, v4, v3
	v_mul_f32_e32 v2, 0.5, v2
	v_add_f32_e32 v3, 1.0, v3
	v_mul_f32_e32 v2, v2, v3
	v_mul_f32_e32 v3, v1, v2
.LBB231_42:
	v_mov_b32_e32 v1, v3
.LBB231_43:
	s_load_dwordx2 s[0:1], s[4:5], 0x38
	s_mul_i32 s2, s22, s10
	s_mul_i32 s3, s26, s8
	s_add_i32 s2, s2, s6
	v_lshlrev_b32_e32 v0, 2, v0
	s_add_i32 s2, s2, s3
	s_mov_b32 s3, 0
	s_lshl_b64 s[2:3], s[2:3], 2
	s_waitcnt lgkmcnt(0)
	s_add_u32 s0, s0, s2
	s_addc_u32 s1, s1, s3
	global_store_dword v0, v1, s[0:1]
.LBB231_44:
	s_endpgm
	.section	.rodata,"a",@progbits
	.p2align	6, 0x0
	.amdhsa_kernel _ZL13mul_mat_vec_qIL9ggml_type20ELi1ELb1ELb0EEvPKvS2_PKi31ggml_cuda_mm_fusion_args_devicePfj15HIP_vector_typeIjLj3EEjjjS8_jjjS8_jjjj
		.amdhsa_group_segment_fixed_size 0
		.amdhsa_private_segment_fixed_size 0
		.amdhsa_kernarg_size 144
		.amdhsa_user_sgpr_count 6
		.amdhsa_user_sgpr_private_segment_buffer 1
		.amdhsa_user_sgpr_dispatch_ptr 0
		.amdhsa_user_sgpr_queue_ptr 0
		.amdhsa_user_sgpr_kernarg_segment_ptr 1
		.amdhsa_user_sgpr_dispatch_id 0
		.amdhsa_user_sgpr_flat_scratch_init 0
		.amdhsa_user_sgpr_private_segment_size 0
		.amdhsa_wavefront_size32 1
		.amdhsa_uses_dynamic_stack 0
		.amdhsa_system_sgpr_private_segment_wavefront_offset 0
		.amdhsa_system_sgpr_workgroup_id_x 1
		.amdhsa_system_sgpr_workgroup_id_y 1
		.amdhsa_system_sgpr_workgroup_id_z 1
		.amdhsa_system_sgpr_workgroup_info 0
		.amdhsa_system_vgpr_workitem_id 1
		.amdhsa_next_free_vgpr 32
		.amdhsa_next_free_sgpr 40
		.amdhsa_reserve_vcc 1
		.amdhsa_reserve_flat_scratch 0
		.amdhsa_float_round_mode_32 0
		.amdhsa_float_round_mode_16_64 0
		.amdhsa_float_denorm_mode_32 3
		.amdhsa_float_denorm_mode_16_64 3
		.amdhsa_dx10_clamp 1
		.amdhsa_ieee_mode 1
		.amdhsa_fp16_overflow 0
		.amdhsa_workgroup_processor_mode 1
		.amdhsa_memory_ordered 1
		.amdhsa_forward_progress 1
		.amdhsa_shared_vgpr_count 0
		.amdhsa_exception_fp_ieee_invalid_op 0
		.amdhsa_exception_fp_denorm_src 0
		.amdhsa_exception_fp_ieee_div_zero 0
		.amdhsa_exception_fp_ieee_overflow 0
		.amdhsa_exception_fp_ieee_underflow 0
		.amdhsa_exception_fp_ieee_inexact 0
		.amdhsa_exception_int_div_zero 0
	.end_amdhsa_kernel
	.section	.text._ZL13mul_mat_vec_qIL9ggml_type20ELi1ELb1ELb0EEvPKvS2_PKi31ggml_cuda_mm_fusion_args_devicePfj15HIP_vector_typeIjLj3EEjjjS8_jjjS8_jjjj,"axG",@progbits,_ZL13mul_mat_vec_qIL9ggml_type20ELi1ELb1ELb0EEvPKvS2_PKi31ggml_cuda_mm_fusion_args_devicePfj15HIP_vector_typeIjLj3EEjjjS8_jjjS8_jjjj,comdat
.Lfunc_end231:
	.size	_ZL13mul_mat_vec_qIL9ggml_type20ELi1ELb1ELb0EEvPKvS2_PKi31ggml_cuda_mm_fusion_args_devicePfj15HIP_vector_typeIjLj3EEjjjS8_jjjS8_jjjj, .Lfunc_end231-_ZL13mul_mat_vec_qIL9ggml_type20ELi1ELb1ELb0EEvPKvS2_PKi31ggml_cuda_mm_fusion_args_devicePfj15HIP_vector_typeIjLj3EEjjjS8_jjjS8_jjjj
                                        ; -- End function
	.set _ZL13mul_mat_vec_qIL9ggml_type20ELi1ELb1ELb0EEvPKvS2_PKi31ggml_cuda_mm_fusion_args_devicePfj15HIP_vector_typeIjLj3EEjjjS8_jjjS8_jjjj.num_vgpr, 32
	.set _ZL13mul_mat_vec_qIL9ggml_type20ELi1ELb1ELb0EEvPKvS2_PKi31ggml_cuda_mm_fusion_args_devicePfj15HIP_vector_typeIjLj3EEjjjS8_jjjS8_jjjj.num_agpr, 0
	.set _ZL13mul_mat_vec_qIL9ggml_type20ELi1ELb1ELb0EEvPKvS2_PKi31ggml_cuda_mm_fusion_args_devicePfj15HIP_vector_typeIjLj3EEjjjS8_jjjS8_jjjj.numbered_sgpr, 40
	.set _ZL13mul_mat_vec_qIL9ggml_type20ELi1ELb1ELb0EEvPKvS2_PKi31ggml_cuda_mm_fusion_args_devicePfj15HIP_vector_typeIjLj3EEjjjS8_jjjS8_jjjj.num_named_barrier, 0
	.set _ZL13mul_mat_vec_qIL9ggml_type20ELi1ELb1ELb0EEvPKvS2_PKi31ggml_cuda_mm_fusion_args_devicePfj15HIP_vector_typeIjLj3EEjjjS8_jjjS8_jjjj.private_seg_size, 0
	.set _ZL13mul_mat_vec_qIL9ggml_type20ELi1ELb1ELb0EEvPKvS2_PKi31ggml_cuda_mm_fusion_args_devicePfj15HIP_vector_typeIjLj3EEjjjS8_jjjS8_jjjj.uses_vcc, 1
	.set _ZL13mul_mat_vec_qIL9ggml_type20ELi1ELb1ELb0EEvPKvS2_PKi31ggml_cuda_mm_fusion_args_devicePfj15HIP_vector_typeIjLj3EEjjjS8_jjjS8_jjjj.uses_flat_scratch, 0
	.set _ZL13mul_mat_vec_qIL9ggml_type20ELi1ELb1ELb0EEvPKvS2_PKi31ggml_cuda_mm_fusion_args_devicePfj15HIP_vector_typeIjLj3EEjjjS8_jjjS8_jjjj.has_dyn_sized_stack, 0
	.set _ZL13mul_mat_vec_qIL9ggml_type20ELi1ELb1ELb0EEvPKvS2_PKi31ggml_cuda_mm_fusion_args_devicePfj15HIP_vector_typeIjLj3EEjjjS8_jjjS8_jjjj.has_recursion, 0
	.set _ZL13mul_mat_vec_qIL9ggml_type20ELi1ELb1ELb0EEvPKvS2_PKi31ggml_cuda_mm_fusion_args_devicePfj15HIP_vector_typeIjLj3EEjjjS8_jjjS8_jjjj.has_indirect_call, 0
	.section	.AMDGPU.csdata,"",@progbits
; Kernel info:
; codeLenInByte = 2540
; TotalNumSgprs: 42
; NumVgprs: 32
; ScratchSize: 0
; MemoryBound: 0
; FloatMode: 240
; IeeeMode: 1
; LDSByteSize: 0 bytes/workgroup (compile time only)
; SGPRBlocks: 0
; VGPRBlocks: 3
; NumSGPRsForWavesPerEU: 42
; NumVGPRsForWavesPerEU: 32
; Occupancy: 16
; WaveLimiterHint : 0
; COMPUTE_PGM_RSRC2:SCRATCH_EN: 0
; COMPUTE_PGM_RSRC2:USER_SGPR: 6
; COMPUTE_PGM_RSRC2:TRAP_HANDLER: 0
; COMPUTE_PGM_RSRC2:TGID_X_EN: 1
; COMPUTE_PGM_RSRC2:TGID_Y_EN: 1
; COMPUTE_PGM_RSRC2:TGID_Z_EN: 1
; COMPUTE_PGM_RSRC2:TIDIG_COMP_CNT: 1
	.section	.text._ZL13mul_mat_vec_qIL9ggml_type20ELi1ELb0ELb0EEvPKvS2_PKi31ggml_cuda_mm_fusion_args_devicePfj15HIP_vector_typeIjLj3EEjjjS8_jjjS8_jjjj,"axG",@progbits,_ZL13mul_mat_vec_qIL9ggml_type20ELi1ELb0ELb0EEvPKvS2_PKi31ggml_cuda_mm_fusion_args_devicePfj15HIP_vector_typeIjLj3EEjjjS8_jjjS8_jjjj,comdat
	.globl	_ZL13mul_mat_vec_qIL9ggml_type20ELi1ELb0ELb0EEvPKvS2_PKi31ggml_cuda_mm_fusion_args_devicePfj15HIP_vector_typeIjLj3EEjjjS8_jjjS8_jjjj ; -- Begin function _ZL13mul_mat_vec_qIL9ggml_type20ELi1ELb0ELb0EEvPKvS2_PKi31ggml_cuda_mm_fusion_args_devicePfj15HIP_vector_typeIjLj3EEjjjS8_jjjS8_jjjj
	.p2align	8
	.type	_ZL13mul_mat_vec_qIL9ggml_type20ELi1ELb0ELb0EEvPKvS2_PKi31ggml_cuda_mm_fusion_args_devicePfj15HIP_vector_typeIjLj3EEjjjS8_jjjS8_jjjj,@function
_ZL13mul_mat_vec_qIL9ggml_type20ELi1ELb0ELb0EEvPKvS2_PKi31ggml_cuda_mm_fusion_args_devicePfj15HIP_vector_typeIjLj3EEjjjS8_jjjS8_jjjj: ; @_ZL13mul_mat_vec_qIL9ggml_type20ELi1ELb0ELb0EEvPKvS2_PKi31ggml_cuda_mm_fusion_args_devicePfj15HIP_vector_typeIjLj3EEjjjS8_jjjS8_jjjj
; %bb.0:
	s_clause 0x1
	s_load_dwordx2 s[0:1], s[4:5], 0x10
	s_load_dwordx4 s[16:19], s[4:5], 0x40
	s_mov_b32 s10, s7
	s_waitcnt lgkmcnt(0)
	s_cmp_lg_u64 s[0:1], 0
	s_cselect_b32 s7, -1, 0
	s_cmp_eq_u64 s[0:1], 0
	s_cbranch_scc1 .LBB232_5
; %bb.1:
	s_mov_b32 s11, 0
	s_lshl_b64 s[2:3], s[10:11], 2
	s_add_u32 s0, s0, s2
	s_addc_u32 s1, s1, s3
	s_load_dword s20, s[0:1], 0x0
	s_clause 0x1
	s_load_dwordx4 s[0:3], s[4:5], 0x68
	s_load_dword s21, s[4:5], 0x50
	s_cbranch_execnz .LBB232_3
.LBB232_2:
	s_load_dwordx2 s[12:13], s[4:5], 0x5c
	s_waitcnt lgkmcnt(0)
	s_mul_hi_u32 s9, s12, s10
	s_add_i32 s9, s10, s9
	s_lshr_b32 s20, s9, s13
.LBB232_3:
	s_load_dword s11, s[4:5], 0x78
	s_andn2_b32 vcc_lo, exec_lo, s7
	s_cbranch_vccnz .LBB232_6
; %bb.4:
	s_mul_hi_u32 s7, s17, s10
	s_add_i32 s7, s10, s7
	s_lshr_b32 s7, s7, s18
	s_mul_i32 s7, s7, s19
	s_sub_i32 s22, s10, s7
	s_branch .LBB232_7
.LBB232_5:
                                        ; implicit-def: $sgpr20
	s_clause 0x1
	s_load_dwordx4 s[0:3], s[4:5], 0x68
	s_load_dword s21, s[4:5], 0x50
	s_branch .LBB232_2
.LBB232_6:
	s_mov_b32 s22, s10
.LBB232_7:
	s_load_dwordx4 s[12:15], s[4:5], 0x80
	v_lshl_or_b32 v2, v1, 5, v0
	v_mov_b32_e32 v4, 0
	s_lshr_b32 s9, s16, 5
	s_mov_b32 s7, exec_lo
	v_lshrrev_b16 v3, 1, v2
	v_and_b32_e32 v5, 0xffff, v3
	v_cmpx_gt_u32_e64 s9, v5
	s_cbranch_execz .LBB232_11
; %bb.8:
	s_load_dwordx4 s[16:19], s[4:5], 0x0
	s_waitcnt lgkmcnt(0)
	s_mul_hi_u32 s3, s3, s8
	s_mul_i32 s21, s21, s6
	s_add_i32 s3, s8, s3
	s_mul_i32 s13, s13, s8
	s_lshr_b32 s3, s3, s11
	s_mul_i32 s0, s20, s0
	s_mul_i32 s3, s3, s12
	v_lshlrev_b32_e32 v3, 2, v0
	s_add_i32 s3, s3, s21
	s_mul_i32 s11, s22, s1
	s_add_i32 s1, s0, s3
	s_mul_i32 s3, s13, 36
	s_mul_hi_u32 s12, s13, 36
	v_lshrrev_b32_e32 v2, 1, v2
	s_mul_hi_u32 s0, s11, 36
	s_mul_i32 s11, s11, 36
	v_and_b32_e32 v7, 4, v3
	v_and_b32_e32 v6, 1, v0
	v_mov_b32_e32 v4, 0
	s_add_u32 s3, s18, s3
	s_addc_u32 s13, s19, s12
	s_add_u32 s12, s3, s11
	s_addc_u32 s13, s13, s0
	v_lshlrev_b32_e32 v6, 3, v6
	v_mad_u64_u32 v[2:3], null, v2, 36, s[12:13]
	v_lshlrev_b32_e32 v7, 1, v7
	s_mov_b32 s3, 0
	s_mov_b32 s11, 0xf6eaddcf
	;; [unrolled: 1-line block ×4, first 2 shown]
.LBB232_9:                              ; =>This Inner Loop Header: Depth=1
	v_add_nc_u32_e32 v8, s1, v5
	v_add_nc_u32_e32 v5, 16, v5
	v_mad_i64_i32 v[8:9], null, v8, 18, s[16:17]
	v_cmp_le_u32_e64 s0, s9, v5
	s_or_b32 s3, s0, s3
	v_add_co_u32 v10, vcc_lo, v8, v7
	v_add_co_ci_u32_e64 v11, null, 0, v9, vcc_lo
	v_add_co_u32 v12, vcc_lo, v2, v6
	v_add_co_ci_u32_e64 v13, null, 0, v3, vcc_lo
	global_load_dwordx2 v[10:11], v[10:11], off offset:2
	s_clause 0x2
	global_load_dwordx2 v[14:15], v[12:13], off offset:4
	global_load_dwordx2 v[12:13], v[12:13], off offset:20
	global_load_dword v16, v[2:3], off
	global_load_ushort v8, v[8:9], off
	v_mov_b32_e32 v9, 0
	v_add_co_u32 v2, vcc_lo, 0x240, v2
	v_add_co_ci_u32_e64 v3, null, 0, v3, vcc_lo
	s_waitcnt vmcnt(4)
	v_ashrrev_i32_e32 v17, 4, v10
	v_and_b32_e32 v18, 0x7070707, v10
	v_lshrrev_b32_e32 v10, 1, v10
	v_ashrrev_i32_e32 v19, 4, v11
	v_and_b32_e32 v20, 0x7070707, v11
	v_and_b32_e32 v22, 0x7070707, v17
	v_perm_b32 v21, s11, 0xbfad9881, v18
	v_perm_b32 v18, s12, 0x26190d01, v18
	v_and_or_b32 v10, v10, s13, 0x3020100
	v_lshrrev_b32_e32 v17, 1, v17
	v_lshrrev_b32_e32 v11, 1, v11
	v_perm_b32 v25, s11, 0xbfad9881, v22
	v_perm_b32 v22, s12, 0x26190d01, v22
	;; [unrolled: 1-line block ×3, first 2 shown]
	v_and_or_b32 v17, v17, s13, 0x3020100
	v_perm_b32 v23, s11, 0xbfad9881, v20
	v_and_b32_e32 v24, 0x7070707, v19
	v_perm_b32 v20, s12, 0x26190d01, v20
	v_and_or_b32 v11, v11, s13, 0x3020100
	v_lshrrev_b32_e32 v18, 1, v19
	v_perm_b32 v17, v22, v25, v17
	s_waitcnt vmcnt(3)
	v_dot4c_i32_i8 v9, v10, v14
	v_perm_b32 v19, s11, 0xbfad9881, v24
	v_perm_b32 v10, s12, 0x26190d01, v24
	;; [unrolled: 1-line block ×3, first 2 shown]
	v_and_or_b32 v14, v18, s13, 0x3020100
	s_waitcnt vmcnt(2)
	v_dot4c_i32_i8 v9, v17, v12
	s_waitcnt vmcnt(0)
	v_cvt_f32_f16_e32 v8, v8
	v_perm_b32 v10, v10, v19, v14
	v_dot4c_i32_i8 v9, v11, v15
	v_cvt_f32_f16_e32 v11, v16
	v_dot4c_i32_i8 v9, v10, v13
	v_mul_f32_e32 v8, v8, v11
	v_cvt_f32_i32_e32 v9, v9
	v_fmac_f32_e32 v4, v8, v9
	s_andn2_b32 exec_lo, exec_lo, s3
	s_cbranch_execnz .LBB232_9
; %bb.10:
	s_or_b32 exec_lo, exec_lo, s3
.LBB232_11:
	s_or_b32 exec_lo, exec_lo, s7
	s_waitcnt lgkmcnt(0)
	; wave barrier
	buffer_gl0_inv
	s_mov_b32 s0, exec_lo
	v_cmpx_eq_u32_e32 0, v1
	s_cbranch_execz .LBB232_14
; %bb.12:
	v_mbcnt_lo_u32_b32 v1, -1, 0
	v_xor_b32_e32 v2, 16, v1
	v_xor_b32_e32 v3, 8, v1
	v_cmp_gt_i32_e32 vcc_lo, 32, v2
	v_cndmask_b32_e32 v2, v1, v2, vcc_lo
	v_cmp_gt_i32_e32 vcc_lo, 32, v3
	v_lshlrev_b32_e32 v2, 2, v2
	v_cndmask_b32_e32 v3, v1, v3, vcc_lo
	ds_bpermute_b32 v2, v2, v4
	v_lshlrev_b32_e32 v3, 2, v3
	s_waitcnt lgkmcnt(0)
	v_add_f32_e32 v2, v4, v2
	v_xor_b32_e32 v4, 4, v1
	ds_bpermute_b32 v3, v3, v2
	v_cmp_gt_i32_e32 vcc_lo, 32, v4
	v_cndmask_b32_e32 v4, v1, v4, vcc_lo
	v_lshlrev_b32_e32 v4, 2, v4
	s_waitcnt lgkmcnt(0)
	v_add_f32_e32 v2, v2, v3
	ds_bpermute_b32 v3, v4, v2
	v_xor_b32_e32 v4, 2, v1
	v_cmp_gt_i32_e32 vcc_lo, 32, v4
	v_cndmask_b32_e32 v4, v1, v4, vcc_lo
	v_lshlrev_b32_e32 v4, 2, v4
	s_waitcnt lgkmcnt(0)
	v_add_f32_e32 v2, v2, v3
	ds_bpermute_b32 v3, v4, v2
	v_xor_b32_e32 v4, 1, v1
	v_cmp_gt_i32_e32 vcc_lo, 32, v4
	v_cndmask_b32_e32 v1, v1, v4, vcc_lo
	v_cmp_eq_u32_e32 vcc_lo, 0, v0
	v_lshlrev_b32_e32 v4, 2, v1
	s_waitcnt lgkmcnt(0)
	v_add_f32_e32 v1, v2, v3
	ds_bpermute_b32 v2, v4, v1
	s_and_b32 exec_lo, exec_lo, vcc_lo
	s_cbranch_execz .LBB232_14
; %bb.13:
	s_load_dwordx2 s[0:1], s[4:5], 0x38
	s_mul_i32 s2, s2, s10
	s_mul_i32 s3, s14, s8
	s_add_i32 s2, s2, s6
	s_waitcnt lgkmcnt(0)
	v_add_f32_e32 v0, v1, v2
	s_add_i32 s2, s2, s3
	s_mov_b32 s3, 0
	v_mov_b32_e32 v1, 0
	s_lshl_b64 s[2:3], s[2:3], 2
	s_add_u32 s0, s0, s2
	s_addc_u32 s1, s1, s3
	global_store_dword v1, v0, s[0:1]
.LBB232_14:
	s_endpgm
	.section	.rodata,"a",@progbits
	.p2align	6, 0x0
	.amdhsa_kernel _ZL13mul_mat_vec_qIL9ggml_type20ELi1ELb0ELb0EEvPKvS2_PKi31ggml_cuda_mm_fusion_args_devicePfj15HIP_vector_typeIjLj3EEjjjS8_jjjS8_jjjj
		.amdhsa_group_segment_fixed_size 0
		.amdhsa_private_segment_fixed_size 0
		.amdhsa_kernarg_size 144
		.amdhsa_user_sgpr_count 6
		.amdhsa_user_sgpr_private_segment_buffer 1
		.amdhsa_user_sgpr_dispatch_ptr 0
		.amdhsa_user_sgpr_queue_ptr 0
		.amdhsa_user_sgpr_kernarg_segment_ptr 1
		.amdhsa_user_sgpr_dispatch_id 0
		.amdhsa_user_sgpr_flat_scratch_init 0
		.amdhsa_user_sgpr_private_segment_size 0
		.amdhsa_wavefront_size32 1
		.amdhsa_uses_dynamic_stack 0
		.amdhsa_system_sgpr_private_segment_wavefront_offset 0
		.amdhsa_system_sgpr_workgroup_id_x 1
		.amdhsa_system_sgpr_workgroup_id_y 1
		.amdhsa_system_sgpr_workgroup_id_z 1
		.amdhsa_system_sgpr_workgroup_info 0
		.amdhsa_system_vgpr_workitem_id 1
		.amdhsa_next_free_vgpr 26
		.amdhsa_next_free_sgpr 23
		.amdhsa_reserve_vcc 1
		.amdhsa_reserve_flat_scratch 0
		.amdhsa_float_round_mode_32 0
		.amdhsa_float_round_mode_16_64 0
		.amdhsa_float_denorm_mode_32 3
		.amdhsa_float_denorm_mode_16_64 3
		.amdhsa_dx10_clamp 1
		.amdhsa_ieee_mode 1
		.amdhsa_fp16_overflow 0
		.amdhsa_workgroup_processor_mode 1
		.amdhsa_memory_ordered 1
		.amdhsa_forward_progress 1
		.amdhsa_shared_vgpr_count 0
		.amdhsa_exception_fp_ieee_invalid_op 0
		.amdhsa_exception_fp_denorm_src 0
		.amdhsa_exception_fp_ieee_div_zero 0
		.amdhsa_exception_fp_ieee_overflow 0
		.amdhsa_exception_fp_ieee_underflow 0
		.amdhsa_exception_fp_ieee_inexact 0
		.amdhsa_exception_int_div_zero 0
	.end_amdhsa_kernel
	.section	.text._ZL13mul_mat_vec_qIL9ggml_type20ELi1ELb0ELb0EEvPKvS2_PKi31ggml_cuda_mm_fusion_args_devicePfj15HIP_vector_typeIjLj3EEjjjS8_jjjS8_jjjj,"axG",@progbits,_ZL13mul_mat_vec_qIL9ggml_type20ELi1ELb0ELb0EEvPKvS2_PKi31ggml_cuda_mm_fusion_args_devicePfj15HIP_vector_typeIjLj3EEjjjS8_jjjS8_jjjj,comdat
.Lfunc_end232:
	.size	_ZL13mul_mat_vec_qIL9ggml_type20ELi1ELb0ELb0EEvPKvS2_PKi31ggml_cuda_mm_fusion_args_devicePfj15HIP_vector_typeIjLj3EEjjjS8_jjjS8_jjjj, .Lfunc_end232-_ZL13mul_mat_vec_qIL9ggml_type20ELi1ELb0ELb0EEvPKvS2_PKi31ggml_cuda_mm_fusion_args_devicePfj15HIP_vector_typeIjLj3EEjjjS8_jjjS8_jjjj
                                        ; -- End function
	.set _ZL13mul_mat_vec_qIL9ggml_type20ELi1ELb0ELb0EEvPKvS2_PKi31ggml_cuda_mm_fusion_args_devicePfj15HIP_vector_typeIjLj3EEjjjS8_jjjS8_jjjj.num_vgpr, 26
	.set _ZL13mul_mat_vec_qIL9ggml_type20ELi1ELb0ELb0EEvPKvS2_PKi31ggml_cuda_mm_fusion_args_devicePfj15HIP_vector_typeIjLj3EEjjjS8_jjjS8_jjjj.num_agpr, 0
	.set _ZL13mul_mat_vec_qIL9ggml_type20ELi1ELb0ELb0EEvPKvS2_PKi31ggml_cuda_mm_fusion_args_devicePfj15HIP_vector_typeIjLj3EEjjjS8_jjjS8_jjjj.numbered_sgpr, 23
	.set _ZL13mul_mat_vec_qIL9ggml_type20ELi1ELb0ELb0EEvPKvS2_PKi31ggml_cuda_mm_fusion_args_devicePfj15HIP_vector_typeIjLj3EEjjjS8_jjjS8_jjjj.num_named_barrier, 0
	.set _ZL13mul_mat_vec_qIL9ggml_type20ELi1ELb0ELb0EEvPKvS2_PKi31ggml_cuda_mm_fusion_args_devicePfj15HIP_vector_typeIjLj3EEjjjS8_jjjS8_jjjj.private_seg_size, 0
	.set _ZL13mul_mat_vec_qIL9ggml_type20ELi1ELb0ELb0EEvPKvS2_PKi31ggml_cuda_mm_fusion_args_devicePfj15HIP_vector_typeIjLj3EEjjjS8_jjjS8_jjjj.uses_vcc, 1
	.set _ZL13mul_mat_vec_qIL9ggml_type20ELi1ELb0ELb0EEvPKvS2_PKi31ggml_cuda_mm_fusion_args_devicePfj15HIP_vector_typeIjLj3EEjjjS8_jjjS8_jjjj.uses_flat_scratch, 0
	.set _ZL13mul_mat_vec_qIL9ggml_type20ELi1ELb0ELb0EEvPKvS2_PKi31ggml_cuda_mm_fusion_args_devicePfj15HIP_vector_typeIjLj3EEjjjS8_jjjS8_jjjj.has_dyn_sized_stack, 0
	.set _ZL13mul_mat_vec_qIL9ggml_type20ELi1ELb0ELb0EEvPKvS2_PKi31ggml_cuda_mm_fusion_args_devicePfj15HIP_vector_typeIjLj3EEjjjS8_jjjS8_jjjj.has_recursion, 0
	.set _ZL13mul_mat_vec_qIL9ggml_type20ELi1ELb0ELb0EEvPKvS2_PKi31ggml_cuda_mm_fusion_args_devicePfj15HIP_vector_typeIjLj3EEjjjS8_jjjS8_jjjj.has_indirect_call, 0
	.section	.AMDGPU.csdata,"",@progbits
; Kernel info:
; codeLenInByte = 1076
; TotalNumSgprs: 25
; NumVgprs: 26
; ScratchSize: 0
; MemoryBound: 0
; FloatMode: 240
; IeeeMode: 1
; LDSByteSize: 0 bytes/workgroup (compile time only)
; SGPRBlocks: 0
; VGPRBlocks: 3
; NumSGPRsForWavesPerEU: 25
; NumVGPRsForWavesPerEU: 26
; Occupancy: 16
; WaveLimiterHint : 0
; COMPUTE_PGM_RSRC2:SCRATCH_EN: 0
; COMPUTE_PGM_RSRC2:USER_SGPR: 6
; COMPUTE_PGM_RSRC2:TRAP_HANDLER: 0
; COMPUTE_PGM_RSRC2:TGID_X_EN: 1
; COMPUTE_PGM_RSRC2:TGID_Y_EN: 1
; COMPUTE_PGM_RSRC2:TGID_Z_EN: 1
; COMPUTE_PGM_RSRC2:TIDIG_COMP_CNT: 1
	.section	.text._ZL13mul_mat_vec_qIL9ggml_type20ELi2ELb0ELb0EEvPKvS2_PKi31ggml_cuda_mm_fusion_args_devicePfj15HIP_vector_typeIjLj3EEjjjS8_jjjS8_jjjj,"axG",@progbits,_ZL13mul_mat_vec_qIL9ggml_type20ELi2ELb0ELb0EEvPKvS2_PKi31ggml_cuda_mm_fusion_args_devicePfj15HIP_vector_typeIjLj3EEjjjS8_jjjS8_jjjj,comdat
	.globl	_ZL13mul_mat_vec_qIL9ggml_type20ELi2ELb0ELb0EEvPKvS2_PKi31ggml_cuda_mm_fusion_args_devicePfj15HIP_vector_typeIjLj3EEjjjS8_jjjS8_jjjj ; -- Begin function _ZL13mul_mat_vec_qIL9ggml_type20ELi2ELb0ELb0EEvPKvS2_PKi31ggml_cuda_mm_fusion_args_devicePfj15HIP_vector_typeIjLj3EEjjjS8_jjjS8_jjjj
	.p2align	8
	.type	_ZL13mul_mat_vec_qIL9ggml_type20ELi2ELb0ELb0EEvPKvS2_PKi31ggml_cuda_mm_fusion_args_devicePfj15HIP_vector_typeIjLj3EEjjjS8_jjjS8_jjjj,@function
_ZL13mul_mat_vec_qIL9ggml_type20ELi2ELb0ELb0EEvPKvS2_PKi31ggml_cuda_mm_fusion_args_devicePfj15HIP_vector_typeIjLj3EEjjjS8_jjjS8_jjjj: ; @_ZL13mul_mat_vec_qIL9ggml_type20ELi2ELb0ELb0EEvPKvS2_PKi31ggml_cuda_mm_fusion_args_devicePfj15HIP_vector_typeIjLj3EEjjjS8_jjjS8_jjjj
; %bb.0:
	s_clause 0x5
	s_load_dwordx4 s[16:19], s[4:5], 0x80
	s_load_dword s9, s[4:5], 0x40
	s_load_dwordx4 s[0:3], s[4:5], 0x50
	s_load_dword s24, s[4:5], 0x60
	;; [unrolled: 2-line block ×3, first 2 shown]
	v_lshl_or_b32 v2, v1, 5, v0
	v_mov_b32_e32 v4, 0
	v_mov_b32_e32 v6, 0
	v_lshrrev_b16 v3, 1, v2
	v_and_b32_e32 v5, 0xffff, v3
	s_waitcnt lgkmcnt(0)
	s_lshr_b32 s19, s9, 5
	s_mov_b32 s9, exec_lo
	v_cmpx_gt_u32_e64 s19, v5
	s_cbranch_execz .LBB233_4
; %bb.1:
	s_load_dwordx4 s[20:23], s[4:5], 0x0
	v_lshlrev_b32_e32 v3, 1, v0
	s_mul_i32 s10, s17, s8
	s_mul_i32 s11, s13, s7
	v_and_b32_e32 v6, 1, v0
	s_mul_hi_u32 s17, s10, 36
	v_and_b32_e32 v9, 2, v3
	s_mul_i32 s10, s10, 36
	v_lshrrev_b32_e32 v2, 1, v2
	s_mul_hi_u32 s26, s11, 36
	s_mul_i32 s11, s11, 36
	s_mul_hi_u32 s13, s3, s7
	s_mul_hi_u32 s15, s15, s8
	v_lshlrev_b32_e32 v7, 3, v6
	v_lshlrev_b32_e32 v6, 1, v9
	s_mul_i32 s0, s0, s6
	v_mov_b32_e32 v4, 0
	v_lshlrev_b32_e32 v9, 2, v9
	s_mov_b32 s3, 0
	v_lshlrev_b32_e32 v8, 1, v6
	s_waitcnt lgkmcnt(0)
	s_add_u32 s10, s22, s10
	s_addc_u32 s17, s23, s17
	s_add_u32 s10, s10, s11
	s_addc_u32 s11, s17, s26
	s_add_i32 s13, s7, s13
	s_add_i32 s15, s8, s15
	s_lshr_b32 s13, s13, s24
	v_mad_u64_u32 v[2:3], null, v2, 36, s[10:11]
	s_lshr_b32 s15, s15, s25
	s_mul_i32 s12, s13, s12
	v_mov_b32_e32 v6, 0
	s_mul_i32 s13, s15, s16
	s_add_i32 s12, s12, s0
	s_mov_b32 s15, 0x71594535
	s_add_i32 s12, s13, s12
	s_mov_b32 s13, 0xf6eaddcf
	s_mov_b32 s16, 0x4040404
.LBB233_2:                              ; =>This Inner Loop Header: Depth=1
	v_add_nc_u32_e32 v10, s12, v5
	v_add_nc_u32_e32 v14, s1, v5
	;; [unrolled: 1-line block ×3, first 2 shown]
	v_mad_i64_i32 v[10:11], null, v10, 18, s[20:21]
	v_mad_u64_u32 v[14:15], null, v14, 36, s[10:11]
	v_cmp_le_u32_e64 s0, s19, v5
	v_add_co_u32 v12, vcc_lo, v10, v8
	v_add_co_ci_u32_e64 v13, null, 0, v11, vcc_lo
	v_add_co_u32 v16, vcc_lo, v2, v7
	v_add_co_ci_u32_e64 v17, null, 0, v3, vcc_lo
	global_load_dwordx2 v[12:13], v[12:13], off offset:2
	v_add_co_u32 v18, vcc_lo, v14, v9
	v_add_co_ci_u32_e64 v19, null, 0, v15, vcc_lo
	global_load_dwordx2 v[20:21], v[16:17], off offset:4
	global_load_dwordx2 v[22:23], v[18:19], off offset:4
	;; [unrolled: 1-line block ×4, first 2 shown]
	global_load_dword v24, v[2:3], off
	global_load_ushort v10, v[10:11], off
	global_load_dword v11, v[14:15], off
	v_mov_b32_e32 v14, 0
	v_mov_b32_e32 v15, 0
	v_add_co_u32 v2, vcc_lo, 0x240, v2
	v_add_co_ci_u32_e64 v3, null, 0, v3, vcc_lo
	s_or_b32 s3, s0, s3
	s_waitcnt vmcnt(7)
	v_ashrrev_i32_e32 v25, 4, v12
	v_and_b32_e32 v26, 0x7070707, v12
	v_lshrrev_b32_e32 v12, 1, v12
	v_ashrrev_i32_e32 v27, 4, v13
	v_and_b32_e32 v28, 0x7070707, v13
	v_and_b32_e32 v30, 0x7070707, v25
	v_perm_b32 v29, s13, 0xbfad9881, v26
	v_perm_b32 v26, s15, 0x26190d01, v26
	v_and_or_b32 v12, v12, s16, 0x3020100
	v_lshrrev_b32_e32 v25, 1, v25
	v_lshrrev_b32_e32 v13, 1, v13
	v_perm_b32 v33, s13, 0xbfad9881, v30
	v_perm_b32 v30, s15, 0x26190d01, v30
	;; [unrolled: 1-line block ×3, first 2 shown]
	v_and_or_b32 v25, v25, s16, 0x3020100
	v_perm_b32 v31, s13, 0xbfad9881, v28
	v_and_b32_e32 v32, 0x7070707, v27
	v_perm_b32 v28, s15, 0x26190d01, v28
	v_and_or_b32 v13, v13, s16, 0x3020100
	v_lshrrev_b32_e32 v27, 1, v27
	v_perm_b32 v25, v30, v33, v25
	s_waitcnt vmcnt(6)
	v_dot4c_i32_i8 v14, v12, v20
	s_waitcnt vmcnt(5)
	v_dot4c_i32_i8 v15, v12, v22
	v_perm_b32 v26, s13, 0xbfad9881, v32
	v_perm_b32 v29, s15, 0x26190d01, v32
	v_perm_b32 v12, v28, v31, v13
	v_and_or_b32 v13, v27, s16, 0x3020100
	s_waitcnt vmcnt(4)
	v_dot4c_i32_i8 v14, v25, v16
	s_waitcnt vmcnt(3)
	v_dot4c_i32_i8 v15, v25, v18
	s_waitcnt vmcnt(2)
	v_cvt_f32_f16_e32 v16, v24
	s_waitcnt vmcnt(1)
	v_cvt_f32_f16_e32 v10, v10
	v_perm_b32 v13, v29, v26, v13
	v_dot4c_i32_i8 v14, v12, v21
	v_dot4c_i32_i8 v15, v12, v23
	s_waitcnt vmcnt(0)
	v_cvt_f32_f16_e32 v11, v11
	v_mul_f32_e32 v12, v10, v16
	v_dot4c_i32_i8 v14, v13, v17
	v_dot4c_i32_i8 v15, v13, v19
	v_mul_f32_e32 v10, v10, v11
	v_cvt_f32_i32_e32 v11, v14
	v_cvt_f32_i32_e32 v13, v15
	v_fmac_f32_e32 v6, v12, v11
	v_fmac_f32_e32 v4, v10, v13
	s_andn2_b32 exec_lo, exec_lo, s3
	s_cbranch_execnz .LBB233_2
; %bb.3:
	s_or_b32 exec_lo, exec_lo, s3
.LBB233_4:
	s_or_b32 exec_lo, exec_lo, s9
	s_mov_b32 s1, 0
	; wave barrier
	buffer_gl0_inv
	s_mov_b32 s0, exec_lo
	v_cmpx_eq_u32_e32 0, v1
	s_cbranch_execz .LBB233_9
; %bb.5:
	v_mbcnt_lo_u32_b32 v7, -1, 0
	s_load_dwordx2 s[4:5], s[4:5], 0x38
	s_mul_i32 s0, s14, s7
	s_mul_i32 s3, s18, s8
	s_add_i32 s0, s0, s6
	v_xor_b32_e32 v1, 16, v7
	v_xor_b32_e32 v2, 8, v7
	s_add_i32 s0, s0, s3
	s_lshl_b64 s[0:1], s[0:1], 2
	v_cmp_gt_i32_e32 vcc_lo, 32, v1
	v_cndmask_b32_e32 v1, v7, v1, vcc_lo
	v_cmp_gt_i32_e32 vcc_lo, 32, v2
	v_lshlrev_b32_e32 v1, 2, v1
	v_cndmask_b32_e32 v2, v7, v2, vcc_lo
	s_waitcnt lgkmcnt(0)
	s_add_u32 s0, s4, s0
	s_addc_u32 s1, s5, s1
	ds_bpermute_b32 v3, v1, v6
	v_lshlrev_b32_e32 v2, 2, v2
	s_waitcnt lgkmcnt(0)
	v_add_f32_e32 v5, v6, v3
	v_xor_b32_e32 v3, 4, v7
	ds_bpermute_b32 v6, v2, v5
	v_cmp_gt_i32_e32 vcc_lo, 32, v3
	v_cndmask_b32_e32 v3, v7, v3, vcc_lo
	v_lshlrev_b32_e32 v3, 2, v3
	s_waitcnt lgkmcnt(0)
	v_add_f32_e32 v6, v5, v6
	v_xor_b32_e32 v5, 2, v7
	ds_bpermute_b32 v8, v3, v6
	v_cmp_gt_i32_e32 vcc_lo, 32, v5
	v_cndmask_b32_e32 v5, v7, v5, vcc_lo
	;; [unrolled: 7-line block ×3, first 2 shown]
	v_cmp_eq_u32_e32 vcc_lo, 0, v0
	v_lshlrev_b32_e32 v6, 2, v6
	s_waitcnt lgkmcnt(0)
	v_add_f32_e32 v7, v8, v9
	ds_bpermute_b32 v8, v6, v7
	s_and_saveexec_b32 s3, vcc_lo
	s_cbranch_execz .LBB233_7
; %bb.6:
	s_waitcnt lgkmcnt(0)
	v_add_f32_e32 v0, v7, v8
	v_mov_b32_e32 v7, 0
	global_store_dword v7, v0, s[0:1]
.LBB233_7:
	s_or_b32 exec_lo, exec_lo, s3
	ds_bpermute_b32 v0, v1, v4
	s_waitcnt lgkmcnt(0)
	v_add_f32_e32 v0, v4, v0
	ds_bpermute_b32 v1, v2, v0
	s_waitcnt lgkmcnt(0)
	v_add_f32_e32 v0, v0, v1
	ds_bpermute_b32 v1, v3, v0
	s_waitcnt lgkmcnt(0)
	v_add_f32_e32 v0, v0, v1
	ds_bpermute_b32 v1, v5, v0
	s_waitcnt lgkmcnt(0)
	v_add_f32_e32 v0, v0, v1
	ds_bpermute_b32 v1, v6, v0
	s_and_b32 exec_lo, exec_lo, vcc_lo
	s_cbranch_execz .LBB233_9
; %bb.8:
	s_mov_b32 s3, 0
	s_waitcnt lgkmcnt(0)
	v_add_f32_e32 v0, v0, v1
	s_lshl_b64 s[2:3], s[2:3], 2
	v_mov_b32_e32 v1, 0
	s_add_u32 s0, s0, s2
	s_addc_u32 s1, s1, s3
	global_store_dword v1, v0, s[0:1]
.LBB233_9:
	s_endpgm
	.section	.rodata,"a",@progbits
	.p2align	6, 0x0
	.amdhsa_kernel _ZL13mul_mat_vec_qIL9ggml_type20ELi2ELb0ELb0EEvPKvS2_PKi31ggml_cuda_mm_fusion_args_devicePfj15HIP_vector_typeIjLj3EEjjjS8_jjjS8_jjjj
		.amdhsa_group_segment_fixed_size 0
		.amdhsa_private_segment_fixed_size 0
		.amdhsa_kernarg_size 144
		.amdhsa_user_sgpr_count 6
		.amdhsa_user_sgpr_private_segment_buffer 1
		.amdhsa_user_sgpr_dispatch_ptr 0
		.amdhsa_user_sgpr_queue_ptr 0
		.amdhsa_user_sgpr_kernarg_segment_ptr 1
		.amdhsa_user_sgpr_dispatch_id 0
		.amdhsa_user_sgpr_flat_scratch_init 0
		.amdhsa_user_sgpr_private_segment_size 0
		.amdhsa_wavefront_size32 1
		.amdhsa_uses_dynamic_stack 0
		.amdhsa_system_sgpr_private_segment_wavefront_offset 0
		.amdhsa_system_sgpr_workgroup_id_x 1
		.amdhsa_system_sgpr_workgroup_id_y 1
		.amdhsa_system_sgpr_workgroup_id_z 1
		.amdhsa_system_sgpr_workgroup_info 0
		.amdhsa_system_vgpr_workitem_id 1
		.amdhsa_next_free_vgpr 34
		.amdhsa_next_free_sgpr 27
		.amdhsa_reserve_vcc 1
		.amdhsa_reserve_flat_scratch 0
		.amdhsa_float_round_mode_32 0
		.amdhsa_float_round_mode_16_64 0
		.amdhsa_float_denorm_mode_32 3
		.amdhsa_float_denorm_mode_16_64 3
		.amdhsa_dx10_clamp 1
		.amdhsa_ieee_mode 1
		.amdhsa_fp16_overflow 0
		.amdhsa_workgroup_processor_mode 1
		.amdhsa_memory_ordered 1
		.amdhsa_forward_progress 1
		.amdhsa_shared_vgpr_count 0
		.amdhsa_exception_fp_ieee_invalid_op 0
		.amdhsa_exception_fp_denorm_src 0
		.amdhsa_exception_fp_ieee_div_zero 0
		.amdhsa_exception_fp_ieee_overflow 0
		.amdhsa_exception_fp_ieee_underflow 0
		.amdhsa_exception_fp_ieee_inexact 0
		.amdhsa_exception_int_div_zero 0
	.end_amdhsa_kernel
	.section	.text._ZL13mul_mat_vec_qIL9ggml_type20ELi2ELb0ELb0EEvPKvS2_PKi31ggml_cuda_mm_fusion_args_devicePfj15HIP_vector_typeIjLj3EEjjjS8_jjjS8_jjjj,"axG",@progbits,_ZL13mul_mat_vec_qIL9ggml_type20ELi2ELb0ELb0EEvPKvS2_PKi31ggml_cuda_mm_fusion_args_devicePfj15HIP_vector_typeIjLj3EEjjjS8_jjjS8_jjjj,comdat
.Lfunc_end233:
	.size	_ZL13mul_mat_vec_qIL9ggml_type20ELi2ELb0ELb0EEvPKvS2_PKi31ggml_cuda_mm_fusion_args_devicePfj15HIP_vector_typeIjLj3EEjjjS8_jjjS8_jjjj, .Lfunc_end233-_ZL13mul_mat_vec_qIL9ggml_type20ELi2ELb0ELb0EEvPKvS2_PKi31ggml_cuda_mm_fusion_args_devicePfj15HIP_vector_typeIjLj3EEjjjS8_jjjS8_jjjj
                                        ; -- End function
	.set _ZL13mul_mat_vec_qIL9ggml_type20ELi2ELb0ELb0EEvPKvS2_PKi31ggml_cuda_mm_fusion_args_devicePfj15HIP_vector_typeIjLj3EEjjjS8_jjjS8_jjjj.num_vgpr, 34
	.set _ZL13mul_mat_vec_qIL9ggml_type20ELi2ELb0ELb0EEvPKvS2_PKi31ggml_cuda_mm_fusion_args_devicePfj15HIP_vector_typeIjLj3EEjjjS8_jjjS8_jjjj.num_agpr, 0
	.set _ZL13mul_mat_vec_qIL9ggml_type20ELi2ELb0ELb0EEvPKvS2_PKi31ggml_cuda_mm_fusion_args_devicePfj15HIP_vector_typeIjLj3EEjjjS8_jjjS8_jjjj.numbered_sgpr, 27
	.set _ZL13mul_mat_vec_qIL9ggml_type20ELi2ELb0ELb0EEvPKvS2_PKi31ggml_cuda_mm_fusion_args_devicePfj15HIP_vector_typeIjLj3EEjjjS8_jjjS8_jjjj.num_named_barrier, 0
	.set _ZL13mul_mat_vec_qIL9ggml_type20ELi2ELb0ELb0EEvPKvS2_PKi31ggml_cuda_mm_fusion_args_devicePfj15HIP_vector_typeIjLj3EEjjjS8_jjjS8_jjjj.private_seg_size, 0
	.set _ZL13mul_mat_vec_qIL9ggml_type20ELi2ELb0ELb0EEvPKvS2_PKi31ggml_cuda_mm_fusion_args_devicePfj15HIP_vector_typeIjLj3EEjjjS8_jjjS8_jjjj.uses_vcc, 1
	.set _ZL13mul_mat_vec_qIL9ggml_type20ELi2ELb0ELb0EEvPKvS2_PKi31ggml_cuda_mm_fusion_args_devicePfj15HIP_vector_typeIjLj3EEjjjS8_jjjS8_jjjj.uses_flat_scratch, 0
	.set _ZL13mul_mat_vec_qIL9ggml_type20ELi2ELb0ELb0EEvPKvS2_PKi31ggml_cuda_mm_fusion_args_devicePfj15HIP_vector_typeIjLj3EEjjjS8_jjjS8_jjjj.has_dyn_sized_stack, 0
	.set _ZL13mul_mat_vec_qIL9ggml_type20ELi2ELb0ELb0EEvPKvS2_PKi31ggml_cuda_mm_fusion_args_devicePfj15HIP_vector_typeIjLj3EEjjjS8_jjjS8_jjjj.has_recursion, 0
	.set _ZL13mul_mat_vec_qIL9ggml_type20ELi2ELb0ELb0EEvPKvS2_PKi31ggml_cuda_mm_fusion_args_devicePfj15HIP_vector_typeIjLj3EEjjjS8_jjjS8_jjjj.has_indirect_call, 0
	.section	.AMDGPU.csdata,"",@progbits
; Kernel info:
; codeLenInByte = 1188
; TotalNumSgprs: 29
; NumVgprs: 34
; ScratchSize: 0
; MemoryBound: 0
; FloatMode: 240
; IeeeMode: 1
; LDSByteSize: 0 bytes/workgroup (compile time only)
; SGPRBlocks: 0
; VGPRBlocks: 4
; NumSGPRsForWavesPerEU: 29
; NumVGPRsForWavesPerEU: 34
; Occupancy: 16
; WaveLimiterHint : 0
; COMPUTE_PGM_RSRC2:SCRATCH_EN: 0
; COMPUTE_PGM_RSRC2:USER_SGPR: 6
; COMPUTE_PGM_RSRC2:TRAP_HANDLER: 0
; COMPUTE_PGM_RSRC2:TGID_X_EN: 1
; COMPUTE_PGM_RSRC2:TGID_Y_EN: 1
; COMPUTE_PGM_RSRC2:TGID_Z_EN: 1
; COMPUTE_PGM_RSRC2:TIDIG_COMP_CNT: 1
	.section	.text._ZL13mul_mat_vec_qIL9ggml_type20ELi3ELb0ELb0EEvPKvS2_PKi31ggml_cuda_mm_fusion_args_devicePfj15HIP_vector_typeIjLj3EEjjjS8_jjjS8_jjjj,"axG",@progbits,_ZL13mul_mat_vec_qIL9ggml_type20ELi3ELb0ELb0EEvPKvS2_PKi31ggml_cuda_mm_fusion_args_devicePfj15HIP_vector_typeIjLj3EEjjjS8_jjjS8_jjjj,comdat
	.globl	_ZL13mul_mat_vec_qIL9ggml_type20ELi3ELb0ELb0EEvPKvS2_PKi31ggml_cuda_mm_fusion_args_devicePfj15HIP_vector_typeIjLj3EEjjjS8_jjjS8_jjjj ; -- Begin function _ZL13mul_mat_vec_qIL9ggml_type20ELi3ELb0ELb0EEvPKvS2_PKi31ggml_cuda_mm_fusion_args_devicePfj15HIP_vector_typeIjLj3EEjjjS8_jjjS8_jjjj
	.p2align	8
	.type	_ZL13mul_mat_vec_qIL9ggml_type20ELi3ELb0ELb0EEvPKvS2_PKi31ggml_cuda_mm_fusion_args_devicePfj15HIP_vector_typeIjLj3EEjjjS8_jjjS8_jjjj,@function
_ZL13mul_mat_vec_qIL9ggml_type20ELi3ELb0ELb0EEvPKvS2_PKi31ggml_cuda_mm_fusion_args_devicePfj15HIP_vector_typeIjLj3EEjjjS8_jjjS8_jjjj: ; @_ZL13mul_mat_vec_qIL9ggml_type20ELi3ELb0ELb0EEvPKvS2_PKi31ggml_cuda_mm_fusion_args_devicePfj15HIP_vector_typeIjLj3EEjjjS8_jjjS8_jjjj
; %bb.0:
	s_clause 0x5
	s_load_dwordx4 s[16:19], s[4:5], 0x80
	s_load_dword s9, s[4:5], 0x40
	s_load_dwordx4 s[0:3], s[4:5], 0x50
	s_load_dword s24, s[4:5], 0x60
	;; [unrolled: 2-line block ×3, first 2 shown]
	v_lshl_or_b32 v2, v1, 5, v0
	v_mov_b32_e32 v4, 0
	v_mov_b32_e32 v5, 0
	;; [unrolled: 1-line block ×3, first 2 shown]
	v_lshrrev_b16 v3, 1, v2
	v_and_b32_e32 v6, 0xffff, v3
	s_waitcnt lgkmcnt(0)
	s_lshr_b32 s19, s9, 5
	s_mov_b32 s9, exec_lo
	v_cmpx_gt_u32_e64 s19, v6
	s_cbranch_execz .LBB234_4
; %bb.1:
	s_load_dwordx4 s[20:23], s[4:5], 0x0
	v_lshlrev_b32_e32 v3, 1, v0
	s_mul_i32 s10, s17, s8
	s_mul_i32 s11, s13, s7
	s_mul_i32 s13, s0, s6
	s_mul_hi_u32 s0, s3, s7
	s_mul_hi_u32 s3, s15, s8
	v_and_b32_e32 v5, 1, v0
	s_mul_hi_u32 s15, s10, 36
	v_and_b32_e32 v7, 2, v3
	s_mul_i32 s10, s10, 36
	v_lshrrev_b32_e32 v2, 1, v2
	s_mul_hi_u32 s17, s11, 36
	s_mul_i32 s11, s11, 36
	v_lshlrev_b32_e32 v8, 3, v5
	v_lshlrev_b32_e32 v5, 1, v7
	v_mov_b32_e32 v4, 0
	v_lshlrev_b32_e32 v10, 2, v7
	v_mov_b32_e32 v7, 0
	v_lshlrev_b32_e32 v9, 1, v5
	s_waitcnt lgkmcnt(0)
	s_add_u32 s10, s22, s10
	s_addc_u32 s15, s23, s15
	s_add_u32 s10, s10, s11
	s_addc_u32 s11, s15, s17
	s_add_i32 s15, s7, s0
	s_add_i32 s3, s8, s3
	s_lshr_b32 s15, s15, s24
	v_mad_u64_u32 v[2:3], null, v2, 36, s[10:11]
	s_lshr_b32 s3, s3, s25
	s_mul_i32 s12, s15, s12
	v_mov_b32_e32 v5, 0
	s_mul_i32 s3, s3, s16
	s_add_i32 s12, s12, s13
	s_lshl_b32 s0, s1, 1
	s_add_i32 s12, s3, s12
	s_mov_b32 s3, 0
	s_mov_b32 s13, 0xf6eaddcf
	;; [unrolled: 1-line block ×4, first 2 shown]
.LBB234_2:                              ; =>This Inner Loop Header: Depth=1
	v_add_nc_u32_e32 v13, s12, v6
	v_add_nc_u32_e32 v17, s0, v6
	;; [unrolled: 1-line block ×3, first 2 shown]
	v_add_co_u32 v11, vcc_lo, v2, v8
	v_mad_i64_i32 v[13:14], null, v13, 18, s[20:21]
	v_mad_u64_u32 v[17:18], null, v17, 36, s[10:11]
	v_mad_u64_u32 v[19:20], null, v19, 36, s[10:11]
	v_add_co_ci_u32_e64 v12, null, 0, v3, vcc_lo
	v_add_co_u32 v21, vcc_lo, v13, v9
	v_add_co_ci_u32_e64 v22, null, 0, v14, vcc_lo
	v_add_co_u32 v23, vcc_lo, v17, v10
	;; [unrolled: 2-line block ×3, first 2 shown]
	v_add_co_ci_u32_e64 v26, null, 0, v20, vcc_lo
	s_clause 0x2
	global_load_dword v29, v[2:3], off
	global_load_dwordx2 v[15:16], v[11:12], off offset:4
	global_load_dwordx2 v[11:12], v[11:12], off offset:20
	s_clause 0x1
	global_load_dwordx2 v[21:22], v[21:22], off offset:2
	global_load_ushort v30, v[13:14], off
	s_clause 0x5
	global_load_dwordx2 v[13:14], v[23:24], off offset:4
	global_load_dwordx2 v[23:24], v[23:24], off offset:20
	;; [unrolled: 1-line block ×4, first 2 shown]
	global_load_dword v17, v[17:18], off
	global_load_dword v18, v[19:20], off
	v_mov_b32_e32 v19, 0
	v_mov_b32_e32 v20, 0
	;; [unrolled: 1-line block ×3, first 2 shown]
	v_add_nc_u32_e32 v6, 16, v6
	v_add_co_u32 v2, vcc_lo, 0x240, v2
	v_add_co_ci_u32_e64 v3, null, 0, v3, vcc_lo
	v_cmp_le_u32_e32 vcc_lo, s19, v6
	s_or_b32 s3, vcc_lo, s3
	s_waitcnt vmcnt(7)
	v_ashrrev_i32_e32 v32, 4, v21
	v_and_b32_e32 v33, 0x7070707, v21
	v_lshrrev_b32_e32 v21, 1, v21
	v_ashrrev_i32_e32 v34, 4, v22
	v_and_b32_e32 v35, 0x7070707, v22
	v_and_b32_e32 v37, 0x7070707, v32
	v_perm_b32 v36, s13, 0xbfad9881, v33
	v_perm_b32 v33, s15, 0x26190d01, v33
	v_and_or_b32 v21, v21, s16, 0x3020100
	v_lshrrev_b32_e32 v32, 1, v32
	v_lshrrev_b32_e32 v22, 1, v22
	v_perm_b32 v40, s13, 0xbfad9881, v37
	v_perm_b32 v37, s15, 0x26190d01, v37
	;; [unrolled: 1-line block ×3, first 2 shown]
	v_and_or_b32 v32, v32, s16, 0x3020100
	v_perm_b32 v38, s13, 0xbfad9881, v35
	v_and_b32_e32 v39, 0x7070707, v34
	v_perm_b32 v35, s15, 0x26190d01, v35
	v_and_or_b32 v22, v22, s16, 0x3020100
	v_lshrrev_b32_e32 v34, 1, v34
	v_perm_b32 v32, v37, v40, v32
	v_dot4c_i32_i8 v19, v21, v15
	s_waitcnt vmcnt(3)
	v_dot4c_i32_i8 v20, v21, v27
	v_dot4c_i32_i8 v31, v21, v13
	v_perm_b32 v33, s13, 0xbfad9881, v39
	v_perm_b32 v36, s15, 0x26190d01, v39
	;; [unrolled: 1-line block ×3, first 2 shown]
	v_and_or_b32 v13, v34, s16, 0x3020100
	v_dot4c_i32_i8 v19, v32, v11
	s_waitcnt vmcnt(2)
	v_dot4c_i32_i8 v20, v32, v25
	v_dot4c_i32_i8 v31, v32, v23
	v_cvt_f32_f16_e32 v29, v29
	v_perm_b32 v11, v36, v33, v13
	v_dot4c_i32_i8 v19, v22, v16
	v_dot4c_i32_i8 v20, v22, v28
	;; [unrolled: 1-line block ×3, first 2 shown]
	v_cvt_f32_f16_e32 v30, v30
	s_waitcnt vmcnt(0)
	v_cvt_f32_f16_e32 v18, v18
	v_cvt_f32_f16_e32 v17, v17
	v_dot4c_i32_i8 v19, v11, v12
	v_dot4c_i32_i8 v20, v11, v26
	;; [unrolled: 1-line block ×3, first 2 shown]
	v_mul_f32_e32 v29, v30, v29
	v_mul_f32_e32 v13, v30, v18
	;; [unrolled: 1-line block ×3, first 2 shown]
	v_cvt_f32_i32_e32 v12, v19
	v_cvt_f32_i32_e32 v14, v20
	v_cvt_f32_i32_e32 v15, v31
	v_fmac_f32_e32 v7, v29, v12
	v_fmac_f32_e32 v5, v13, v14
	;; [unrolled: 1-line block ×3, first 2 shown]
	s_andn2_b32 exec_lo, exec_lo, s3
	s_cbranch_execnz .LBB234_2
; %bb.3:
	s_or_b32 exec_lo, exec_lo, s3
.LBB234_4:
	s_or_b32 exec_lo, exec_lo, s9
	s_mov_b32 s1, 0
	; wave barrier
	buffer_gl0_inv
	s_mov_b32 s0, exec_lo
	v_cmpx_eq_u32_e32 0, v1
	s_cbranch_execz .LBB234_11
; %bb.5:
	v_mbcnt_lo_u32_b32 v8, -1, 0
	s_load_dwordx2 s[4:5], s[4:5], 0x38
	s_mul_i32 s0, s14, s7
	s_mul_i32 s3, s18, s8
	s_add_i32 s0, s0, s6
	v_xor_b32_e32 v1, 16, v8
	v_xor_b32_e32 v2, 8, v8
	s_add_i32 s0, s0, s3
	s_lshl_b64 s[0:1], s[0:1], 2
	v_cmp_gt_i32_e32 vcc_lo, 32, v1
	v_cndmask_b32_e32 v1, v8, v1, vcc_lo
	v_cmp_gt_i32_e32 vcc_lo, 32, v2
	v_lshlrev_b32_e32 v1, 2, v1
	v_cndmask_b32_e32 v2, v8, v2, vcc_lo
	s_waitcnt lgkmcnt(0)
	s_add_u32 s0, s4, s0
	s_addc_u32 s1, s5, s1
	ds_bpermute_b32 v3, v1, v7
	v_lshlrev_b32_e32 v2, 2, v2
	s_waitcnt lgkmcnt(0)
	v_add_f32_e32 v6, v7, v3
	v_xor_b32_e32 v3, 4, v8
	ds_bpermute_b32 v7, v2, v6
	v_cmp_gt_i32_e32 vcc_lo, 32, v3
	v_cndmask_b32_e32 v3, v8, v3, vcc_lo
	v_lshlrev_b32_e32 v3, 2, v3
	s_waitcnt lgkmcnt(0)
	v_add_f32_e32 v7, v6, v7
	v_xor_b32_e32 v6, 2, v8
	ds_bpermute_b32 v9, v3, v7
	v_cmp_gt_i32_e32 vcc_lo, 32, v6
	v_cndmask_b32_e32 v6, v8, v6, vcc_lo
	;; [unrolled: 7-line block ×3, first 2 shown]
	v_cmp_eq_u32_e32 vcc_lo, 0, v0
	v_lshlrev_b32_e32 v7, 2, v7
	s_waitcnt lgkmcnt(0)
	v_add_f32_e32 v8, v9, v10
	ds_bpermute_b32 v9, v7, v8
	s_and_saveexec_b32 s3, vcc_lo
	s_cbranch_execz .LBB234_7
; %bb.6:
	s_waitcnt lgkmcnt(0)
	v_add_f32_e32 v0, v8, v9
	v_mov_b32_e32 v8, 0
	global_store_dword v8, v0, s[0:1]
.LBB234_7:
	s_or_b32 exec_lo, exec_lo, s3
	ds_bpermute_b32 v0, v1, v5
	s_waitcnt lgkmcnt(0)
	v_add_f32_e32 v0, v5, v0
	ds_bpermute_b32 v5, v2, v0
	s_waitcnt lgkmcnt(0)
	v_add_f32_e32 v0, v0, v5
	;; [unrolled: 3-line block ×4, first 2 shown]
	ds_bpermute_b32 v5, v7, v0
	s_and_saveexec_b32 s4, vcc_lo
	s_cbranch_execz .LBB234_9
; %bb.8:
	s_mov_b32 s3, 0
	s_waitcnt lgkmcnt(0)
	v_add_f32_e32 v0, v0, v5
	s_lshl_b64 s[6:7], s[2:3], 2
	v_mov_b32_e32 v5, 0
	s_add_u32 s6, s0, s6
	s_addc_u32 s7, s1, s7
	global_store_dword v5, v0, s[6:7]
.LBB234_9:
	s_or_b32 exec_lo, exec_lo, s4
	ds_bpermute_b32 v0, v1, v4
	s_waitcnt lgkmcnt(0)
	v_add_f32_e32 v0, v4, v0
	ds_bpermute_b32 v1, v2, v0
	s_waitcnt lgkmcnt(0)
	v_add_f32_e32 v0, v0, v1
	;; [unrolled: 3-line block ×4, first 2 shown]
	ds_bpermute_b32 v1, v7, v0
	s_and_b32 exec_lo, exec_lo, vcc_lo
	s_cbranch_execz .LBB234_11
; %bb.10:
	s_lshl_b32 s2, s2, 1
	s_mov_b32 s3, 0
	s_waitcnt lgkmcnt(0)
	v_add_f32_e32 v0, v0, v1
	s_lshl_b64 s[2:3], s[2:3], 2
	v_mov_b32_e32 v1, 0
	s_add_u32 s0, s0, s2
	s_addc_u32 s1, s1, s3
	global_store_dword v1, v0, s[0:1]
.LBB234_11:
	s_endpgm
	.section	.rodata,"a",@progbits
	.p2align	6, 0x0
	.amdhsa_kernel _ZL13mul_mat_vec_qIL9ggml_type20ELi3ELb0ELb0EEvPKvS2_PKi31ggml_cuda_mm_fusion_args_devicePfj15HIP_vector_typeIjLj3EEjjjS8_jjjS8_jjjj
		.amdhsa_group_segment_fixed_size 0
		.amdhsa_private_segment_fixed_size 0
		.amdhsa_kernarg_size 144
		.amdhsa_user_sgpr_count 6
		.amdhsa_user_sgpr_private_segment_buffer 1
		.amdhsa_user_sgpr_dispatch_ptr 0
		.amdhsa_user_sgpr_queue_ptr 0
		.amdhsa_user_sgpr_kernarg_segment_ptr 1
		.amdhsa_user_sgpr_dispatch_id 0
		.amdhsa_user_sgpr_flat_scratch_init 0
		.amdhsa_user_sgpr_private_segment_size 0
		.amdhsa_wavefront_size32 1
		.amdhsa_uses_dynamic_stack 0
		.amdhsa_system_sgpr_private_segment_wavefront_offset 0
		.amdhsa_system_sgpr_workgroup_id_x 1
		.amdhsa_system_sgpr_workgroup_id_y 1
		.amdhsa_system_sgpr_workgroup_id_z 1
		.amdhsa_system_sgpr_workgroup_info 0
		.amdhsa_system_vgpr_workitem_id 1
		.amdhsa_next_free_vgpr 41
		.amdhsa_next_free_sgpr 26
		.amdhsa_reserve_vcc 1
		.amdhsa_reserve_flat_scratch 0
		.amdhsa_float_round_mode_32 0
		.amdhsa_float_round_mode_16_64 0
		.amdhsa_float_denorm_mode_32 3
		.amdhsa_float_denorm_mode_16_64 3
		.amdhsa_dx10_clamp 1
		.amdhsa_ieee_mode 1
		.amdhsa_fp16_overflow 0
		.amdhsa_workgroup_processor_mode 1
		.amdhsa_memory_ordered 1
		.amdhsa_forward_progress 1
		.amdhsa_shared_vgpr_count 0
		.amdhsa_exception_fp_ieee_invalid_op 0
		.amdhsa_exception_fp_denorm_src 0
		.amdhsa_exception_fp_ieee_div_zero 0
		.amdhsa_exception_fp_ieee_overflow 0
		.amdhsa_exception_fp_ieee_underflow 0
		.amdhsa_exception_fp_ieee_inexact 0
		.amdhsa_exception_int_div_zero 0
	.end_amdhsa_kernel
	.section	.text._ZL13mul_mat_vec_qIL9ggml_type20ELi3ELb0ELb0EEvPKvS2_PKi31ggml_cuda_mm_fusion_args_devicePfj15HIP_vector_typeIjLj3EEjjjS8_jjjS8_jjjj,"axG",@progbits,_ZL13mul_mat_vec_qIL9ggml_type20ELi3ELb0ELb0EEvPKvS2_PKi31ggml_cuda_mm_fusion_args_devicePfj15HIP_vector_typeIjLj3EEjjjS8_jjjS8_jjjj,comdat
.Lfunc_end234:
	.size	_ZL13mul_mat_vec_qIL9ggml_type20ELi3ELb0ELb0EEvPKvS2_PKi31ggml_cuda_mm_fusion_args_devicePfj15HIP_vector_typeIjLj3EEjjjS8_jjjS8_jjjj, .Lfunc_end234-_ZL13mul_mat_vec_qIL9ggml_type20ELi3ELb0ELb0EEvPKvS2_PKi31ggml_cuda_mm_fusion_args_devicePfj15HIP_vector_typeIjLj3EEjjjS8_jjjS8_jjjj
                                        ; -- End function
	.set _ZL13mul_mat_vec_qIL9ggml_type20ELi3ELb0ELb0EEvPKvS2_PKi31ggml_cuda_mm_fusion_args_devicePfj15HIP_vector_typeIjLj3EEjjjS8_jjjS8_jjjj.num_vgpr, 41
	.set _ZL13mul_mat_vec_qIL9ggml_type20ELi3ELb0ELb0EEvPKvS2_PKi31ggml_cuda_mm_fusion_args_devicePfj15HIP_vector_typeIjLj3EEjjjS8_jjjS8_jjjj.num_agpr, 0
	.set _ZL13mul_mat_vec_qIL9ggml_type20ELi3ELb0ELb0EEvPKvS2_PKi31ggml_cuda_mm_fusion_args_devicePfj15HIP_vector_typeIjLj3EEjjjS8_jjjS8_jjjj.numbered_sgpr, 26
	.set _ZL13mul_mat_vec_qIL9ggml_type20ELi3ELb0ELb0EEvPKvS2_PKi31ggml_cuda_mm_fusion_args_devicePfj15HIP_vector_typeIjLj3EEjjjS8_jjjS8_jjjj.num_named_barrier, 0
	.set _ZL13mul_mat_vec_qIL9ggml_type20ELi3ELb0ELb0EEvPKvS2_PKi31ggml_cuda_mm_fusion_args_devicePfj15HIP_vector_typeIjLj3EEjjjS8_jjjS8_jjjj.private_seg_size, 0
	.set _ZL13mul_mat_vec_qIL9ggml_type20ELi3ELb0ELb0EEvPKvS2_PKi31ggml_cuda_mm_fusion_args_devicePfj15HIP_vector_typeIjLj3EEjjjS8_jjjS8_jjjj.uses_vcc, 1
	.set _ZL13mul_mat_vec_qIL9ggml_type20ELi3ELb0ELb0EEvPKvS2_PKi31ggml_cuda_mm_fusion_args_devicePfj15HIP_vector_typeIjLj3EEjjjS8_jjjS8_jjjj.uses_flat_scratch, 0
	.set _ZL13mul_mat_vec_qIL9ggml_type20ELi3ELb0ELb0EEvPKvS2_PKi31ggml_cuda_mm_fusion_args_devicePfj15HIP_vector_typeIjLj3EEjjjS8_jjjS8_jjjj.has_dyn_sized_stack, 0
	.set _ZL13mul_mat_vec_qIL9ggml_type20ELi3ELb0ELb0EEvPKvS2_PKi31ggml_cuda_mm_fusion_args_devicePfj15HIP_vector_typeIjLj3EEjjjS8_jjjS8_jjjj.has_recursion, 0
	.set _ZL13mul_mat_vec_qIL9ggml_type20ELi3ELb0ELb0EEvPKvS2_PKi31ggml_cuda_mm_fusion_args_devicePfj15HIP_vector_typeIjLj3EEjjjS8_jjjS8_jjjj.has_indirect_call, 0
	.section	.AMDGPU.csdata,"",@progbits
; Kernel info:
; codeLenInByte = 1404
; TotalNumSgprs: 28
; NumVgprs: 41
; ScratchSize: 0
; MemoryBound: 0
; FloatMode: 240
; IeeeMode: 1
; LDSByteSize: 0 bytes/workgroup (compile time only)
; SGPRBlocks: 0
; VGPRBlocks: 5
; NumSGPRsForWavesPerEU: 28
; NumVGPRsForWavesPerEU: 41
; Occupancy: 16
; WaveLimiterHint : 0
; COMPUTE_PGM_RSRC2:SCRATCH_EN: 0
; COMPUTE_PGM_RSRC2:USER_SGPR: 6
; COMPUTE_PGM_RSRC2:TRAP_HANDLER: 0
; COMPUTE_PGM_RSRC2:TGID_X_EN: 1
; COMPUTE_PGM_RSRC2:TGID_Y_EN: 1
; COMPUTE_PGM_RSRC2:TGID_Z_EN: 1
; COMPUTE_PGM_RSRC2:TIDIG_COMP_CNT: 1
	.section	.text._ZL13mul_mat_vec_qIL9ggml_type20ELi4ELb0ELb0EEvPKvS2_PKi31ggml_cuda_mm_fusion_args_devicePfj15HIP_vector_typeIjLj3EEjjjS8_jjjS8_jjjj,"axG",@progbits,_ZL13mul_mat_vec_qIL9ggml_type20ELi4ELb0ELb0EEvPKvS2_PKi31ggml_cuda_mm_fusion_args_devicePfj15HIP_vector_typeIjLj3EEjjjS8_jjjS8_jjjj,comdat
	.globl	_ZL13mul_mat_vec_qIL9ggml_type20ELi4ELb0ELb0EEvPKvS2_PKi31ggml_cuda_mm_fusion_args_devicePfj15HIP_vector_typeIjLj3EEjjjS8_jjjS8_jjjj ; -- Begin function _ZL13mul_mat_vec_qIL9ggml_type20ELi4ELb0ELb0EEvPKvS2_PKi31ggml_cuda_mm_fusion_args_devicePfj15HIP_vector_typeIjLj3EEjjjS8_jjjS8_jjjj
	.p2align	8
	.type	_ZL13mul_mat_vec_qIL9ggml_type20ELi4ELb0ELb0EEvPKvS2_PKi31ggml_cuda_mm_fusion_args_devicePfj15HIP_vector_typeIjLj3EEjjjS8_jjjS8_jjjj,@function
_ZL13mul_mat_vec_qIL9ggml_type20ELi4ELb0ELb0EEvPKvS2_PKi31ggml_cuda_mm_fusion_args_devicePfj15HIP_vector_typeIjLj3EEjjjS8_jjjS8_jjjj: ; @_ZL13mul_mat_vec_qIL9ggml_type20ELi4ELb0ELb0EEvPKvS2_PKi31ggml_cuda_mm_fusion_args_devicePfj15HIP_vector_typeIjLj3EEjjjS8_jjjS8_jjjj
; %bb.0:
	s_clause 0x5
	s_load_dwordx4 s[16:19], s[4:5], 0x80
	s_load_dword s9, s[4:5], 0x40
	s_load_dwordx4 s[0:3], s[4:5], 0x50
	s_load_dword s24, s[4:5], 0x60
	;; [unrolled: 2-line block ×3, first 2 shown]
	v_lshl_or_b32 v2, v1, 5, v0
	v_mov_b32_e32 v4, 0
	v_mov_b32_e32 v5, 0
	;; [unrolled: 1-line block ×4, first 2 shown]
	v_lshrrev_b16 v3, 1, v2
	v_and_b32_e32 v7, 0xffff, v3
	s_waitcnt lgkmcnt(0)
	s_lshr_b32 s19, s9, 5
	s_mov_b32 s9, exec_lo
	v_cmpx_gt_u32_e64 s19, v7
	s_cbranch_execz .LBB235_4
; %bb.1:
	s_load_dwordx4 s[20:23], s[4:5], 0x0
	v_lshlrev_b32_e32 v3, 1, v0
	s_mul_i32 s10, s17, s8
	s_mul_i32 s11, s13, s7
	;; [unrolled: 1-line block ×3, first 2 shown]
	s_mul_hi_u32 s0, s3, s7
	s_mul_hi_u32 s3, s15, s8
	v_and_b32_e32 v5, 1, v0
	s_mul_hi_u32 s15, s10, 36
	v_and_b32_e32 v6, 2, v3
	s_mul_i32 s10, s10, 36
	v_lshrrev_b32_e32 v2, 1, v2
	s_mul_hi_u32 s17, s11, 36
	s_mul_i32 s11, s11, 36
	v_lshlrev_b32_e32 v9, 3, v5
	v_lshlrev_b32_e32 v5, 1, v6
	v_mov_b32_e32 v4, 0
	v_lshlrev_b32_e32 v11, 2, v6
	v_mov_b32_e32 v6, 0
	v_mov_b32_e32 v8, 0
	s_waitcnt lgkmcnt(0)
	s_add_u32 s10, s22, s10
	s_addc_u32 s15, s23, s15
	s_add_u32 s10, s10, s11
	s_addc_u32 s11, s15, s17
	s_add_i32 s15, s7, s0
	s_add_i32 s3, s8, s3
	s_lshr_b32 s15, s15, s24
	v_mad_u64_u32 v[2:3], null, v2, 36, s[10:11]
	s_lshr_b32 s3, s3, s25
	s_mul_i32 s12, s15, s12
	v_lshlrev_b32_e32 v10, 1, v5
	v_mov_b32_e32 v5, 0
	s_mul_i32 s3, s3, s16
	s_add_i32 s12, s12, s13
	s_lshl_b32 s0, s1, 1
	s_add_i32 s3, s3, s12
	s_mul_i32 s13, s1, 3
	s_mov_b32 s12, 0
	s_mov_b32 s15, 0xf6eaddcf
	;; [unrolled: 1-line block ×4, first 2 shown]
.LBB235_2:                              ; =>This Inner Loop Header: Depth=1
	v_add_nc_u32_e32 v14, s3, v7
	v_add_nc_u32_e32 v18, s1, v7
	;; [unrolled: 1-line block ×4, first 2 shown]
	v_add_co_u32 v12, vcc_lo, v2, v9
	v_mad_i64_i32 v[14:15], null, v14, 18, s[20:21]
	v_mad_u64_u32 v[18:19], null, v18, 36, s[10:11]
	v_mad_u64_u32 v[20:21], null, v20, 36, s[10:11]
	;; [unrolled: 1-line block ×3, first 2 shown]
	v_add_co_ci_u32_e64 v13, null, 0, v3, vcc_lo
	v_add_co_u32 v24, vcc_lo, v14, v10
	v_add_co_ci_u32_e64 v25, null, 0, v15, vcc_lo
	v_add_co_u32 v26, vcc_lo, v18, v11
	;; [unrolled: 2-line block ×4, first 2 shown]
	v_add_co_ci_u32_e64 v31, null, 0, v23, vcc_lo
	s_clause 0x2
	global_load_dword v32, v[2:3], off
	global_load_dwordx2 v[16:17], v[12:13], off offset:4
	global_load_dwordx2 v[12:13], v[12:13], off offset:20
	s_clause 0x1
	global_load_dwordx2 v[24:25], v[24:25], off offset:2
	global_load_ushort v33, v[14:15], off
	s_clause 0x8
	global_load_dwordx2 v[14:15], v[26:27], off offset:4
	global_load_dwordx2 v[26:27], v[26:27], off offset:20
	global_load_dword v34, v[20:21], off
	global_load_dword v35, v[18:19], off
	global_load_dwordx2 v[18:19], v[30:31], off offset:20
	global_load_dwordx2 v[20:21], v[28:29], off offset:4
	;; [unrolled: 1-line block ×4, first 2 shown]
	global_load_dword v22, v[22:23], off
	v_mov_b32_e32 v23, 0
	v_mov_b32_e32 v36, 0
	;; [unrolled: 1-line block ×4, first 2 shown]
	v_add_nc_u32_e32 v7, 16, v7
	v_add_co_u32 v2, vcc_lo, 0x240, v2
	v_add_co_ci_u32_e64 v3, null, 0, v3, vcc_lo
	v_cmp_le_u32_e32 vcc_lo, s19, v7
	s_or_b32 s12, vcc_lo, s12
	s_waitcnt vmcnt(10)
	v_ashrrev_i32_e32 v39, 4, v24
	v_and_b32_e32 v40, 0x7070707, v24
	v_lshrrev_b32_e32 v24, 1, v24
	v_ashrrev_i32_e32 v41, 4, v25
	v_and_b32_e32 v42, 0x7070707, v25
	v_and_b32_e32 v44, 0x7070707, v39
	v_perm_b32 v43, s15, 0xbfad9881, v40
	v_perm_b32 v40, s16, 0x26190d01, v40
	v_and_or_b32 v24, v24, s17, 0x3020100
	v_lshrrev_b32_e32 v39, 1, v39
	v_lshrrev_b32_e32 v25, 1, v25
	v_perm_b32 v47, s15, 0xbfad9881, v44
	v_perm_b32 v44, s16, 0x26190d01, v44
	v_perm_b32 v24, v40, v43, v24
	v_and_or_b32 v39, v39, s17, 0x3020100
	v_perm_b32 v45, s15, 0xbfad9881, v42
	v_and_b32_e32 v46, 0x7070707, v41
	v_perm_b32 v42, s16, 0x26190d01, v42
	v_and_or_b32 v25, v25, s17, 0x3020100
	v_lshrrev_b32_e32 v41, 1, v41
	v_perm_b32 v39, v44, v47, v39
	v_dot4c_i32_i8 v23, v24, v16
	s_waitcnt vmcnt(8)
	v_dot4c_i32_i8 v36, v24, v14
	s_waitcnt vmcnt(3)
	;; [unrolled: 2-line block ×3, first 2 shown]
	v_dot4c_i32_i8 v38, v24, v30
	v_perm_b32 v40, s15, 0xbfad9881, v46
	v_perm_b32 v43, s16, 0x26190d01, v46
	;; [unrolled: 1-line block ×3, first 2 shown]
	v_and_or_b32 v14, v41, s17, 0x3020100
	v_dot4c_i32_i8 v23, v39, v12
	v_dot4c_i32_i8 v36, v39, v26
	;; [unrolled: 1-line block ×4, first 2 shown]
	v_perm_b32 v12, v43, v40, v14
	v_dot4c_i32_i8 v23, v25, v17
	v_dot4c_i32_i8 v36, v25, v15
	;; [unrolled: 1-line block ×4, first 2 shown]
	v_cvt_f32_f16_e32 v32, v32
	v_cvt_f32_f16_e32 v33, v33
	;; [unrolled: 1-line block ×4, first 2 shown]
	s_waitcnt vmcnt(0)
	v_cvt_f32_f16_e32 v22, v22
	v_dot4c_i32_i8 v23, v12, v13
	v_dot4c_i32_i8 v36, v12, v27
	v_dot4c_i32_i8 v37, v12, v29
	v_dot4c_i32_i8 v38, v12, v19
	v_mul_f32_e32 v32, v33, v32
	v_mul_f32_e32 v35, v33, v35
	v_mul_f32_e32 v14, v33, v34
	v_mul_f32_e32 v12, v33, v22
	v_cvt_f32_i32_e32 v13, v23
	v_cvt_f32_i32_e32 v15, v36
	;; [unrolled: 1-line block ×4, first 2 shown]
	v_fmac_f32_e32 v8, v32, v13
	v_fmac_f32_e32 v6, v35, v15
	;; [unrolled: 1-line block ×4, first 2 shown]
	s_andn2_b32 exec_lo, exec_lo, s12
	s_cbranch_execnz .LBB235_2
; %bb.3:
	s_or_b32 exec_lo, exec_lo, s12
.LBB235_4:
	s_or_b32 exec_lo, exec_lo, s9
	s_mov_b32 s1, 0
	; wave barrier
	buffer_gl0_inv
	s_mov_b32 s0, exec_lo
	v_cmpx_eq_u32_e32 0, v1
	s_cbranch_execz .LBB235_13
; %bb.5:
	v_mbcnt_lo_u32_b32 v9, -1, 0
	s_load_dwordx2 s[4:5], s[4:5], 0x38
	s_mul_i32 s0, s14, s7
	s_mul_i32 s3, s18, s8
	s_add_i32 s0, s0, s6
	v_xor_b32_e32 v1, 16, v9
	v_xor_b32_e32 v2, 8, v9
	s_add_i32 s0, s0, s3
	s_lshl_b64 s[0:1], s[0:1], 2
	v_cmp_gt_i32_e32 vcc_lo, 32, v1
	v_cndmask_b32_e32 v1, v9, v1, vcc_lo
	v_cmp_gt_i32_e32 vcc_lo, 32, v2
	v_lshlrev_b32_e32 v1, 2, v1
	v_cndmask_b32_e32 v2, v9, v2, vcc_lo
	s_waitcnt lgkmcnt(0)
	s_add_u32 s0, s4, s0
	s_addc_u32 s1, s5, s1
	ds_bpermute_b32 v3, v1, v8
	v_lshlrev_b32_e32 v2, 2, v2
	s_waitcnt lgkmcnt(0)
	v_add_f32_e32 v7, v8, v3
	v_xor_b32_e32 v3, 4, v9
	ds_bpermute_b32 v8, v2, v7
	v_cmp_gt_i32_e32 vcc_lo, 32, v3
	v_cndmask_b32_e32 v3, v9, v3, vcc_lo
	v_lshlrev_b32_e32 v3, 2, v3
	s_waitcnt lgkmcnt(0)
	v_add_f32_e32 v8, v7, v8
	v_xor_b32_e32 v7, 2, v9
	ds_bpermute_b32 v10, v3, v8
	v_cmp_gt_i32_e32 vcc_lo, 32, v7
	v_cndmask_b32_e32 v7, v9, v7, vcc_lo
	;; [unrolled: 7-line block ×3, first 2 shown]
	v_cmp_eq_u32_e32 vcc_lo, 0, v0
	v_lshlrev_b32_e32 v8, 2, v8
	s_waitcnt lgkmcnt(0)
	v_add_f32_e32 v9, v10, v11
	ds_bpermute_b32 v10, v8, v9
	s_and_saveexec_b32 s3, vcc_lo
	s_cbranch_execz .LBB235_7
; %bb.6:
	s_waitcnt lgkmcnt(0)
	v_add_f32_e32 v0, v9, v10
	v_mov_b32_e32 v9, 0
	global_store_dword v9, v0, s[0:1]
.LBB235_7:
	s_or_b32 exec_lo, exec_lo, s3
	ds_bpermute_b32 v0, v1, v6
	s_waitcnt lgkmcnt(0)
	v_add_f32_e32 v0, v6, v0
	ds_bpermute_b32 v6, v2, v0
	s_waitcnt lgkmcnt(0)
	v_add_f32_e32 v0, v0, v6
	;; [unrolled: 3-line block ×4, first 2 shown]
	ds_bpermute_b32 v6, v8, v0
	s_and_saveexec_b32 s4, vcc_lo
	s_cbranch_execz .LBB235_9
; %bb.8:
	s_mov_b32 s3, 0
	s_waitcnt lgkmcnt(0)
	v_add_f32_e32 v0, v0, v6
	s_lshl_b64 s[6:7], s[2:3], 2
	v_mov_b32_e32 v6, 0
	s_add_u32 s6, s0, s6
	s_addc_u32 s7, s1, s7
	global_store_dword v6, v0, s[6:7]
.LBB235_9:
	s_or_b32 exec_lo, exec_lo, s4
	ds_bpermute_b32 v0, v1, v5
	s_waitcnt lgkmcnt(0)
	v_add_f32_e32 v0, v5, v0
	ds_bpermute_b32 v5, v2, v0
	s_waitcnt lgkmcnt(0)
	v_add_f32_e32 v0, v0, v5
	;; [unrolled: 3-line block ×4, first 2 shown]
	ds_bpermute_b32 v5, v8, v0
	s_and_saveexec_b32 s3, vcc_lo
	s_cbranch_execz .LBB235_11
; %bb.10:
	s_lshl_b32 s4, s2, 1
	s_mov_b32 s5, 0
	s_waitcnt lgkmcnt(0)
	v_add_f32_e32 v0, v0, v5
	s_lshl_b64 s[4:5], s[4:5], 2
	v_mov_b32_e32 v5, 0
	s_add_u32 s4, s0, s4
	s_addc_u32 s5, s1, s5
	global_store_dword v5, v0, s[4:5]
.LBB235_11:
	s_or_b32 exec_lo, exec_lo, s3
	ds_bpermute_b32 v0, v1, v4
	s_waitcnt lgkmcnt(0)
	v_add_f32_e32 v0, v4, v0
	ds_bpermute_b32 v1, v2, v0
	s_waitcnt lgkmcnt(0)
	v_add_f32_e32 v0, v0, v1
	;; [unrolled: 3-line block ×4, first 2 shown]
	ds_bpermute_b32 v1, v8, v0
	s_and_b32 exec_lo, exec_lo, vcc_lo
	s_cbranch_execz .LBB235_13
; %bb.12:
	s_mul_i32 s2, s2, 3
	s_mov_b32 s3, 0
	s_waitcnt lgkmcnt(0)
	v_add_f32_e32 v0, v0, v1
	s_lshl_b64 s[2:3], s[2:3], 2
	v_mov_b32_e32 v1, 0
	s_add_u32 s0, s0, s2
	s_addc_u32 s1, s1, s3
	global_store_dword v1, v0, s[0:1]
.LBB235_13:
	s_endpgm
	.section	.rodata,"a",@progbits
	.p2align	6, 0x0
	.amdhsa_kernel _ZL13mul_mat_vec_qIL9ggml_type20ELi4ELb0ELb0EEvPKvS2_PKi31ggml_cuda_mm_fusion_args_devicePfj15HIP_vector_typeIjLj3EEjjjS8_jjjS8_jjjj
		.amdhsa_group_segment_fixed_size 0
		.amdhsa_private_segment_fixed_size 0
		.amdhsa_kernarg_size 144
		.amdhsa_user_sgpr_count 6
		.amdhsa_user_sgpr_private_segment_buffer 1
		.amdhsa_user_sgpr_dispatch_ptr 0
		.amdhsa_user_sgpr_queue_ptr 0
		.amdhsa_user_sgpr_kernarg_segment_ptr 1
		.amdhsa_user_sgpr_dispatch_id 0
		.amdhsa_user_sgpr_flat_scratch_init 0
		.amdhsa_user_sgpr_private_segment_size 0
		.amdhsa_wavefront_size32 1
		.amdhsa_uses_dynamic_stack 0
		.amdhsa_system_sgpr_private_segment_wavefront_offset 0
		.amdhsa_system_sgpr_workgroup_id_x 1
		.amdhsa_system_sgpr_workgroup_id_y 1
		.amdhsa_system_sgpr_workgroup_id_z 1
		.amdhsa_system_sgpr_workgroup_info 0
		.amdhsa_system_vgpr_workitem_id 1
		.amdhsa_next_free_vgpr 48
		.amdhsa_next_free_sgpr 26
		.amdhsa_reserve_vcc 1
		.amdhsa_reserve_flat_scratch 0
		.amdhsa_float_round_mode_32 0
		.amdhsa_float_round_mode_16_64 0
		.amdhsa_float_denorm_mode_32 3
		.amdhsa_float_denorm_mode_16_64 3
		.amdhsa_dx10_clamp 1
		.amdhsa_ieee_mode 1
		.amdhsa_fp16_overflow 0
		.amdhsa_workgroup_processor_mode 1
		.amdhsa_memory_ordered 1
		.amdhsa_forward_progress 1
		.amdhsa_shared_vgpr_count 0
		.amdhsa_exception_fp_ieee_invalid_op 0
		.amdhsa_exception_fp_denorm_src 0
		.amdhsa_exception_fp_ieee_div_zero 0
		.amdhsa_exception_fp_ieee_overflow 0
		.amdhsa_exception_fp_ieee_underflow 0
		.amdhsa_exception_fp_ieee_inexact 0
		.amdhsa_exception_int_div_zero 0
	.end_amdhsa_kernel
	.section	.text._ZL13mul_mat_vec_qIL9ggml_type20ELi4ELb0ELb0EEvPKvS2_PKi31ggml_cuda_mm_fusion_args_devicePfj15HIP_vector_typeIjLj3EEjjjS8_jjjS8_jjjj,"axG",@progbits,_ZL13mul_mat_vec_qIL9ggml_type20ELi4ELb0ELb0EEvPKvS2_PKi31ggml_cuda_mm_fusion_args_devicePfj15HIP_vector_typeIjLj3EEjjjS8_jjjS8_jjjj,comdat
.Lfunc_end235:
	.size	_ZL13mul_mat_vec_qIL9ggml_type20ELi4ELb0ELb0EEvPKvS2_PKi31ggml_cuda_mm_fusion_args_devicePfj15HIP_vector_typeIjLj3EEjjjS8_jjjS8_jjjj, .Lfunc_end235-_ZL13mul_mat_vec_qIL9ggml_type20ELi4ELb0ELb0EEvPKvS2_PKi31ggml_cuda_mm_fusion_args_devicePfj15HIP_vector_typeIjLj3EEjjjS8_jjjS8_jjjj
                                        ; -- End function
	.set _ZL13mul_mat_vec_qIL9ggml_type20ELi4ELb0ELb0EEvPKvS2_PKi31ggml_cuda_mm_fusion_args_devicePfj15HIP_vector_typeIjLj3EEjjjS8_jjjS8_jjjj.num_vgpr, 48
	.set _ZL13mul_mat_vec_qIL9ggml_type20ELi4ELb0ELb0EEvPKvS2_PKi31ggml_cuda_mm_fusion_args_devicePfj15HIP_vector_typeIjLj3EEjjjS8_jjjS8_jjjj.num_agpr, 0
	.set _ZL13mul_mat_vec_qIL9ggml_type20ELi4ELb0ELb0EEvPKvS2_PKi31ggml_cuda_mm_fusion_args_devicePfj15HIP_vector_typeIjLj3EEjjjS8_jjjS8_jjjj.numbered_sgpr, 26
	.set _ZL13mul_mat_vec_qIL9ggml_type20ELi4ELb0ELb0EEvPKvS2_PKi31ggml_cuda_mm_fusion_args_devicePfj15HIP_vector_typeIjLj3EEjjjS8_jjjS8_jjjj.num_named_barrier, 0
	.set _ZL13mul_mat_vec_qIL9ggml_type20ELi4ELb0ELb0EEvPKvS2_PKi31ggml_cuda_mm_fusion_args_devicePfj15HIP_vector_typeIjLj3EEjjjS8_jjjS8_jjjj.private_seg_size, 0
	.set _ZL13mul_mat_vec_qIL9ggml_type20ELi4ELb0ELb0EEvPKvS2_PKi31ggml_cuda_mm_fusion_args_devicePfj15HIP_vector_typeIjLj3EEjjjS8_jjjS8_jjjj.uses_vcc, 1
	.set _ZL13mul_mat_vec_qIL9ggml_type20ELi4ELb0ELb0EEvPKvS2_PKi31ggml_cuda_mm_fusion_args_devicePfj15HIP_vector_typeIjLj3EEjjjS8_jjjS8_jjjj.uses_flat_scratch, 0
	.set _ZL13mul_mat_vec_qIL9ggml_type20ELi4ELb0ELb0EEvPKvS2_PKi31ggml_cuda_mm_fusion_args_devicePfj15HIP_vector_typeIjLj3EEjjjS8_jjjS8_jjjj.has_dyn_sized_stack, 0
	.set _ZL13mul_mat_vec_qIL9ggml_type20ELi4ELb0ELb0EEvPKvS2_PKi31ggml_cuda_mm_fusion_args_devicePfj15HIP_vector_typeIjLj3EEjjjS8_jjjS8_jjjj.has_recursion, 0
	.set _ZL13mul_mat_vec_qIL9ggml_type20ELi4ELb0ELb0EEvPKvS2_PKi31ggml_cuda_mm_fusion_args_devicePfj15HIP_vector_typeIjLj3EEjjjS8_jjjS8_jjjj.has_indirect_call, 0
	.section	.AMDGPU.csdata,"",@progbits
; Kernel info:
; codeLenInByte = 1632
; TotalNumSgprs: 28
; NumVgprs: 48
; ScratchSize: 0
; MemoryBound: 0
; FloatMode: 240
; IeeeMode: 1
; LDSByteSize: 0 bytes/workgroup (compile time only)
; SGPRBlocks: 0
; VGPRBlocks: 5
; NumSGPRsForWavesPerEU: 28
; NumVGPRsForWavesPerEU: 48
; Occupancy: 16
; WaveLimiterHint : 0
; COMPUTE_PGM_RSRC2:SCRATCH_EN: 0
; COMPUTE_PGM_RSRC2:USER_SGPR: 6
; COMPUTE_PGM_RSRC2:TRAP_HANDLER: 0
; COMPUTE_PGM_RSRC2:TGID_X_EN: 1
; COMPUTE_PGM_RSRC2:TGID_Y_EN: 1
; COMPUTE_PGM_RSRC2:TGID_Z_EN: 1
; COMPUTE_PGM_RSRC2:TIDIG_COMP_CNT: 1
	.section	.text._ZL13mul_mat_vec_qIL9ggml_type20ELi5ELb0ELb0EEvPKvS2_PKi31ggml_cuda_mm_fusion_args_devicePfj15HIP_vector_typeIjLj3EEjjjS8_jjjS8_jjjj,"axG",@progbits,_ZL13mul_mat_vec_qIL9ggml_type20ELi5ELb0ELb0EEvPKvS2_PKi31ggml_cuda_mm_fusion_args_devicePfj15HIP_vector_typeIjLj3EEjjjS8_jjjS8_jjjj,comdat
	.globl	_ZL13mul_mat_vec_qIL9ggml_type20ELi5ELb0ELb0EEvPKvS2_PKi31ggml_cuda_mm_fusion_args_devicePfj15HIP_vector_typeIjLj3EEjjjS8_jjjS8_jjjj ; -- Begin function _ZL13mul_mat_vec_qIL9ggml_type20ELi5ELb0ELb0EEvPKvS2_PKi31ggml_cuda_mm_fusion_args_devicePfj15HIP_vector_typeIjLj3EEjjjS8_jjjS8_jjjj
	.p2align	8
	.type	_ZL13mul_mat_vec_qIL9ggml_type20ELi5ELb0ELb0EEvPKvS2_PKi31ggml_cuda_mm_fusion_args_devicePfj15HIP_vector_typeIjLj3EEjjjS8_jjjS8_jjjj,@function
_ZL13mul_mat_vec_qIL9ggml_type20ELi5ELb0ELb0EEvPKvS2_PKi31ggml_cuda_mm_fusion_args_devicePfj15HIP_vector_typeIjLj3EEjjjS8_jjjS8_jjjj: ; @_ZL13mul_mat_vec_qIL9ggml_type20ELi5ELb0ELb0EEvPKvS2_PKi31ggml_cuda_mm_fusion_args_devicePfj15HIP_vector_typeIjLj3EEjjjS8_jjjS8_jjjj
; %bb.0:
	s_clause 0x5
	s_load_dwordx4 s[16:19], s[4:5], 0x80
	s_load_dword s9, s[4:5], 0x40
	s_load_dwordx4 s[0:3], s[4:5], 0x50
	s_load_dword s24, s[4:5], 0x60
	;; [unrolled: 2-line block ×3, first 2 shown]
	v_lshl_or_b32 v2, v1, 5, v0
	v_mov_b32_e32 v4, 0
	v_mov_b32_e32 v5, 0
	;; [unrolled: 1-line block ×4, first 2 shown]
	v_lshrrev_b16 v3, 1, v2
	v_mov_b32_e32 v9, 0
	v_and_b32_e32 v8, 0xffff, v3
	s_waitcnt lgkmcnt(0)
	s_lshr_b32 s19, s9, 5
	s_mov_b32 s9, exec_lo
	v_cmpx_gt_u32_e64 s19, v8
	s_cbranch_execz .LBB236_4
; %bb.1:
	s_load_dwordx4 s[20:23], s[4:5], 0x0
	v_lshlrev_b32_e32 v3, 1, v0
	s_mul_i32 s10, s17, s8
	s_mul_i32 s11, s13, s7
	;; [unrolled: 1-line block ×3, first 2 shown]
	s_mul_hi_u32 s0, s3, s7
	s_mul_hi_u32 s3, s15, s8
	v_and_b32_e32 v5, 1, v0
	s_mul_hi_u32 s15, s10, 36
	v_and_b32_e32 v6, 2, v3
	s_mul_i32 s10, s10, 36
	v_lshrrev_b32_e32 v2, 1, v2
	s_mul_hi_u32 s17, s11, 36
	s_mul_i32 s11, s11, 36
	v_lshlrev_b32_e32 v10, 3, v5
	v_lshlrev_b32_e32 v5, 1, v6
	v_mov_b32_e32 v4, 0
	v_lshlrev_b32_e32 v12, 2, v6
	v_mov_b32_e32 v6, 0
	v_mov_b32_e32 v9, 0
	s_waitcnt lgkmcnt(0)
	s_add_u32 s10, s22, s10
	s_addc_u32 s15, s23, s15
	s_add_u32 s10, s10, s11
	s_addc_u32 s11, s15, s17
	s_add_i32 s15, s7, s0
	s_add_i32 s3, s8, s3
	s_lshr_b32 s15, s15, s24
	v_mad_u64_u32 v[2:3], null, v2, 36, s[10:11]
	s_lshr_b32 s3, s3, s25
	s_mul_i32 s12, s15, s12
	v_lshlrev_b32_e32 v11, 1, v5
	v_mov_b32_e32 v5, 0
	v_mov_b32_e32 v7, 0
	s_mul_i32 s3, s3, s16
	s_add_i32 s12, s12, s13
	s_lshl_b32 s0, s1, 1
	s_add_i32 s3, s3, s12
	s_mul_i32 s12, s1, 3
	s_lshl_b32 s15, s1, 2
	s_mov_b32 s13, 0
	s_mov_b32 s16, 0xf6eaddcf
	;; [unrolled: 1-line block ×4, first 2 shown]
.LBB236_2:                              ; =>This Inner Loop Header: Depth=1
	v_add_nc_u32_e32 v15, s3, v8
	v_add_nc_u32_e32 v19, s1, v8
	;; [unrolled: 1-line block ×5, first 2 shown]
	v_mad_i64_i32 v[15:16], null, v15, 18, s[20:21]
	v_mad_u64_u32 v[19:20], null, v19, 36, s[10:11]
	v_mad_u64_u32 v[21:22], null, v21, 36, s[10:11]
	v_add_co_u32 v13, vcc_lo, v2, v10
	v_mad_u64_u32 v[23:24], null, v23, 36, s[10:11]
	v_add_co_ci_u32_e64 v14, null, 0, v3, vcc_lo
	v_mad_u64_u32 v[25:26], null, v25, 36, s[10:11]
	v_add_co_u32 v27, vcc_lo, v15, v11
	v_add_co_ci_u32_e64 v28, null, 0, v16, vcc_lo
	v_add_co_u32 v29, vcc_lo, v19, v12
	v_add_co_ci_u32_e64 v30, null, 0, v20, vcc_lo
	;; [unrolled: 2-line block ×5, first 2 shown]
	s_clause 0x2
	global_load_dword v37, v[2:3], off
	global_load_dwordx2 v[17:18], v[13:14], off offset:4
	global_load_dwordx2 v[13:14], v[13:14], off offset:20
	s_clause 0x1
	global_load_dwordx2 v[27:28], v[27:28], off offset:2
	global_load_ushort v38, v[15:16], off
	s_clause 0xb
	global_load_dwordx2 v[15:16], v[29:30], off offset:4
	global_load_dwordx2 v[29:30], v[29:30], off offset:20
	global_load_dword v39, v[21:22], off
	global_load_dword v40, v[19:20], off
	global_load_dwordx2 v[19:20], v[31:32], off offset:4
	global_load_dwordx2 v[21:22], v[31:32], off offset:20
	global_load_dwordx2 v[31:32], v[33:34], off offset:4
	global_load_dword v41, v[23:24], off
	global_load_dwordx2 v[23:24], v[33:34], off offset:20
	global_load_dwordx2 v[33:34], v[35:36], off offset:4
	;; [unrolled: 1-line block ×3, first 2 shown]
	global_load_dword v25, v[25:26], off
	v_mov_b32_e32 v26, 0
	v_mov_b32_e32 v42, 0
	;; [unrolled: 1-line block ×5, first 2 shown]
	v_add_nc_u32_e32 v8, 16, v8
	v_add_co_u32 v2, vcc_lo, 0x240, v2
	v_add_co_ci_u32_e64 v3, null, 0, v3, vcc_lo
	v_cmp_le_u32_e32 vcc_lo, s19, v8
	s_or_b32 s13, vcc_lo, s13
	s_waitcnt vmcnt(13)
	v_ashrrev_i32_e32 v46, 4, v27
	v_and_b32_e32 v47, 0x7070707, v27
	v_lshrrev_b32_e32 v27, 1, v27
	s_waitcnt vmcnt(12)
	v_cvt_f32_f16_e32 v38, v38
	s_waitcnt vmcnt(9)
	v_cvt_f32_f16_e32 v39, v39
	;; [unrolled: 2-line block ×3, first 2 shown]
	v_perm_b32 v50, s16, 0xbfad9881, v47
	v_and_b32_e32 v51, 0x7070707, v46
	v_perm_b32 v47, s17, 0x26190d01, v47
	s_waitcnt vmcnt(4)
	v_cvt_f32_f16_e32 v41, v41
	v_and_or_b32 v27, v27, s22, 0x3020100
	v_cvt_f32_f16_e32 v37, v37
	v_lshrrev_b32_e32 v46, 1, v46
	s_waitcnt vmcnt(0)
	v_cvt_f32_f16_e32 v25, v25
	v_ashrrev_i32_e32 v48, 4, v28
	v_and_b32_e32 v49, 0x7070707, v28
	v_lshrrev_b32_e32 v28, 1, v28
	v_mul_f32_e32 v37, v38, v37
	v_mul_f32_e32 v40, v38, v40
	;; [unrolled: 1-line block ×5, first 2 shown]
	v_perm_b32 v38, s16, 0xbfad9881, v51
	v_perm_b32 v51, s17, 0x26190d01, v51
	v_and_or_b32 v46, v46, s22, 0x3020100
	v_perm_b32 v27, v47, v50, v27
	v_perm_b32 v52, s16, 0xbfad9881, v49
	v_and_b32_e32 v53, 0x7070707, v48
	v_perm_b32 v49, s17, 0x26190d01, v49
	v_and_or_b32 v28, v28, s22, 0x3020100
	v_lshrrev_b32_e32 v48, 1, v48
	v_perm_b32 v38, v51, v38, v46
	v_dot4c_i32_i8 v26, v27, v17
	v_dot4c_i32_i8 v42, v27, v15
	;; [unrolled: 1-line block ×5, first 2 shown]
	v_perm_b32 v54, s16, 0xbfad9881, v53
	v_perm_b32 v53, s17, 0x26190d01, v53
	v_and_or_b32 v48, v48, s22, 0x3020100
	v_perm_b32 v28, v49, v52, v28
	v_dot4c_i32_i8 v26, v38, v13
	v_dot4c_i32_i8 v42, v38, v29
	;; [unrolled: 1-line block ×5, first 2 shown]
	v_perm_b32 v46, v53, v54, v48
	v_dot4c_i32_i8 v26, v28, v18
	v_dot4c_i32_i8 v42, v28, v16
	;; [unrolled: 1-line block ×10, first 2 shown]
	v_cvt_f32_i32_e32 v13, v26
	v_cvt_f32_i32_e32 v14, v42
	v_cvt_f32_i32_e32 v15, v43
	v_cvt_f32_i32_e32 v16, v44
	v_cvt_f32_i32_e32 v17, v45
	v_fmac_f32_e32 v9, v37, v13
	v_fmac_f32_e32 v7, v40, v14
	;; [unrolled: 1-line block ×5, first 2 shown]
	s_andn2_b32 exec_lo, exec_lo, s13
	s_cbranch_execnz .LBB236_2
; %bb.3:
	s_or_b32 exec_lo, exec_lo, s13
.LBB236_4:
	s_or_b32 exec_lo, exec_lo, s9
	s_mov_b32 s1, 0
	; wave barrier
	buffer_gl0_inv
	s_mov_b32 s0, exec_lo
	v_cmpx_eq_u32_e32 0, v1
	s_cbranch_execz .LBB236_15
; %bb.5:
	v_mbcnt_lo_u32_b32 v10, -1, 0
	s_load_dwordx2 s[4:5], s[4:5], 0x38
	s_mul_i32 s0, s14, s7
	s_mul_i32 s3, s18, s8
	s_add_i32 s0, s0, s6
	v_xor_b32_e32 v1, 16, v10
	v_xor_b32_e32 v2, 8, v10
	s_add_i32 s0, s0, s3
	s_lshl_b64 s[0:1], s[0:1], 2
	v_cmp_gt_i32_e32 vcc_lo, 32, v1
	v_cndmask_b32_e32 v1, v10, v1, vcc_lo
	v_cmp_gt_i32_e32 vcc_lo, 32, v2
	v_lshlrev_b32_e32 v1, 2, v1
	v_cndmask_b32_e32 v2, v10, v2, vcc_lo
	s_waitcnt lgkmcnt(0)
	s_add_u32 s0, s4, s0
	s_addc_u32 s1, s5, s1
	ds_bpermute_b32 v3, v1, v9
	v_lshlrev_b32_e32 v2, 2, v2
	s_waitcnt lgkmcnt(0)
	v_add_f32_e32 v8, v9, v3
	v_xor_b32_e32 v3, 4, v10
	ds_bpermute_b32 v9, v2, v8
	v_cmp_gt_i32_e32 vcc_lo, 32, v3
	v_cndmask_b32_e32 v3, v10, v3, vcc_lo
	v_lshlrev_b32_e32 v3, 2, v3
	s_waitcnt lgkmcnt(0)
	v_add_f32_e32 v9, v8, v9
	v_xor_b32_e32 v8, 2, v10
	ds_bpermute_b32 v11, v3, v9
	v_cmp_gt_i32_e32 vcc_lo, 32, v8
	v_cndmask_b32_e32 v8, v10, v8, vcc_lo
	;; [unrolled: 7-line block ×3, first 2 shown]
	v_cmp_eq_u32_e32 vcc_lo, 0, v0
	v_lshlrev_b32_e32 v9, 2, v9
	s_waitcnt lgkmcnt(0)
	v_add_f32_e32 v10, v11, v12
	ds_bpermute_b32 v11, v9, v10
	s_and_saveexec_b32 s3, vcc_lo
	s_cbranch_execz .LBB236_7
; %bb.6:
	s_waitcnt lgkmcnt(0)
	v_add_f32_e32 v0, v10, v11
	v_mov_b32_e32 v10, 0
	global_store_dword v10, v0, s[0:1]
.LBB236_7:
	s_or_b32 exec_lo, exec_lo, s3
	ds_bpermute_b32 v0, v1, v7
	s_waitcnt lgkmcnt(0)
	v_add_f32_e32 v0, v7, v0
	ds_bpermute_b32 v7, v2, v0
	s_waitcnt lgkmcnt(0)
	v_add_f32_e32 v0, v0, v7
	ds_bpermute_b32 v7, v3, v0
	s_waitcnt lgkmcnt(0)
	v_add_f32_e32 v0, v0, v7
	ds_bpermute_b32 v7, v8, v0
	s_waitcnt lgkmcnt(0)
	v_add_f32_e32 v0, v0, v7
	ds_bpermute_b32 v7, v9, v0
	s_and_saveexec_b32 s4, vcc_lo
	s_cbranch_execz .LBB236_9
; %bb.8:
	s_mov_b32 s3, 0
	s_waitcnt lgkmcnt(0)
	v_add_f32_e32 v0, v0, v7
	s_lshl_b64 s[6:7], s[2:3], 2
	v_mov_b32_e32 v7, 0
	s_add_u32 s6, s0, s6
	s_addc_u32 s7, s1, s7
	global_store_dword v7, v0, s[6:7]
.LBB236_9:
	s_or_b32 exec_lo, exec_lo, s4
	ds_bpermute_b32 v0, v1, v6
	s_waitcnt lgkmcnt(0)
	v_add_f32_e32 v0, v6, v0
	ds_bpermute_b32 v6, v2, v0
	s_waitcnt lgkmcnt(0)
	v_add_f32_e32 v0, v0, v6
	;; [unrolled: 3-line block ×4, first 2 shown]
	ds_bpermute_b32 v6, v9, v0
	s_and_saveexec_b32 s3, vcc_lo
	s_cbranch_execz .LBB236_11
; %bb.10:
	s_lshl_b32 s4, s2, 1
	s_mov_b32 s5, 0
	s_waitcnt lgkmcnt(0)
	v_add_f32_e32 v0, v0, v6
	s_lshl_b64 s[4:5], s[4:5], 2
	v_mov_b32_e32 v6, 0
	s_add_u32 s4, s0, s4
	s_addc_u32 s5, s1, s5
	global_store_dword v6, v0, s[4:5]
.LBB236_11:
	s_or_b32 exec_lo, exec_lo, s3
	ds_bpermute_b32 v0, v1, v5
	s_waitcnt lgkmcnt(0)
	v_add_f32_e32 v0, v5, v0
	ds_bpermute_b32 v5, v2, v0
	s_waitcnt lgkmcnt(0)
	v_add_f32_e32 v0, v0, v5
	;; [unrolled: 3-line block ×4, first 2 shown]
	ds_bpermute_b32 v5, v9, v0
	s_and_saveexec_b32 s3, vcc_lo
	s_cbranch_execz .LBB236_13
; %bb.12:
	s_mul_i32 s4, s2, 3
	s_mov_b32 s5, 0
	s_waitcnt lgkmcnt(0)
	v_add_f32_e32 v0, v0, v5
	s_lshl_b64 s[4:5], s[4:5], 2
	v_mov_b32_e32 v5, 0
	s_add_u32 s4, s0, s4
	s_addc_u32 s5, s1, s5
	global_store_dword v5, v0, s[4:5]
.LBB236_13:
	s_or_b32 exec_lo, exec_lo, s3
	ds_bpermute_b32 v0, v1, v4
	s_waitcnt lgkmcnt(0)
	v_add_f32_e32 v0, v4, v0
	ds_bpermute_b32 v1, v2, v0
	s_waitcnt lgkmcnt(0)
	v_add_f32_e32 v0, v0, v1
	;; [unrolled: 3-line block ×4, first 2 shown]
	ds_bpermute_b32 v1, v9, v0
	s_and_b32 exec_lo, exec_lo, vcc_lo
	s_cbranch_execz .LBB236_15
; %bb.14:
	s_lshl_b32 s2, s2, 2
	s_mov_b32 s3, 0
	s_waitcnt lgkmcnt(0)
	v_add_f32_e32 v0, v0, v1
	s_lshl_b64 s[2:3], s[2:3], 2
	v_mov_b32_e32 v1, 0
	s_add_u32 s0, s0, s2
	s_addc_u32 s1, s1, s3
	global_store_dword v1, v0, s[0:1]
.LBB236_15:
	s_endpgm
	.section	.rodata,"a",@progbits
	.p2align	6, 0x0
	.amdhsa_kernel _ZL13mul_mat_vec_qIL9ggml_type20ELi5ELb0ELb0EEvPKvS2_PKi31ggml_cuda_mm_fusion_args_devicePfj15HIP_vector_typeIjLj3EEjjjS8_jjjS8_jjjj
		.amdhsa_group_segment_fixed_size 0
		.amdhsa_private_segment_fixed_size 0
		.amdhsa_kernarg_size 144
		.amdhsa_user_sgpr_count 6
		.amdhsa_user_sgpr_private_segment_buffer 1
		.amdhsa_user_sgpr_dispatch_ptr 0
		.amdhsa_user_sgpr_queue_ptr 0
		.amdhsa_user_sgpr_kernarg_segment_ptr 1
		.amdhsa_user_sgpr_dispatch_id 0
		.amdhsa_user_sgpr_flat_scratch_init 0
		.amdhsa_user_sgpr_private_segment_size 0
		.amdhsa_wavefront_size32 1
		.amdhsa_uses_dynamic_stack 0
		.amdhsa_system_sgpr_private_segment_wavefront_offset 0
		.amdhsa_system_sgpr_workgroup_id_x 1
		.amdhsa_system_sgpr_workgroup_id_y 1
		.amdhsa_system_sgpr_workgroup_id_z 1
		.amdhsa_system_sgpr_workgroup_info 0
		.amdhsa_system_vgpr_workitem_id 1
		.amdhsa_next_free_vgpr 55
		.amdhsa_next_free_sgpr 26
		.amdhsa_reserve_vcc 1
		.amdhsa_reserve_flat_scratch 0
		.amdhsa_float_round_mode_32 0
		.amdhsa_float_round_mode_16_64 0
		.amdhsa_float_denorm_mode_32 3
		.amdhsa_float_denorm_mode_16_64 3
		.amdhsa_dx10_clamp 1
		.amdhsa_ieee_mode 1
		.amdhsa_fp16_overflow 0
		.amdhsa_workgroup_processor_mode 1
		.amdhsa_memory_ordered 1
		.amdhsa_forward_progress 1
		.amdhsa_shared_vgpr_count 0
		.amdhsa_exception_fp_ieee_invalid_op 0
		.amdhsa_exception_fp_denorm_src 0
		.amdhsa_exception_fp_ieee_div_zero 0
		.amdhsa_exception_fp_ieee_overflow 0
		.amdhsa_exception_fp_ieee_underflow 0
		.amdhsa_exception_fp_ieee_inexact 0
		.amdhsa_exception_int_div_zero 0
	.end_amdhsa_kernel
	.section	.text._ZL13mul_mat_vec_qIL9ggml_type20ELi5ELb0ELb0EEvPKvS2_PKi31ggml_cuda_mm_fusion_args_devicePfj15HIP_vector_typeIjLj3EEjjjS8_jjjS8_jjjj,"axG",@progbits,_ZL13mul_mat_vec_qIL9ggml_type20ELi5ELb0ELb0EEvPKvS2_PKi31ggml_cuda_mm_fusion_args_devicePfj15HIP_vector_typeIjLj3EEjjjS8_jjjS8_jjjj,comdat
.Lfunc_end236:
	.size	_ZL13mul_mat_vec_qIL9ggml_type20ELi5ELb0ELb0EEvPKvS2_PKi31ggml_cuda_mm_fusion_args_devicePfj15HIP_vector_typeIjLj3EEjjjS8_jjjS8_jjjj, .Lfunc_end236-_ZL13mul_mat_vec_qIL9ggml_type20ELi5ELb0ELb0EEvPKvS2_PKi31ggml_cuda_mm_fusion_args_devicePfj15HIP_vector_typeIjLj3EEjjjS8_jjjS8_jjjj
                                        ; -- End function
	.set _ZL13mul_mat_vec_qIL9ggml_type20ELi5ELb0ELb0EEvPKvS2_PKi31ggml_cuda_mm_fusion_args_devicePfj15HIP_vector_typeIjLj3EEjjjS8_jjjS8_jjjj.num_vgpr, 55
	.set _ZL13mul_mat_vec_qIL9ggml_type20ELi5ELb0ELb0EEvPKvS2_PKi31ggml_cuda_mm_fusion_args_devicePfj15HIP_vector_typeIjLj3EEjjjS8_jjjS8_jjjj.num_agpr, 0
	.set _ZL13mul_mat_vec_qIL9ggml_type20ELi5ELb0ELb0EEvPKvS2_PKi31ggml_cuda_mm_fusion_args_devicePfj15HIP_vector_typeIjLj3EEjjjS8_jjjS8_jjjj.numbered_sgpr, 26
	.set _ZL13mul_mat_vec_qIL9ggml_type20ELi5ELb0ELb0EEvPKvS2_PKi31ggml_cuda_mm_fusion_args_devicePfj15HIP_vector_typeIjLj3EEjjjS8_jjjS8_jjjj.num_named_barrier, 0
	.set _ZL13mul_mat_vec_qIL9ggml_type20ELi5ELb0ELb0EEvPKvS2_PKi31ggml_cuda_mm_fusion_args_devicePfj15HIP_vector_typeIjLj3EEjjjS8_jjjS8_jjjj.private_seg_size, 0
	.set _ZL13mul_mat_vec_qIL9ggml_type20ELi5ELb0ELb0EEvPKvS2_PKi31ggml_cuda_mm_fusion_args_devicePfj15HIP_vector_typeIjLj3EEjjjS8_jjjS8_jjjj.uses_vcc, 1
	.set _ZL13mul_mat_vec_qIL9ggml_type20ELi5ELb0ELb0EEvPKvS2_PKi31ggml_cuda_mm_fusion_args_devicePfj15HIP_vector_typeIjLj3EEjjjS8_jjjS8_jjjj.uses_flat_scratch, 0
	.set _ZL13mul_mat_vec_qIL9ggml_type20ELi5ELb0ELb0EEvPKvS2_PKi31ggml_cuda_mm_fusion_args_devicePfj15HIP_vector_typeIjLj3EEjjjS8_jjjS8_jjjj.has_dyn_sized_stack, 0
	.set _ZL13mul_mat_vec_qIL9ggml_type20ELi5ELb0ELb0EEvPKvS2_PKi31ggml_cuda_mm_fusion_args_devicePfj15HIP_vector_typeIjLj3EEjjjS8_jjjS8_jjjj.has_recursion, 0
	.set _ZL13mul_mat_vec_qIL9ggml_type20ELi5ELb0ELb0EEvPKvS2_PKi31ggml_cuda_mm_fusion_args_devicePfj15HIP_vector_typeIjLj3EEjjjS8_jjjS8_jjjj.has_indirect_call, 0
	.section	.AMDGPU.csdata,"",@progbits
; Kernel info:
; codeLenInByte = 1860
; TotalNumSgprs: 28
; NumVgprs: 55
; ScratchSize: 0
; MemoryBound: 0
; FloatMode: 240
; IeeeMode: 1
; LDSByteSize: 0 bytes/workgroup (compile time only)
; SGPRBlocks: 0
; VGPRBlocks: 6
; NumSGPRsForWavesPerEU: 28
; NumVGPRsForWavesPerEU: 55
; Occupancy: 16
; WaveLimiterHint : 0
; COMPUTE_PGM_RSRC2:SCRATCH_EN: 0
; COMPUTE_PGM_RSRC2:USER_SGPR: 6
; COMPUTE_PGM_RSRC2:TRAP_HANDLER: 0
; COMPUTE_PGM_RSRC2:TGID_X_EN: 1
; COMPUTE_PGM_RSRC2:TGID_Y_EN: 1
; COMPUTE_PGM_RSRC2:TGID_Z_EN: 1
; COMPUTE_PGM_RSRC2:TIDIG_COMP_CNT: 1
	.section	.text._ZL13mul_mat_vec_qIL9ggml_type20ELi6ELb0ELb0EEvPKvS2_PKi31ggml_cuda_mm_fusion_args_devicePfj15HIP_vector_typeIjLj3EEjjjS8_jjjS8_jjjj,"axG",@progbits,_ZL13mul_mat_vec_qIL9ggml_type20ELi6ELb0ELb0EEvPKvS2_PKi31ggml_cuda_mm_fusion_args_devicePfj15HIP_vector_typeIjLj3EEjjjS8_jjjS8_jjjj,comdat
	.globl	_ZL13mul_mat_vec_qIL9ggml_type20ELi6ELb0ELb0EEvPKvS2_PKi31ggml_cuda_mm_fusion_args_devicePfj15HIP_vector_typeIjLj3EEjjjS8_jjjS8_jjjj ; -- Begin function _ZL13mul_mat_vec_qIL9ggml_type20ELi6ELb0ELb0EEvPKvS2_PKi31ggml_cuda_mm_fusion_args_devicePfj15HIP_vector_typeIjLj3EEjjjS8_jjjS8_jjjj
	.p2align	8
	.type	_ZL13mul_mat_vec_qIL9ggml_type20ELi6ELb0ELb0EEvPKvS2_PKi31ggml_cuda_mm_fusion_args_devicePfj15HIP_vector_typeIjLj3EEjjjS8_jjjS8_jjjj,@function
_ZL13mul_mat_vec_qIL9ggml_type20ELi6ELb0ELb0EEvPKvS2_PKi31ggml_cuda_mm_fusion_args_devicePfj15HIP_vector_typeIjLj3EEjjjS8_jjjS8_jjjj: ; @_ZL13mul_mat_vec_qIL9ggml_type20ELi6ELb0ELb0EEvPKvS2_PKi31ggml_cuda_mm_fusion_args_devicePfj15HIP_vector_typeIjLj3EEjjjS8_jjjS8_jjjj
; %bb.0:
	s_clause 0x5
	s_load_dwordx4 s[16:19], s[4:5], 0x80
	s_load_dword s9, s[4:5], 0x40
	s_load_dwordx4 s[0:3], s[4:5], 0x50
	s_load_dword s24, s[4:5], 0x60
	;; [unrolled: 2-line block ×3, first 2 shown]
	v_lshl_or_b32 v2, v1, 5, v0
	v_mov_b32_e32 v4, 0
	v_mov_b32_e32 v5, 0
	;; [unrolled: 1-line block ×4, first 2 shown]
	v_lshrrev_b16 v3, 1, v2
	v_mov_b32_e32 v8, 0
	v_mov_b32_e32 v10, 0
	v_and_b32_e32 v9, 0xffff, v3
	s_waitcnt lgkmcnt(0)
	s_lshr_b32 s19, s9, 5
	s_mov_b32 s9, exec_lo
	v_cmpx_gt_u32_e64 s19, v9
	s_cbranch_execz .LBB237_4
; %bb.1:
	s_load_dwordx4 s[20:23], s[4:5], 0x0
	v_lshlrev_b32_e32 v3, 1, v0
	s_mul_i32 s10, s17, s8
	s_mul_i32 s11, s13, s7
	;; [unrolled: 1-line block ×3, first 2 shown]
	s_mul_hi_u32 s0, s3, s7
	s_mul_hi_u32 s3, s15, s8
	v_and_b32_e32 v5, 1, v0
	s_mul_hi_u32 s15, s10, 36
	v_and_b32_e32 v6, 2, v3
	s_mul_i32 s10, s10, 36
	v_lshrrev_b32_e32 v2, 1, v2
	s_mul_hi_u32 s17, s11, 36
	s_mul_i32 s11, s11, 36
	v_lshlrev_b32_e32 v11, 3, v5
	v_lshlrev_b32_e32 v5, 1, v6
	v_mov_b32_e32 v4, 0
	v_lshlrev_b32_e32 v13, 2, v6
	v_mov_b32_e32 v6, 0
	v_mov_b32_e32 v7, 0
	s_waitcnt lgkmcnt(0)
	s_add_u32 s10, s22, s10
	s_addc_u32 s15, s23, s15
	s_add_u32 s10, s10, s11
	s_addc_u32 s11, s15, s17
	s_add_i32 s15, s7, s0
	s_add_i32 s3, s8, s3
	s_lshr_b32 s15, s15, s24
	v_mad_u64_u32 v[2:3], null, v2, 36, s[10:11]
	s_lshr_b32 s3, s3, s25
	s_mul_i32 s12, s15, s12
	v_lshlrev_b32_e32 v12, 1, v5
	v_mov_b32_e32 v5, 0
	v_mov_b32_e32 v8, 0
	;; [unrolled: 1-line block ×3, first 2 shown]
	s_mul_i32 s3, s3, s16
	s_add_i32 s12, s12, s13
	s_lshl_b32 s0, s1, 1
	s_add_i32 s3, s3, s12
	s_mul_i32 s12, s1, 3
	s_lshl_b32 s13, s1, 2
	s_mul_i32 s16, s1, 5
	s_mov_b32 s15, 0
	s_mov_b32 s17, 0xf6eaddcf
	s_mov_b32 s22, 0x71594535
	s_mov_b32 s23, 0x4040404
.LBB237_2:                              ; =>This Inner Loop Header: Depth=1
	v_add_nc_u32_e32 v16, s3, v9
	v_add_nc_u32_e32 v20, s1, v9
	;; [unrolled: 1-line block ×5, first 2 shown]
	v_mad_i64_i32 v[16:17], null, v16, 18, s[20:21]
	v_mad_u64_u32 v[20:21], null, v20, 36, s[10:11]
	v_mad_u64_u32 v[22:23], null, v22, 36, s[10:11]
	v_add_nc_u32_e32 v28, s16, v9
	v_add_co_u32 v14, vcc_lo, v2, v11
	v_mad_u64_u32 v[24:25], null, v24, 36, s[10:11]
	v_add_co_ci_u32_e64 v15, null, 0, v3, vcc_lo
	v_mad_u64_u32 v[26:27], null, v26, 36, s[10:11]
	v_add_co_u32 v30, vcc_lo, v16, v12
	v_mad_u64_u32 v[28:29], null, v28, 36, s[10:11]
	v_add_co_ci_u32_e64 v31, null, 0, v17, vcc_lo
	v_add_co_u32 v32, vcc_lo, v20, v13
	v_add_co_ci_u32_e64 v33, null, 0, v21, vcc_lo
	v_add_co_u32 v34, vcc_lo, v22, v13
	v_add_co_ci_u32_e64 v35, null, 0, v23, vcc_lo
	v_add_co_u32 v36, vcc_lo, v24, v13
	v_add_co_ci_u32_e64 v37, null, 0, v25, vcc_lo
	v_add_co_u32 v38, vcc_lo, v26, v13
	v_add_co_ci_u32_e64 v39, null, 0, v27, vcc_lo
	v_add_co_u32 v40, vcc_lo, v28, v13
	v_add_co_ci_u32_e64 v41, null, 0, v29, vcc_lo
	s_clause 0x2
	global_load_dword v42, v[2:3], off
	global_load_dwordx2 v[18:19], v[14:15], off offset:4
	global_load_dwordx2 v[14:15], v[14:15], off offset:20
	s_clause 0x1
	global_load_dwordx2 v[30:31], v[30:31], off offset:2
	global_load_ushort v43, v[16:17], off
	s_clause 0xe
	global_load_dwordx2 v[16:17], v[32:33], off offset:4
	global_load_dwordx2 v[32:33], v[32:33], off offset:20
	global_load_dword v44, v[22:23], off
	global_load_dword v45, v[20:21], off
	global_load_dwordx2 v[20:21], v[34:35], off offset:4
	global_load_dwordx2 v[22:23], v[34:35], off offset:20
	;; [unrolled: 1-line block ×3, first 2 shown]
	global_load_dword v46, v[24:25], off
	global_load_dwordx2 v[24:25], v[36:37], off offset:20
	global_load_dwordx2 v[36:37], v[38:39], off offset:4
	;; [unrolled: 1-line block ×3, first 2 shown]
	global_load_dword v47, v[26:27], off
	global_load_dwordx2 v[26:27], v[40:41], off offset:4
	global_load_dwordx2 v[40:41], v[40:41], off offset:20
	global_load_dword v28, v[28:29], off
	v_mov_b32_e32 v29, 0
	v_mov_b32_e32 v48, 0
	;; [unrolled: 1-line block ×6, first 2 shown]
	v_add_nc_u32_e32 v9, 16, v9
	v_add_co_u32 v2, vcc_lo, 0x240, v2
	v_add_co_ci_u32_e64 v3, null, 0, v3, vcc_lo
	v_cmp_le_u32_e32 vcc_lo, s19, v9
	s_or_b32 s15, vcc_lo, s15
	s_waitcnt vmcnt(16)
	v_ashrrev_i32_e32 v53, 4, v30
	v_and_b32_e32 v54, 0x7070707, v30
	v_lshrrev_b32_e32 v30, 1, v30
	s_waitcnt vmcnt(15)
	v_cvt_f32_f16_e32 v43, v43
	s_waitcnt vmcnt(12)
	v_cvt_f32_f16_e32 v44, v44
	;; [unrolled: 2-line block ×3, first 2 shown]
	v_perm_b32 v57, s17, 0xbfad9881, v54
	v_and_b32_e32 v58, 0x7070707, v53
	v_perm_b32 v54, s22, 0x26190d01, v54
	s_waitcnt vmcnt(7)
	v_cvt_f32_f16_e32 v46, v46
	v_and_or_b32 v30, v30, s23, 0x3020100
	v_lshrrev_b32_e32 v53, 1, v53
	v_ashrrev_i32_e32 v55, 4, v31
	s_waitcnt vmcnt(3)
	v_cvt_f32_f16_e32 v47, v47
	v_cvt_f32_f16_e32 v42, v42
	v_and_b32_e32 v56, 0x7070707, v31
	s_waitcnt vmcnt(0)
	v_cvt_f32_f16_e32 v28, v28
	v_lshrrev_b32_e32 v31, 1, v31
	v_mul_f32_e32 v45, v43, v45
	v_mul_f32_e32 v42, v43, v42
	;; [unrolled: 1-line block ×6, first 2 shown]
	v_perm_b32 v43, s17, 0xbfad9881, v58
	v_perm_b32 v58, s22, 0x26190d01, v58
	v_and_or_b32 v53, v53, s23, 0x3020100
	v_perm_b32 v30, v54, v57, v30
	v_perm_b32 v59, s17, 0xbfad9881, v56
	v_and_b32_e32 v60, 0x7070707, v55
	v_perm_b32 v56, s22, 0x26190d01, v56
	v_and_or_b32 v31, v31, s23, 0x3020100
	v_lshrrev_b32_e32 v55, 1, v55
	v_perm_b32 v43, v58, v43, v53
	v_dot4c_i32_i8 v29, v30, v18
	v_dot4c_i32_i8 v48, v30, v16
	;; [unrolled: 1-line block ×6, first 2 shown]
	v_perm_b32 v61, s17, 0xbfad9881, v60
	v_perm_b32 v60, s22, 0x26190d01, v60
	v_and_or_b32 v55, v55, s23, 0x3020100
	v_perm_b32 v31, v56, v59, v31
	v_dot4c_i32_i8 v29, v43, v14
	v_dot4c_i32_i8 v48, v43, v32
	;; [unrolled: 1-line block ×6, first 2 shown]
	v_perm_b32 v53, v60, v61, v55
	v_dot4c_i32_i8 v29, v31, v19
	v_dot4c_i32_i8 v48, v31, v17
	;; [unrolled: 1-line block ×12, first 2 shown]
	v_cvt_f32_i32_e32 v14, v29
	v_cvt_f32_i32_e32 v15, v48
	;; [unrolled: 1-line block ×6, first 2 shown]
	v_fmac_f32_e32 v10, v42, v14
	v_fmac_f32_e32 v8, v45, v15
	;; [unrolled: 1-line block ×6, first 2 shown]
	s_andn2_b32 exec_lo, exec_lo, s15
	s_cbranch_execnz .LBB237_2
; %bb.3:
	s_or_b32 exec_lo, exec_lo, s15
.LBB237_4:
	s_or_b32 exec_lo, exec_lo, s9
	s_mov_b32 s1, 0
	; wave barrier
	buffer_gl0_inv
	s_mov_b32 s0, exec_lo
	v_cmpx_eq_u32_e32 0, v1
	s_cbranch_execz .LBB237_17
; %bb.5:
	v_mbcnt_lo_u32_b32 v11, -1, 0
	s_load_dwordx2 s[4:5], s[4:5], 0x38
	s_mul_i32 s0, s14, s7
	s_mul_i32 s3, s18, s8
	s_add_i32 s0, s0, s6
	v_xor_b32_e32 v1, 16, v11
	v_xor_b32_e32 v2, 8, v11
	s_add_i32 s0, s0, s3
	s_lshl_b64 s[0:1], s[0:1], 2
	v_cmp_gt_i32_e32 vcc_lo, 32, v1
	v_cndmask_b32_e32 v1, v11, v1, vcc_lo
	v_cmp_gt_i32_e32 vcc_lo, 32, v2
	v_lshlrev_b32_e32 v1, 2, v1
	v_cndmask_b32_e32 v2, v11, v2, vcc_lo
	s_waitcnt lgkmcnt(0)
	s_add_u32 s0, s4, s0
	s_addc_u32 s1, s5, s1
	ds_bpermute_b32 v3, v1, v10
	v_lshlrev_b32_e32 v2, 2, v2
	s_waitcnt lgkmcnt(0)
	v_add_f32_e32 v9, v10, v3
	v_xor_b32_e32 v3, 4, v11
	ds_bpermute_b32 v10, v2, v9
	v_cmp_gt_i32_e32 vcc_lo, 32, v3
	v_cndmask_b32_e32 v3, v11, v3, vcc_lo
	v_lshlrev_b32_e32 v3, 2, v3
	s_waitcnt lgkmcnt(0)
	v_add_f32_e32 v10, v9, v10
	v_xor_b32_e32 v9, 2, v11
	ds_bpermute_b32 v12, v3, v10
	v_cmp_gt_i32_e32 vcc_lo, 32, v9
	v_cndmask_b32_e32 v9, v11, v9, vcc_lo
	;; [unrolled: 7-line block ×3, first 2 shown]
	v_cmp_eq_u32_e32 vcc_lo, 0, v0
	v_lshlrev_b32_e32 v10, 2, v10
	s_waitcnt lgkmcnt(0)
	v_add_f32_e32 v11, v12, v13
	ds_bpermute_b32 v12, v10, v11
	s_and_saveexec_b32 s3, vcc_lo
	s_cbranch_execz .LBB237_7
; %bb.6:
	s_waitcnt lgkmcnt(0)
	v_add_f32_e32 v0, v11, v12
	v_mov_b32_e32 v11, 0
	global_store_dword v11, v0, s[0:1]
.LBB237_7:
	s_or_b32 exec_lo, exec_lo, s3
	ds_bpermute_b32 v0, v1, v8
	s_waitcnt lgkmcnt(0)
	v_add_f32_e32 v0, v8, v0
	ds_bpermute_b32 v8, v2, v0
	s_waitcnt lgkmcnt(0)
	v_add_f32_e32 v0, v0, v8
	;; [unrolled: 3-line block ×4, first 2 shown]
	ds_bpermute_b32 v8, v10, v0
	s_and_saveexec_b32 s4, vcc_lo
	s_cbranch_execz .LBB237_9
; %bb.8:
	s_mov_b32 s3, 0
	s_waitcnt lgkmcnt(0)
	v_add_f32_e32 v0, v0, v8
	s_lshl_b64 s[6:7], s[2:3], 2
	v_mov_b32_e32 v8, 0
	s_add_u32 s6, s0, s6
	s_addc_u32 s7, s1, s7
	global_store_dword v8, v0, s[6:7]
.LBB237_9:
	s_or_b32 exec_lo, exec_lo, s4
	ds_bpermute_b32 v0, v1, v7
	s_waitcnt lgkmcnt(0)
	v_add_f32_e32 v0, v7, v0
	ds_bpermute_b32 v7, v2, v0
	s_waitcnt lgkmcnt(0)
	v_add_f32_e32 v0, v0, v7
	;; [unrolled: 3-line block ×4, first 2 shown]
	ds_bpermute_b32 v7, v10, v0
	s_and_saveexec_b32 s3, vcc_lo
	s_cbranch_execz .LBB237_11
; %bb.10:
	s_lshl_b32 s4, s2, 1
	s_mov_b32 s5, 0
	s_waitcnt lgkmcnt(0)
	v_add_f32_e32 v0, v0, v7
	s_lshl_b64 s[4:5], s[4:5], 2
	v_mov_b32_e32 v7, 0
	s_add_u32 s4, s0, s4
	s_addc_u32 s5, s1, s5
	global_store_dword v7, v0, s[4:5]
.LBB237_11:
	s_or_b32 exec_lo, exec_lo, s3
	ds_bpermute_b32 v0, v1, v6
	s_waitcnt lgkmcnt(0)
	v_add_f32_e32 v0, v6, v0
	ds_bpermute_b32 v6, v2, v0
	s_waitcnt lgkmcnt(0)
	v_add_f32_e32 v0, v0, v6
	ds_bpermute_b32 v6, v3, v0
	s_waitcnt lgkmcnt(0)
	v_add_f32_e32 v0, v0, v6
	ds_bpermute_b32 v6, v9, v0
	s_waitcnt lgkmcnt(0)
	v_add_f32_e32 v0, v0, v6
	ds_bpermute_b32 v6, v10, v0
	s_and_saveexec_b32 s3, vcc_lo
	s_cbranch_execz .LBB237_13
; %bb.12:
	s_mul_i32 s4, s2, 3
	s_mov_b32 s5, 0
	s_waitcnt lgkmcnt(0)
	v_add_f32_e32 v0, v0, v6
	s_lshl_b64 s[4:5], s[4:5], 2
	v_mov_b32_e32 v6, 0
	s_add_u32 s4, s0, s4
	s_addc_u32 s5, s1, s5
	global_store_dword v6, v0, s[4:5]
.LBB237_13:
	s_or_b32 exec_lo, exec_lo, s3
	ds_bpermute_b32 v0, v1, v5
	s_waitcnt lgkmcnt(0)
	v_add_f32_e32 v0, v5, v0
	ds_bpermute_b32 v5, v2, v0
	s_waitcnt lgkmcnt(0)
	v_add_f32_e32 v0, v0, v5
	;; [unrolled: 3-line block ×4, first 2 shown]
	ds_bpermute_b32 v5, v10, v0
	s_and_saveexec_b32 s3, vcc_lo
	s_cbranch_execz .LBB237_15
; %bb.14:
	s_lshl_b32 s4, s2, 2
	s_mov_b32 s5, 0
	s_waitcnt lgkmcnt(0)
	v_add_f32_e32 v0, v0, v5
	s_lshl_b64 s[4:5], s[4:5], 2
	v_mov_b32_e32 v5, 0
	s_add_u32 s4, s0, s4
	s_addc_u32 s5, s1, s5
	global_store_dword v5, v0, s[4:5]
.LBB237_15:
	s_or_b32 exec_lo, exec_lo, s3
	ds_bpermute_b32 v0, v1, v4
	s_waitcnt lgkmcnt(0)
	v_add_f32_e32 v0, v4, v0
	ds_bpermute_b32 v1, v2, v0
	s_waitcnt lgkmcnt(0)
	v_add_f32_e32 v0, v0, v1
	;; [unrolled: 3-line block ×4, first 2 shown]
	ds_bpermute_b32 v1, v10, v0
	s_and_b32 exec_lo, exec_lo, vcc_lo
	s_cbranch_execz .LBB237_17
; %bb.16:
	s_mul_i32 s2, s2, 5
	s_mov_b32 s3, 0
	s_waitcnt lgkmcnt(0)
	v_add_f32_e32 v0, v0, v1
	s_lshl_b64 s[2:3], s[2:3], 2
	v_mov_b32_e32 v1, 0
	s_add_u32 s0, s0, s2
	s_addc_u32 s1, s1, s3
	global_store_dword v1, v0, s[0:1]
.LBB237_17:
	s_endpgm
	.section	.rodata,"a",@progbits
	.p2align	6, 0x0
	.amdhsa_kernel _ZL13mul_mat_vec_qIL9ggml_type20ELi6ELb0ELb0EEvPKvS2_PKi31ggml_cuda_mm_fusion_args_devicePfj15HIP_vector_typeIjLj3EEjjjS8_jjjS8_jjjj
		.amdhsa_group_segment_fixed_size 0
		.amdhsa_private_segment_fixed_size 0
		.amdhsa_kernarg_size 144
		.amdhsa_user_sgpr_count 6
		.amdhsa_user_sgpr_private_segment_buffer 1
		.amdhsa_user_sgpr_dispatch_ptr 0
		.amdhsa_user_sgpr_queue_ptr 0
		.amdhsa_user_sgpr_kernarg_segment_ptr 1
		.amdhsa_user_sgpr_dispatch_id 0
		.amdhsa_user_sgpr_flat_scratch_init 0
		.amdhsa_user_sgpr_private_segment_size 0
		.amdhsa_wavefront_size32 1
		.amdhsa_uses_dynamic_stack 0
		.amdhsa_system_sgpr_private_segment_wavefront_offset 0
		.amdhsa_system_sgpr_workgroup_id_x 1
		.amdhsa_system_sgpr_workgroup_id_y 1
		.amdhsa_system_sgpr_workgroup_id_z 1
		.amdhsa_system_sgpr_workgroup_info 0
		.amdhsa_system_vgpr_workitem_id 1
		.amdhsa_next_free_vgpr 62
		.amdhsa_next_free_sgpr 26
		.amdhsa_reserve_vcc 1
		.amdhsa_reserve_flat_scratch 0
		.amdhsa_float_round_mode_32 0
		.amdhsa_float_round_mode_16_64 0
		.amdhsa_float_denorm_mode_32 3
		.amdhsa_float_denorm_mode_16_64 3
		.amdhsa_dx10_clamp 1
		.amdhsa_ieee_mode 1
		.amdhsa_fp16_overflow 0
		.amdhsa_workgroup_processor_mode 1
		.amdhsa_memory_ordered 1
		.amdhsa_forward_progress 1
		.amdhsa_shared_vgpr_count 0
		.amdhsa_exception_fp_ieee_invalid_op 0
		.amdhsa_exception_fp_denorm_src 0
		.amdhsa_exception_fp_ieee_div_zero 0
		.amdhsa_exception_fp_ieee_overflow 0
		.amdhsa_exception_fp_ieee_underflow 0
		.amdhsa_exception_fp_ieee_inexact 0
		.amdhsa_exception_int_div_zero 0
	.end_amdhsa_kernel
	.section	.text._ZL13mul_mat_vec_qIL9ggml_type20ELi6ELb0ELb0EEvPKvS2_PKi31ggml_cuda_mm_fusion_args_devicePfj15HIP_vector_typeIjLj3EEjjjS8_jjjS8_jjjj,"axG",@progbits,_ZL13mul_mat_vec_qIL9ggml_type20ELi6ELb0ELb0EEvPKvS2_PKi31ggml_cuda_mm_fusion_args_devicePfj15HIP_vector_typeIjLj3EEjjjS8_jjjS8_jjjj,comdat
.Lfunc_end237:
	.size	_ZL13mul_mat_vec_qIL9ggml_type20ELi6ELb0ELb0EEvPKvS2_PKi31ggml_cuda_mm_fusion_args_devicePfj15HIP_vector_typeIjLj3EEjjjS8_jjjS8_jjjj, .Lfunc_end237-_ZL13mul_mat_vec_qIL9ggml_type20ELi6ELb0ELb0EEvPKvS2_PKi31ggml_cuda_mm_fusion_args_devicePfj15HIP_vector_typeIjLj3EEjjjS8_jjjS8_jjjj
                                        ; -- End function
	.set _ZL13mul_mat_vec_qIL9ggml_type20ELi6ELb0ELb0EEvPKvS2_PKi31ggml_cuda_mm_fusion_args_devicePfj15HIP_vector_typeIjLj3EEjjjS8_jjjS8_jjjj.num_vgpr, 62
	.set _ZL13mul_mat_vec_qIL9ggml_type20ELi6ELb0ELb0EEvPKvS2_PKi31ggml_cuda_mm_fusion_args_devicePfj15HIP_vector_typeIjLj3EEjjjS8_jjjS8_jjjj.num_agpr, 0
	.set _ZL13mul_mat_vec_qIL9ggml_type20ELi6ELb0ELb0EEvPKvS2_PKi31ggml_cuda_mm_fusion_args_devicePfj15HIP_vector_typeIjLj3EEjjjS8_jjjS8_jjjj.numbered_sgpr, 26
	.set _ZL13mul_mat_vec_qIL9ggml_type20ELi6ELb0ELb0EEvPKvS2_PKi31ggml_cuda_mm_fusion_args_devicePfj15HIP_vector_typeIjLj3EEjjjS8_jjjS8_jjjj.num_named_barrier, 0
	.set _ZL13mul_mat_vec_qIL9ggml_type20ELi6ELb0ELb0EEvPKvS2_PKi31ggml_cuda_mm_fusion_args_devicePfj15HIP_vector_typeIjLj3EEjjjS8_jjjS8_jjjj.private_seg_size, 0
	.set _ZL13mul_mat_vec_qIL9ggml_type20ELi6ELb0ELb0EEvPKvS2_PKi31ggml_cuda_mm_fusion_args_devicePfj15HIP_vector_typeIjLj3EEjjjS8_jjjS8_jjjj.uses_vcc, 1
	.set _ZL13mul_mat_vec_qIL9ggml_type20ELi6ELb0ELb0EEvPKvS2_PKi31ggml_cuda_mm_fusion_args_devicePfj15HIP_vector_typeIjLj3EEjjjS8_jjjS8_jjjj.uses_flat_scratch, 0
	.set _ZL13mul_mat_vec_qIL9ggml_type20ELi6ELb0ELb0EEvPKvS2_PKi31ggml_cuda_mm_fusion_args_devicePfj15HIP_vector_typeIjLj3EEjjjS8_jjjS8_jjjj.has_dyn_sized_stack, 0
	.set _ZL13mul_mat_vec_qIL9ggml_type20ELi6ELb0ELb0EEvPKvS2_PKi31ggml_cuda_mm_fusion_args_devicePfj15HIP_vector_typeIjLj3EEjjjS8_jjjS8_jjjj.has_recursion, 0
	.set _ZL13mul_mat_vec_qIL9ggml_type20ELi6ELb0ELb0EEvPKvS2_PKi31ggml_cuda_mm_fusion_args_devicePfj15HIP_vector_typeIjLj3EEjjjS8_jjjS8_jjjj.has_indirect_call, 0
	.section	.AMDGPU.csdata,"",@progbits
; Kernel info:
; codeLenInByte = 2088
; TotalNumSgprs: 28
; NumVgprs: 62
; ScratchSize: 0
; MemoryBound: 0
; FloatMode: 240
; IeeeMode: 1
; LDSByteSize: 0 bytes/workgroup (compile time only)
; SGPRBlocks: 0
; VGPRBlocks: 7
; NumSGPRsForWavesPerEU: 28
; NumVGPRsForWavesPerEU: 62
; Occupancy: 16
; WaveLimiterHint : 0
; COMPUTE_PGM_RSRC2:SCRATCH_EN: 0
; COMPUTE_PGM_RSRC2:USER_SGPR: 6
; COMPUTE_PGM_RSRC2:TRAP_HANDLER: 0
; COMPUTE_PGM_RSRC2:TGID_X_EN: 1
; COMPUTE_PGM_RSRC2:TGID_Y_EN: 1
; COMPUTE_PGM_RSRC2:TGID_Z_EN: 1
; COMPUTE_PGM_RSRC2:TIDIG_COMP_CNT: 1
	.section	.text._ZL13mul_mat_vec_qIL9ggml_type20ELi7ELb0ELb0EEvPKvS2_PKi31ggml_cuda_mm_fusion_args_devicePfj15HIP_vector_typeIjLj3EEjjjS8_jjjS8_jjjj,"axG",@progbits,_ZL13mul_mat_vec_qIL9ggml_type20ELi7ELb0ELb0EEvPKvS2_PKi31ggml_cuda_mm_fusion_args_devicePfj15HIP_vector_typeIjLj3EEjjjS8_jjjS8_jjjj,comdat
	.globl	_ZL13mul_mat_vec_qIL9ggml_type20ELi7ELb0ELb0EEvPKvS2_PKi31ggml_cuda_mm_fusion_args_devicePfj15HIP_vector_typeIjLj3EEjjjS8_jjjS8_jjjj ; -- Begin function _ZL13mul_mat_vec_qIL9ggml_type20ELi7ELb0ELb0EEvPKvS2_PKi31ggml_cuda_mm_fusion_args_devicePfj15HIP_vector_typeIjLj3EEjjjS8_jjjS8_jjjj
	.p2align	8
	.type	_ZL13mul_mat_vec_qIL9ggml_type20ELi7ELb0ELb0EEvPKvS2_PKi31ggml_cuda_mm_fusion_args_devicePfj15HIP_vector_typeIjLj3EEjjjS8_jjjS8_jjjj,@function
_ZL13mul_mat_vec_qIL9ggml_type20ELi7ELb0ELb0EEvPKvS2_PKi31ggml_cuda_mm_fusion_args_devicePfj15HIP_vector_typeIjLj3EEjjjS8_jjjS8_jjjj: ; @_ZL13mul_mat_vec_qIL9ggml_type20ELi7ELb0ELb0EEvPKvS2_PKi31ggml_cuda_mm_fusion_args_devicePfj15HIP_vector_typeIjLj3EEjjjS8_jjjS8_jjjj
; %bb.0:
	s_clause 0x5
	s_load_dwordx4 s[16:19], s[4:5], 0x80
	s_load_dword s9, s[4:5], 0x40
	s_load_dwordx4 s[0:3], s[4:5], 0x50
	s_load_dword s24, s[4:5], 0x60
	;; [unrolled: 2-line block ×3, first 2 shown]
	v_lshl_or_b32 v2, v1, 5, v0
	v_mov_b32_e32 v4, 0
	v_mov_b32_e32 v5, 0
	;; [unrolled: 1-line block ×4, first 2 shown]
	v_lshrrev_b16 v3, 1, v2
	v_mov_b32_e32 v8, 0
	v_mov_b32_e32 v9, 0
	;; [unrolled: 1-line block ×3, first 2 shown]
	v_and_b32_e32 v10, 0xffff, v3
	s_waitcnt lgkmcnt(0)
	s_lshr_b32 s19, s9, 5
	s_mov_b32 s9, exec_lo
	v_cmpx_gt_u32_e64 s19, v10
	s_cbranch_execz .LBB238_4
; %bb.1:
	s_load_dwordx4 s[20:23], s[4:5], 0x0
	v_lshlrev_b32_e32 v3, 1, v0
	s_mul_i32 s10, s17, s8
	s_mul_i32 s11, s13, s7
	;; [unrolled: 1-line block ×3, first 2 shown]
	s_mul_hi_u32 s0, s3, s7
	s_mul_hi_u32 s3, s15, s8
	v_and_b32_e32 v5, 1, v0
	s_mul_hi_u32 s15, s10, 36
	v_and_b32_e32 v6, 2, v3
	s_mul_i32 s10, s10, 36
	v_lshrrev_b32_e32 v2, 1, v2
	s_mul_hi_u32 s17, s11, 36
	s_mul_i32 s11, s11, 36
	v_lshlrev_b32_e32 v12, 3, v5
	v_lshlrev_b32_e32 v5, 1, v6
	v_mov_b32_e32 v4, 0
	v_lshlrev_b32_e32 v14, 2, v6
	v_mov_b32_e32 v6, 0
	v_mov_b32_e32 v7, 0
	s_waitcnt lgkmcnt(0)
	s_add_u32 s10, s22, s10
	s_addc_u32 s15, s23, s15
	s_add_u32 s10, s10, s11
	s_addc_u32 s11, s15, s17
	s_add_i32 s15, s7, s0
	s_add_i32 s3, s8, s3
	s_lshr_b32 s15, s15, s24
	v_mad_u64_u32 v[2:3], null, v2, 36, s[10:11]
	s_lshr_b32 s3, s3, s25
	s_mul_i32 s12, s15, s12
	v_lshlrev_b32_e32 v13, 1, v5
	v_mov_b32_e32 v5, 0
	v_mov_b32_e32 v8, 0
	v_mov_b32_e32 v9, 0
	v_mov_b32_e32 v11, 0
	s_mul_i32 s3, s3, s16
	s_add_i32 s12, s12, s13
	s_lshl_b32 s0, s1, 1
	s_add_i32 s3, s3, s12
	s_mul_i32 s12, s1, 3
	s_lshl_b32 s13, s1, 2
	s_mul_i32 s15, s1, 5
	s_mul_i32 s17, s1, 6
	s_mov_b32 s16, 0
	s_mov_b32 s22, 0xf6eaddcf
	;; [unrolled: 1-line block ×4, first 2 shown]
.LBB238_2:                              ; =>This Inner Loop Header: Depth=1
	v_add_nc_u32_e32 v17, s3, v10
	v_add_nc_u32_e32 v21, s1, v10
	;; [unrolled: 1-line block ×5, first 2 shown]
	v_mad_i64_i32 v[17:18], null, v17, 18, s[20:21]
	v_mad_u64_u32 v[21:22], null, v21, 36, s[10:11]
	v_mad_u64_u32 v[23:24], null, v23, 36, s[10:11]
	v_add_nc_u32_e32 v29, s15, v10
	v_add_co_u32 v15, vcc_lo, v2, v12
	v_mad_u64_u32 v[25:26], null, v25, 36, s[10:11]
	v_add_nc_u32_e32 v31, s17, v10
	v_add_co_ci_u32_e64 v16, null, 0, v3, vcc_lo
	v_mad_u64_u32 v[27:28], null, v27, 36, s[10:11]
	v_add_co_u32 v33, vcc_lo, v17, v13
	v_mad_u64_u32 v[29:30], null, v29, 36, s[10:11]
	v_add_co_ci_u32_e64 v34, null, 0, v18, vcc_lo
	v_add_co_u32 v35, vcc_lo, v21, v14
	v_mad_u64_u32 v[31:32], null, v31, 36, s[10:11]
	v_add_co_ci_u32_e64 v36, null, 0, v22, vcc_lo
	v_add_co_u32 v37, vcc_lo, v23, v14
	v_add_co_ci_u32_e64 v38, null, 0, v24, vcc_lo
	v_add_co_u32 v39, vcc_lo, v25, v14
	;; [unrolled: 2-line block ×5, first 2 shown]
	v_add_co_ci_u32_e64 v46, null, 0, v32, vcc_lo
	s_clause 0x2
	global_load_dword v49, v[2:3], off
	global_load_dwordx2 v[19:20], v[15:16], off offset:4
	global_load_dwordx2 v[15:16], v[15:16], off offset:20
	s_clause 0x1
	global_load_dwordx2 v[33:34], v[33:34], off offset:2
	global_load_ushort v50, v[17:18], off
	s_clause 0x11
	global_load_dwordx2 v[17:18], v[35:36], off offset:4
	global_load_dwordx2 v[35:36], v[35:36], off offset:20
	global_load_dword v51, v[23:24], off
	global_load_dword v52, v[21:22], off
	global_load_dwordx2 v[21:22], v[37:38], off offset:4
	global_load_dwordx2 v[23:24], v[37:38], off offset:20
	global_load_dwordx2 v[37:38], v[39:40], off offset:4
	global_load_dword v53, v[25:26], off
	global_load_dwordx2 v[25:26], v[39:40], off offset:20
	global_load_dwordx2 v[39:40], v[41:42], off offset:4
	global_load_dwordx2 v[41:42], v[41:42], off offset:20
	;; [unrolled: 4-line block ×3, first 2 shown]
	global_load_dwordx2 v[43:44], v[43:44], off offset:20
	global_load_dword v31, v[31:32], off
	global_load_dword v29, v[29:30], off
	v_mov_b32_e32 v30, 0
	v_mov_b32_e32 v32, 0
	;; [unrolled: 1-line block ×5, first 2 shown]
	v_add_nc_u32_e32 v10, 16, v10
	v_add_co_u32 v2, vcc_lo, 0x240, v2
	v_add_co_ci_u32_e64 v3, null, 0, v3, vcc_lo
	v_cmp_le_u32_e32 vcc_lo, s19, v10
	s_or_b32 s16, vcc_lo, s16
	s_waitcnt vmcnt(19)
	v_and_b32_e32 v58, 0x7070707, v33
	v_lshrrev_b32_e32 v59, 1, v33
	v_and_b32_e32 v60, 0x7070707, v34
	v_ashrrev_i32_e32 v33, 4, v33
	s_waitcnt vmcnt(18)
	v_cvt_f32_f16_e32 v50, v50
	v_perm_b32 v61, s22, 0xbfad9881, v58
	v_perm_b32 v58, s23, 0x26190d01, v58
	v_and_or_b32 v59, v59, s24, 0x3020100
	s_waitcnt vmcnt(14)
	v_cvt_f32_f16_e32 v52, v52
	v_cvt_f32_f16_e32 v51, v51
	s_waitcnt vmcnt(10)
	v_cvt_f32_f16_e32 v53, v53
	v_perm_b32 v58, v58, v61, v59
	v_lshrrev_b32_e32 v59, 1, v34
	v_perm_b32 v61, s22, 0xbfad9881, v60
	v_perm_b32 v60, s23, 0x26190d01, v60
	v_ashrrev_i32_e32 v34, 4, v34
	v_dot4c_i32_i8 v30, v58, v19
	v_and_or_b32 v59, v59, s24, 0x3020100
	v_dot4c_i32_i8 v32, v58, v17
	v_dot4c_i32_i8 v55, v58, v21
	;; [unrolled: 1-line block ×3, first 2 shown]
	s_waitcnt vmcnt(8)
	v_dot4c_i32_i8 v57, v58, v39
	v_perm_b32 v59, v60, v61, v59
	v_and_b32_e32 v60, 0x7070707, v33
	v_lshrrev_b32_e32 v33, 1, v33
	v_cvt_f32_f16_e32 v49, v49
	s_waitcnt vmcnt(6)
	v_cvt_f32_f16_e32 v54, v54
	s_waitcnt vmcnt(0)
	v_cvt_f32_f16_e32 v29, v29
	v_perm_b32 v61, s22, 0xbfad9881, v60
	v_perm_b32 v60, s23, 0x26190d01, v60
	v_and_or_b32 v33, v33, s24, 0x3020100
	v_cvt_f32_f16_e32 v31, v31
	v_mul_f32_e32 v49, v50, v49
	v_mul_f32_e32 v52, v50, v52
	;; [unrolled: 1-line block ×3, first 2 shown]
	v_perm_b32 v33, v60, v61, v33
	v_and_b32_e32 v60, 0x7070707, v34
	v_lshrrev_b32_e32 v34, 1, v34
	v_mul_f32_e32 v53, v50, v53
	v_mul_f32_e32 v54, v50, v54
	v_dot4c_i32_i8 v30, v33, v15
	v_perm_b32 v61, s22, 0xbfad9881, v60
	v_perm_b32 v60, s23, 0x26190d01, v60
	v_and_or_b32 v34, v34, s24, 0x3020100
	v_dot4c_i32_i8 v32, v33, v35
	v_dot4c_i32_i8 v55, v33, v23
	;; [unrolled: 1-line block ×4, first 2 shown]
	v_perm_b32 v34, v60, v61, v34
	v_mov_b32_e32 v60, 0
	v_mov_b32_e32 v61, 0
	v_dot4c_i32_i8 v30, v59, v20
	v_dot4c_i32_i8 v32, v59, v18
	;; [unrolled: 1-line block ×16, first 2 shown]
	v_mul_f32_e32 v29, v50, v29
	v_mul_f32_e32 v31, v50, v31
	v_dot4c_i32_i8 v60, v34, v44
	v_dot4c_i32_i8 v61, v34, v46
	v_cvt_f32_i32_e32 v15, v30
	v_cvt_f32_i32_e32 v16, v32
	;; [unrolled: 1-line block ×7, first 2 shown]
	v_fmac_f32_e32 v11, v49, v15
	v_fmac_f32_e32 v9, v52, v16
	;; [unrolled: 1-line block ×7, first 2 shown]
	s_andn2_b32 exec_lo, exec_lo, s16
	s_cbranch_execnz .LBB238_2
; %bb.3:
	s_or_b32 exec_lo, exec_lo, s16
.LBB238_4:
	s_or_b32 exec_lo, exec_lo, s9
	s_mov_b32 s1, 0
	; wave barrier
	buffer_gl0_inv
	s_mov_b32 s0, exec_lo
	v_cmpx_eq_u32_e32 0, v1
	s_cbranch_execz .LBB238_19
; %bb.5:
	v_mbcnt_lo_u32_b32 v12, -1, 0
	s_load_dwordx2 s[4:5], s[4:5], 0x38
	s_mul_i32 s0, s14, s7
	s_mul_i32 s3, s18, s8
	s_add_i32 s0, s0, s6
	v_xor_b32_e32 v1, 16, v12
	v_xor_b32_e32 v2, 8, v12
	s_add_i32 s0, s0, s3
	s_lshl_b64 s[0:1], s[0:1], 2
	v_cmp_gt_i32_e32 vcc_lo, 32, v1
	v_cndmask_b32_e32 v1, v12, v1, vcc_lo
	v_cmp_gt_i32_e32 vcc_lo, 32, v2
	v_lshlrev_b32_e32 v1, 2, v1
	v_cndmask_b32_e32 v2, v12, v2, vcc_lo
	s_waitcnt lgkmcnt(0)
	s_add_u32 s0, s4, s0
	s_addc_u32 s1, s5, s1
	ds_bpermute_b32 v3, v1, v11
	v_lshlrev_b32_e32 v2, 2, v2
	s_waitcnt lgkmcnt(0)
	v_add_f32_e32 v10, v11, v3
	v_xor_b32_e32 v3, 4, v12
	ds_bpermute_b32 v11, v2, v10
	v_cmp_gt_i32_e32 vcc_lo, 32, v3
	v_cndmask_b32_e32 v3, v12, v3, vcc_lo
	v_lshlrev_b32_e32 v3, 2, v3
	s_waitcnt lgkmcnt(0)
	v_add_f32_e32 v11, v10, v11
	v_xor_b32_e32 v10, 2, v12
	ds_bpermute_b32 v13, v3, v11
	v_cmp_gt_i32_e32 vcc_lo, 32, v10
	v_cndmask_b32_e32 v10, v12, v10, vcc_lo
	;; [unrolled: 7-line block ×3, first 2 shown]
	v_cmp_eq_u32_e32 vcc_lo, 0, v0
	v_lshlrev_b32_e32 v11, 2, v11
	s_waitcnt lgkmcnt(0)
	v_add_f32_e32 v12, v13, v14
	ds_bpermute_b32 v13, v11, v12
	s_and_saveexec_b32 s3, vcc_lo
	s_cbranch_execz .LBB238_7
; %bb.6:
	s_waitcnt lgkmcnt(0)
	v_add_f32_e32 v0, v12, v13
	v_mov_b32_e32 v12, 0
	global_store_dword v12, v0, s[0:1]
.LBB238_7:
	s_or_b32 exec_lo, exec_lo, s3
	ds_bpermute_b32 v0, v1, v9
	s_waitcnt lgkmcnt(0)
	v_add_f32_e32 v0, v9, v0
	ds_bpermute_b32 v9, v2, v0
	s_waitcnt lgkmcnt(0)
	v_add_f32_e32 v0, v0, v9
	;; [unrolled: 3-line block ×4, first 2 shown]
	ds_bpermute_b32 v9, v11, v0
	s_and_saveexec_b32 s4, vcc_lo
	s_cbranch_execz .LBB238_9
; %bb.8:
	s_mov_b32 s3, 0
	s_waitcnt lgkmcnt(0)
	v_add_f32_e32 v0, v0, v9
	s_lshl_b64 s[6:7], s[2:3], 2
	v_mov_b32_e32 v9, 0
	s_add_u32 s6, s0, s6
	s_addc_u32 s7, s1, s7
	global_store_dword v9, v0, s[6:7]
.LBB238_9:
	s_or_b32 exec_lo, exec_lo, s4
	ds_bpermute_b32 v0, v1, v8
	s_waitcnt lgkmcnt(0)
	v_add_f32_e32 v0, v8, v0
	ds_bpermute_b32 v8, v2, v0
	s_waitcnt lgkmcnt(0)
	v_add_f32_e32 v0, v0, v8
	;; [unrolled: 3-line block ×4, first 2 shown]
	ds_bpermute_b32 v8, v11, v0
	s_and_saveexec_b32 s3, vcc_lo
	s_cbranch_execz .LBB238_11
; %bb.10:
	s_lshl_b32 s4, s2, 1
	s_mov_b32 s5, 0
	s_waitcnt lgkmcnt(0)
	v_add_f32_e32 v0, v0, v8
	s_lshl_b64 s[4:5], s[4:5], 2
	v_mov_b32_e32 v8, 0
	s_add_u32 s4, s0, s4
	s_addc_u32 s5, s1, s5
	global_store_dword v8, v0, s[4:5]
.LBB238_11:
	s_or_b32 exec_lo, exec_lo, s3
	ds_bpermute_b32 v0, v1, v7
	s_waitcnt lgkmcnt(0)
	v_add_f32_e32 v0, v7, v0
	ds_bpermute_b32 v7, v2, v0
	s_waitcnt lgkmcnt(0)
	v_add_f32_e32 v0, v0, v7
	;; [unrolled: 3-line block ×4, first 2 shown]
	ds_bpermute_b32 v7, v11, v0
	s_and_saveexec_b32 s3, vcc_lo
	s_cbranch_execz .LBB238_13
; %bb.12:
	s_mul_i32 s4, s2, 3
	s_mov_b32 s5, 0
	s_waitcnt lgkmcnt(0)
	v_add_f32_e32 v0, v0, v7
	s_lshl_b64 s[4:5], s[4:5], 2
	v_mov_b32_e32 v7, 0
	s_add_u32 s4, s0, s4
	s_addc_u32 s5, s1, s5
	global_store_dword v7, v0, s[4:5]
.LBB238_13:
	s_or_b32 exec_lo, exec_lo, s3
	ds_bpermute_b32 v0, v1, v6
	s_waitcnt lgkmcnt(0)
	v_add_f32_e32 v0, v6, v0
	ds_bpermute_b32 v6, v2, v0
	s_waitcnt lgkmcnt(0)
	v_add_f32_e32 v0, v0, v6
	;; [unrolled: 3-line block ×4, first 2 shown]
	ds_bpermute_b32 v6, v11, v0
	s_and_saveexec_b32 s3, vcc_lo
	s_cbranch_execz .LBB238_15
; %bb.14:
	s_lshl_b32 s4, s2, 2
	s_mov_b32 s5, 0
	s_waitcnt lgkmcnt(0)
	v_add_f32_e32 v0, v0, v6
	s_lshl_b64 s[4:5], s[4:5], 2
	v_mov_b32_e32 v6, 0
	s_add_u32 s4, s0, s4
	s_addc_u32 s5, s1, s5
	global_store_dword v6, v0, s[4:5]
.LBB238_15:
	s_or_b32 exec_lo, exec_lo, s3
	ds_bpermute_b32 v0, v1, v5
	s_waitcnt lgkmcnt(0)
	v_add_f32_e32 v0, v5, v0
	ds_bpermute_b32 v5, v2, v0
	s_waitcnt lgkmcnt(0)
	v_add_f32_e32 v0, v0, v5
	ds_bpermute_b32 v5, v3, v0
	s_waitcnt lgkmcnt(0)
	v_add_f32_e32 v0, v0, v5
	ds_bpermute_b32 v5, v10, v0
	s_waitcnt lgkmcnt(0)
	v_add_f32_e32 v0, v0, v5
	ds_bpermute_b32 v5, v11, v0
	s_and_saveexec_b32 s3, vcc_lo
	s_cbranch_execz .LBB238_17
; %bb.16:
	s_mul_i32 s4, s2, 5
	s_mov_b32 s5, 0
	s_waitcnt lgkmcnt(0)
	v_add_f32_e32 v0, v0, v5
	s_lshl_b64 s[4:5], s[4:5], 2
	v_mov_b32_e32 v5, 0
	s_add_u32 s4, s0, s4
	s_addc_u32 s5, s1, s5
	global_store_dword v5, v0, s[4:5]
.LBB238_17:
	s_or_b32 exec_lo, exec_lo, s3
	ds_bpermute_b32 v0, v1, v4
	s_waitcnt lgkmcnt(0)
	v_add_f32_e32 v0, v4, v0
	ds_bpermute_b32 v1, v2, v0
	s_waitcnt lgkmcnt(0)
	v_add_f32_e32 v0, v0, v1
	;; [unrolled: 3-line block ×4, first 2 shown]
	ds_bpermute_b32 v1, v11, v0
	s_and_b32 exec_lo, exec_lo, vcc_lo
	s_cbranch_execz .LBB238_19
; %bb.18:
	s_mul_i32 s2, s2, 6
	s_mov_b32 s3, 0
	s_waitcnt lgkmcnt(0)
	v_add_f32_e32 v0, v0, v1
	s_lshl_b64 s[2:3], s[2:3], 2
	v_mov_b32_e32 v1, 0
	s_add_u32 s0, s0, s2
	s_addc_u32 s1, s1, s3
	global_store_dword v1, v0, s[0:1]
.LBB238_19:
	s_endpgm
	.section	.rodata,"a",@progbits
	.p2align	6, 0x0
	.amdhsa_kernel _ZL13mul_mat_vec_qIL9ggml_type20ELi7ELb0ELb0EEvPKvS2_PKi31ggml_cuda_mm_fusion_args_devicePfj15HIP_vector_typeIjLj3EEjjjS8_jjjS8_jjjj
		.amdhsa_group_segment_fixed_size 0
		.amdhsa_private_segment_fixed_size 0
		.amdhsa_kernarg_size 144
		.amdhsa_user_sgpr_count 6
		.amdhsa_user_sgpr_private_segment_buffer 1
		.amdhsa_user_sgpr_dispatch_ptr 0
		.amdhsa_user_sgpr_queue_ptr 0
		.amdhsa_user_sgpr_kernarg_segment_ptr 1
		.amdhsa_user_sgpr_dispatch_id 0
		.amdhsa_user_sgpr_flat_scratch_init 0
		.amdhsa_user_sgpr_private_segment_size 0
		.amdhsa_wavefront_size32 1
		.amdhsa_uses_dynamic_stack 0
		.amdhsa_system_sgpr_private_segment_wavefront_offset 0
		.amdhsa_system_sgpr_workgroup_id_x 1
		.amdhsa_system_sgpr_workgroup_id_y 1
		.amdhsa_system_sgpr_workgroup_id_z 1
		.amdhsa_system_sgpr_workgroup_info 0
		.amdhsa_system_vgpr_workitem_id 1
		.amdhsa_next_free_vgpr 62
		.amdhsa_next_free_sgpr 26
		.amdhsa_reserve_vcc 1
		.amdhsa_reserve_flat_scratch 0
		.amdhsa_float_round_mode_32 0
		.amdhsa_float_round_mode_16_64 0
		.amdhsa_float_denorm_mode_32 3
		.amdhsa_float_denorm_mode_16_64 3
		.amdhsa_dx10_clamp 1
		.amdhsa_ieee_mode 1
		.amdhsa_fp16_overflow 0
		.amdhsa_workgroup_processor_mode 1
		.amdhsa_memory_ordered 1
		.amdhsa_forward_progress 1
		.amdhsa_shared_vgpr_count 0
		.amdhsa_exception_fp_ieee_invalid_op 0
		.amdhsa_exception_fp_denorm_src 0
		.amdhsa_exception_fp_ieee_div_zero 0
		.amdhsa_exception_fp_ieee_overflow 0
		.amdhsa_exception_fp_ieee_underflow 0
		.amdhsa_exception_fp_ieee_inexact 0
		.amdhsa_exception_int_div_zero 0
	.end_amdhsa_kernel
	.section	.text._ZL13mul_mat_vec_qIL9ggml_type20ELi7ELb0ELb0EEvPKvS2_PKi31ggml_cuda_mm_fusion_args_devicePfj15HIP_vector_typeIjLj3EEjjjS8_jjjS8_jjjj,"axG",@progbits,_ZL13mul_mat_vec_qIL9ggml_type20ELi7ELb0ELb0EEvPKvS2_PKi31ggml_cuda_mm_fusion_args_devicePfj15HIP_vector_typeIjLj3EEjjjS8_jjjS8_jjjj,comdat
.Lfunc_end238:
	.size	_ZL13mul_mat_vec_qIL9ggml_type20ELi7ELb0ELb0EEvPKvS2_PKi31ggml_cuda_mm_fusion_args_devicePfj15HIP_vector_typeIjLj3EEjjjS8_jjjS8_jjjj, .Lfunc_end238-_ZL13mul_mat_vec_qIL9ggml_type20ELi7ELb0ELb0EEvPKvS2_PKi31ggml_cuda_mm_fusion_args_devicePfj15HIP_vector_typeIjLj3EEjjjS8_jjjS8_jjjj
                                        ; -- End function
	.set _ZL13mul_mat_vec_qIL9ggml_type20ELi7ELb0ELb0EEvPKvS2_PKi31ggml_cuda_mm_fusion_args_devicePfj15HIP_vector_typeIjLj3EEjjjS8_jjjS8_jjjj.num_vgpr, 62
	.set _ZL13mul_mat_vec_qIL9ggml_type20ELi7ELb0ELb0EEvPKvS2_PKi31ggml_cuda_mm_fusion_args_devicePfj15HIP_vector_typeIjLj3EEjjjS8_jjjS8_jjjj.num_agpr, 0
	.set _ZL13mul_mat_vec_qIL9ggml_type20ELi7ELb0ELb0EEvPKvS2_PKi31ggml_cuda_mm_fusion_args_devicePfj15HIP_vector_typeIjLj3EEjjjS8_jjjS8_jjjj.numbered_sgpr, 26
	.set _ZL13mul_mat_vec_qIL9ggml_type20ELi7ELb0ELb0EEvPKvS2_PKi31ggml_cuda_mm_fusion_args_devicePfj15HIP_vector_typeIjLj3EEjjjS8_jjjS8_jjjj.num_named_barrier, 0
	.set _ZL13mul_mat_vec_qIL9ggml_type20ELi7ELb0ELb0EEvPKvS2_PKi31ggml_cuda_mm_fusion_args_devicePfj15HIP_vector_typeIjLj3EEjjjS8_jjjS8_jjjj.private_seg_size, 0
	.set _ZL13mul_mat_vec_qIL9ggml_type20ELi7ELb0ELb0EEvPKvS2_PKi31ggml_cuda_mm_fusion_args_devicePfj15HIP_vector_typeIjLj3EEjjjS8_jjjS8_jjjj.uses_vcc, 1
	.set _ZL13mul_mat_vec_qIL9ggml_type20ELi7ELb0ELb0EEvPKvS2_PKi31ggml_cuda_mm_fusion_args_devicePfj15HIP_vector_typeIjLj3EEjjjS8_jjjS8_jjjj.uses_flat_scratch, 0
	.set _ZL13mul_mat_vec_qIL9ggml_type20ELi7ELb0ELb0EEvPKvS2_PKi31ggml_cuda_mm_fusion_args_devicePfj15HIP_vector_typeIjLj3EEjjjS8_jjjS8_jjjj.has_dyn_sized_stack, 0
	.set _ZL13mul_mat_vec_qIL9ggml_type20ELi7ELb0ELb0EEvPKvS2_PKi31ggml_cuda_mm_fusion_args_devicePfj15HIP_vector_typeIjLj3EEjjjS8_jjjS8_jjjj.has_recursion, 0
	.set _ZL13mul_mat_vec_qIL9ggml_type20ELi7ELb0ELb0EEvPKvS2_PKi31ggml_cuda_mm_fusion_args_devicePfj15HIP_vector_typeIjLj3EEjjjS8_jjjS8_jjjj.has_indirect_call, 0
	.section	.AMDGPU.csdata,"",@progbits
; Kernel info:
; codeLenInByte = 2312
; TotalNumSgprs: 28
; NumVgprs: 62
; ScratchSize: 0
; MemoryBound: 0
; FloatMode: 240
; IeeeMode: 1
; LDSByteSize: 0 bytes/workgroup (compile time only)
; SGPRBlocks: 0
; VGPRBlocks: 7
; NumSGPRsForWavesPerEU: 28
; NumVGPRsForWavesPerEU: 62
; Occupancy: 16
; WaveLimiterHint : 0
; COMPUTE_PGM_RSRC2:SCRATCH_EN: 0
; COMPUTE_PGM_RSRC2:USER_SGPR: 6
; COMPUTE_PGM_RSRC2:TRAP_HANDLER: 0
; COMPUTE_PGM_RSRC2:TGID_X_EN: 1
; COMPUTE_PGM_RSRC2:TGID_Y_EN: 1
; COMPUTE_PGM_RSRC2:TGID_Z_EN: 1
; COMPUTE_PGM_RSRC2:TIDIG_COMP_CNT: 1
	.section	.text._ZL13mul_mat_vec_qIL9ggml_type20ELi8ELb0ELb0EEvPKvS2_PKi31ggml_cuda_mm_fusion_args_devicePfj15HIP_vector_typeIjLj3EEjjjS8_jjjS8_jjjj,"axG",@progbits,_ZL13mul_mat_vec_qIL9ggml_type20ELi8ELb0ELb0EEvPKvS2_PKi31ggml_cuda_mm_fusion_args_devicePfj15HIP_vector_typeIjLj3EEjjjS8_jjjS8_jjjj,comdat
	.globl	_ZL13mul_mat_vec_qIL9ggml_type20ELi8ELb0ELb0EEvPKvS2_PKi31ggml_cuda_mm_fusion_args_devicePfj15HIP_vector_typeIjLj3EEjjjS8_jjjS8_jjjj ; -- Begin function _ZL13mul_mat_vec_qIL9ggml_type20ELi8ELb0ELb0EEvPKvS2_PKi31ggml_cuda_mm_fusion_args_devicePfj15HIP_vector_typeIjLj3EEjjjS8_jjjS8_jjjj
	.p2align	8
	.type	_ZL13mul_mat_vec_qIL9ggml_type20ELi8ELb0ELb0EEvPKvS2_PKi31ggml_cuda_mm_fusion_args_devicePfj15HIP_vector_typeIjLj3EEjjjS8_jjjS8_jjjj,@function
_ZL13mul_mat_vec_qIL9ggml_type20ELi8ELb0ELb0EEvPKvS2_PKi31ggml_cuda_mm_fusion_args_devicePfj15HIP_vector_typeIjLj3EEjjjS8_jjjS8_jjjj: ; @_ZL13mul_mat_vec_qIL9ggml_type20ELi8ELb0ELb0EEvPKvS2_PKi31ggml_cuda_mm_fusion_args_devicePfj15HIP_vector_typeIjLj3EEjjjS8_jjjS8_jjjj
; %bb.0:
	s_clause 0x5
	s_load_dwordx4 s[16:19], s[4:5], 0x80
	s_load_dword s9, s[4:5], 0x40
	s_load_dwordx4 s[0:3], s[4:5], 0x50
	s_load_dword s24, s[4:5], 0x60
	;; [unrolled: 2-line block ×3, first 2 shown]
	v_lshl_or_b32 v2, v1, 5, v0
	v_mov_b32_e32 v4, 0
	v_mov_b32_e32 v5, 0
	;; [unrolled: 1-line block ×4, first 2 shown]
	v_lshrrev_b16 v3, 1, v2
	v_mov_b32_e32 v8, 0
	v_mov_b32_e32 v9, 0
	v_mov_b32_e32 v10, 0
	v_mov_b32_e32 v12, 0
	v_and_b32_e32 v11, 0xffff, v3
	s_waitcnt lgkmcnt(0)
	s_lshr_b32 s19, s9, 5
	s_mov_b32 s9, exec_lo
	v_cmpx_gt_u32_e64 s19, v11
	s_cbranch_execz .LBB239_4
; %bb.1:
	s_load_dwordx4 s[20:23], s[4:5], 0x0
	v_lshlrev_b32_e32 v3, 1, v0
	s_mul_i32 s10, s17, s8
	s_mul_i32 s11, s13, s7
	;; [unrolled: 1-line block ×3, first 2 shown]
	s_mul_hi_u32 s0, s3, s7
	s_mul_hi_u32 s3, s15, s8
	v_and_b32_e32 v5, 1, v0
	s_mul_hi_u32 s15, s10, 36
	v_and_b32_e32 v6, 2, v3
	s_mul_i32 s10, s10, 36
	v_lshrrev_b32_e32 v2, 1, v2
	s_mul_hi_u32 s17, s11, 36
	s_mul_i32 s11, s11, 36
	v_lshlrev_b32_e32 v13, 3, v5
	v_lshlrev_b32_e32 v5, 1, v6
	v_mov_b32_e32 v4, 0
	v_lshlrev_b32_e32 v15, 2, v6
	v_mov_b32_e32 v6, 0
	v_mov_b32_e32 v7, 0
	s_waitcnt lgkmcnt(0)
	s_add_u32 s10, s22, s10
	s_addc_u32 s15, s23, s15
	s_add_u32 s10, s10, s11
	s_addc_u32 s11, s15, s17
	s_add_i32 s15, s7, s0
	s_add_i32 s3, s8, s3
	s_lshr_b32 s15, s15, s24
	v_mad_u64_u32 v[2:3], null, v2, 36, s[10:11]
	s_lshr_b32 s3, s3, s25
	s_mul_i32 s12, s15, s12
	v_lshlrev_b32_e32 v14, 1, v5
	v_mov_b32_e32 v5, 0
	v_mov_b32_e32 v8, 0
	v_mov_b32_e32 v9, 0
	v_mov_b32_e32 v10, 0
	v_mov_b32_e32 v12, 0
	s_mul_i32 s3, s3, s16
	s_add_i32 s12, s12, s13
	s_lshl_b32 s0, s1, 1
	s_add_i32 s3, s3, s12
	s_mul_i32 s12, s1, 3
	s_lshl_b32 s13, s1, 2
	s_mul_i32 s15, s1, 5
	s_mul_i32 s16, s1, 6
	;; [unrolled: 1-line block ×3, first 2 shown]
	s_mov_b32 s17, 0
	s_mov_b32 s23, 0xf6eaddcf
	;; [unrolled: 1-line block ×4, first 2 shown]
.LBB239_2:                              ; =>This Inner Loop Header: Depth=1
	v_add_nc_u32_e32 v18, s3, v11
	v_add_nc_u32_e32 v20, s1, v11
	v_add_nc_u32_e32 v22, s0, v11
	v_add_nc_u32_e32 v24, s12, v11
	v_add_nc_u32_e32 v26, s13, v11
	v_mad_i64_i32 v[18:19], null, v18, 18, s[20:21]
	v_mad_u64_u32 v[20:21], null, v20, 36, s[10:11]
	v_mad_u64_u32 v[22:23], null, v22, 36, s[10:11]
	v_add_nc_u32_e32 v28, s15, v11
	v_add_co_u32 v16, vcc_lo, v2, v13
	v_mad_u64_u32 v[24:25], null, v24, 36, s[10:11]
	v_add_nc_u32_e32 v30, s16, v11
	v_add_co_ci_u32_e64 v17, null, 0, v3, vcc_lo
	v_mad_u64_u32 v[26:27], null, v26, 36, s[10:11]
	v_add_co_u32 v34, vcc_lo, v18, v14
	v_add_nc_u32_e32 v32, s22, v11
	v_mad_u64_u32 v[28:29], null, v28, 36, s[10:11]
	v_add_co_ci_u32_e64 v35, null, 0, v19, vcc_lo
	v_add_co_u32 v36, vcc_lo, v20, v15
	v_mad_u64_u32 v[30:31], null, v30, 36, s[10:11]
	v_add_co_ci_u32_e64 v37, null, 0, v21, vcc_lo
	v_add_co_u32 v38, vcc_lo, v22, v15
	;; [unrolled: 3-line block ×3, first 2 shown]
	v_add_co_ci_u32_e64 v41, null, 0, v25, vcc_lo
	v_add_co_u32 v42, vcc_lo, v26, v15
	v_add_co_ci_u32_e64 v43, null, 0, v27, vcc_lo
	v_add_co_u32 v44, vcc_lo, v28, v15
	;; [unrolled: 2-line block ×3, first 2 shown]
	global_load_dword v51, v[2:3], off
	v_add_co_ci_u32_e64 v47, null, 0, v31, vcc_lo
	v_add_co_u32 v48, vcc_lo, v32, v15
	s_clause 0x1
	global_load_dwordx2 v[34:35], v[34:35], off offset:2
	global_load_ushort v59, v[18:19], off
	s_clause 0x9
	global_load_dwordx2 v[18:19], v[36:37], off offset:20
	global_load_dword v60, v[22:23], off
	global_load_dword v61, v[20:21], off
	;; [unrolled: 1-line block ×3, first 2 shown]
	global_load_dwordx2 v[20:21], v[42:43], off offset:20
	global_load_dword v63, v[26:27], off
	global_load_dwordx2 v[22:23], v[44:45], off offset:20
	global_load_dword v64, v[30:31], off
	global_load_dword v65, v[28:29], off
	;; [unrolled: 1-line block ×3, first 2 shown]
	v_mov_b32_e32 v50, 0
	v_mov_b32_e32 v52, 0
	v_add_co_ci_u32_e64 v49, null, 0, v33, vcc_lo
	v_mov_b32_e32 v53, 0
	v_mov_b32_e32 v54, 0
	;; [unrolled: 1-line block ×6, first 2 shown]
	v_add_nc_u32_e32 v11, 16, v11
	v_add_co_u32 v2, vcc_lo, 0x240, v2
	v_add_co_ci_u32_e64 v3, null, 0, v3, vcc_lo
	v_cmp_le_u32_e32 vcc_lo, s19, v11
	s_or_b32 s17, vcc_lo, s17
	s_waitcnt vmcnt(11)
	v_and_b32_e32 v24, 0x7070707, v34
	v_lshrrev_b32_e32 v25, 1, v34
	v_and_b32_e32 v26, 0x7070707, v35
	v_lshrrev_b32_e32 v27, 1, v35
	v_perm_b32 v28, s23, 0xbfad9881, v24
	v_perm_b32 v24, s24, 0x26190d01, v24
	v_and_or_b32 v25, v25, s25, 0x3020100
	v_and_or_b32 v27, v27, s25, 0x3020100
	v_cvt_f32_f16_e32 v33, v51
	s_waitcnt vmcnt(0)
	v_cvt_f32_f16_e32 v32, v32
	v_perm_b32 v66, v24, v28, v25
	v_ashrrev_i32_e32 v24, 4, v34
	v_perm_b32 v25, s23, 0xbfad9881, v26
	v_perm_b32 v26, s24, 0x26190d01, v26
	v_ashrrev_i32_e32 v34, 4, v35
	v_cvt_f32_f16_e32 v35, v59
	v_perm_b32 v67, v26, v25, v27
	v_and_b32_e32 v25, 0x7070707, v24
	v_lshrrev_b32_e32 v24, 1, v24
	v_and_b32_e32 v51, 0x7070707, v34
	v_lshrrev_b32_e32 v34, 1, v34
	v_mul_f32_e32 v59, v35, v33
	v_perm_b32 v26, s23, 0xbfad9881, v25
	v_perm_b32 v25, s24, 0x26190d01, v25
	v_and_or_b32 v24, v24, s25, 0x3020100
	v_perm_b32 v33, s24, 0x26190d01, v51
	v_and_or_b32 v34, v34, s25, 0x3020100
	v_perm_b32 v68, v25, v26, v24
	s_clause 0x1
	global_load_dwordx2 v[24:25], v[16:17], off offset:4
	global_load_dwordx2 v[16:17], v[16:17], off offset:20
	s_clause 0x2
	global_load_dwordx2 v[26:27], v[36:37], off offset:4
	global_load_dwordx2 v[28:29], v[42:43], off offset:4
	;; [unrolled: 1-line block ×3, first 2 shown]
	v_cvt_f32_f16_e32 v36, v61
	v_cvt_f32_f16_e32 v37, v60
	;; [unrolled: 1-line block ×6, first 2 shown]
	v_mul_f32_e32 v64, v35, v32
	v_perm_b32 v32, s23, 0xbfad9881, v51
	v_mul_f32_e32 v60, v35, v36
	v_mul_f32_e32 v61, v35, v37
	;; [unrolled: 1-line block ×6, first 2 shown]
	v_perm_b32 v51, v33, v32, v34
	global_load_dwordx2 v[32:33], v[40:41], off offset:4
	s_waitcnt vmcnt(5)
	v_dot4c_i32_i8 v50, v66, v24
	s_waitcnt vmcnt(3)
	v_dot4c_i32_i8 v52, v66, v26
	;; [unrolled: 2-line block ×4, first 2 shown]
	v_dot4c_i32_i8 v50, v68, v16
	v_dot4c_i32_i8 v52, v68, v18
	;; [unrolled: 1-line block ×5, first 2 shown]
	global_load_dwordx2 v[24:25], v[38:39], off offset:4
	v_dot4c_i32_i8 v52, v67, v27
	s_clause 0x5
	global_load_dwordx2 v[26:27], v[46:47], off offset:4
	global_load_dwordx2 v[34:35], v[38:39], off offset:20
	;; [unrolled: 1-line block ×6, first 2 shown]
	v_dot4c_i32_i8 v55, v67, v29
	v_dot4c_i32_i8 v56, v67, v31
	;; [unrolled: 1-line block ×4, first 2 shown]
	s_waitcnt vmcnt(7)
	v_dot4c_i32_i8 v54, v66, v32
	v_dot4c_i32_i8 v55, v51, v21
	;; [unrolled: 1-line block ×3, first 2 shown]
	v_cvt_f32_i32_e32 v16, v50
	v_cvt_f32_i32_e32 v17, v52
	;; [unrolled: 1-line block ×4, first 2 shown]
	v_fmac_f32_e32 v12, v59, v16
	v_fmac_f32_e32 v10, v60, v17
	;; [unrolled: 1-line block ×4, first 2 shown]
	s_waitcnt vmcnt(6)
	v_dot4c_i32_i8 v53, v66, v24
	s_waitcnt vmcnt(5)
	v_dot4c_i32_i8 v57, v66, v26
	;; [unrolled: 2-line block ×4, first 2 shown]
	v_dot4c_i32_i8 v53, v68, v34
	v_dot4c_i32_i8 v57, v68, v36
	s_waitcnt vmcnt(0)
	v_dot4c_i32_i8 v58, v68, v42
	v_dot4c_i32_i8 v54, v67, v33
	;; [unrolled: 1-line block ×9, first 2 shown]
	v_cvt_f32_i32_e32 v19, v54
	v_cvt_f32_i32_e32 v18, v53
	;; [unrolled: 1-line block ×4, first 2 shown]
	v_fmac_f32_e32 v8, v62, v19
	v_fmac_f32_e32 v9, v61, v18
	;; [unrolled: 1-line block ×4, first 2 shown]
	s_andn2_b32 exec_lo, exec_lo, s17
	s_cbranch_execnz .LBB239_2
; %bb.3:
	s_or_b32 exec_lo, exec_lo, s17
.LBB239_4:
	s_or_b32 exec_lo, exec_lo, s9
	s_mov_b32 s1, 0
	; wave barrier
	buffer_gl0_inv
	s_mov_b32 s0, exec_lo
	v_cmpx_eq_u32_e32 0, v1
	s_cbranch_execz .LBB239_21
; %bb.5:
	v_mbcnt_lo_u32_b32 v13, -1, 0
	s_load_dwordx2 s[4:5], s[4:5], 0x38
	s_mul_i32 s0, s14, s7
	s_mul_i32 s3, s18, s8
	s_add_i32 s0, s0, s6
	v_xor_b32_e32 v1, 16, v13
	v_xor_b32_e32 v2, 8, v13
	s_add_i32 s0, s0, s3
	s_lshl_b64 s[0:1], s[0:1], 2
	v_cmp_gt_i32_e32 vcc_lo, 32, v1
	v_cndmask_b32_e32 v1, v13, v1, vcc_lo
	v_cmp_gt_i32_e32 vcc_lo, 32, v2
	v_lshlrev_b32_e32 v1, 2, v1
	v_cndmask_b32_e32 v2, v13, v2, vcc_lo
	s_waitcnt lgkmcnt(0)
	s_add_u32 s0, s4, s0
	s_addc_u32 s1, s5, s1
	ds_bpermute_b32 v3, v1, v12
	v_lshlrev_b32_e32 v2, 2, v2
	s_waitcnt lgkmcnt(0)
	v_add_f32_e32 v11, v12, v3
	v_xor_b32_e32 v3, 4, v13
	ds_bpermute_b32 v12, v2, v11
	v_cmp_gt_i32_e32 vcc_lo, 32, v3
	v_cndmask_b32_e32 v3, v13, v3, vcc_lo
	v_lshlrev_b32_e32 v3, 2, v3
	s_waitcnt lgkmcnt(0)
	v_add_f32_e32 v12, v11, v12
	v_xor_b32_e32 v11, 2, v13
	ds_bpermute_b32 v14, v3, v12
	v_cmp_gt_i32_e32 vcc_lo, 32, v11
	v_cndmask_b32_e32 v11, v13, v11, vcc_lo
	;; [unrolled: 7-line block ×3, first 2 shown]
	v_cmp_eq_u32_e32 vcc_lo, 0, v0
	v_lshlrev_b32_e32 v12, 2, v12
	s_waitcnt lgkmcnt(0)
	v_add_f32_e32 v13, v14, v15
	ds_bpermute_b32 v14, v12, v13
	s_and_saveexec_b32 s3, vcc_lo
	s_cbranch_execz .LBB239_7
; %bb.6:
	s_waitcnt lgkmcnt(0)
	v_add_f32_e32 v0, v13, v14
	v_mov_b32_e32 v13, 0
	global_store_dword v13, v0, s[0:1]
.LBB239_7:
	s_or_b32 exec_lo, exec_lo, s3
	ds_bpermute_b32 v0, v1, v10
	s_waitcnt lgkmcnt(0)
	v_add_f32_e32 v0, v10, v0
	ds_bpermute_b32 v10, v2, v0
	s_waitcnt lgkmcnt(0)
	v_add_f32_e32 v0, v0, v10
	;; [unrolled: 3-line block ×4, first 2 shown]
	ds_bpermute_b32 v10, v12, v0
	s_and_saveexec_b32 s4, vcc_lo
	s_cbranch_execz .LBB239_9
; %bb.8:
	s_mov_b32 s3, 0
	s_waitcnt lgkmcnt(0)
	v_add_f32_e32 v0, v0, v10
	s_lshl_b64 s[6:7], s[2:3], 2
	v_mov_b32_e32 v10, 0
	s_add_u32 s6, s0, s6
	s_addc_u32 s7, s1, s7
	global_store_dword v10, v0, s[6:7]
.LBB239_9:
	s_or_b32 exec_lo, exec_lo, s4
	ds_bpermute_b32 v0, v1, v9
	s_waitcnt lgkmcnt(0)
	v_add_f32_e32 v0, v9, v0
	ds_bpermute_b32 v9, v2, v0
	s_waitcnt lgkmcnt(0)
	v_add_f32_e32 v0, v0, v9
	;; [unrolled: 3-line block ×4, first 2 shown]
	ds_bpermute_b32 v9, v12, v0
	s_and_saveexec_b32 s3, vcc_lo
	s_cbranch_execz .LBB239_11
; %bb.10:
	s_lshl_b32 s4, s2, 1
	s_mov_b32 s5, 0
	s_waitcnt lgkmcnt(0)
	v_add_f32_e32 v0, v0, v9
	s_lshl_b64 s[4:5], s[4:5], 2
	v_mov_b32_e32 v9, 0
	s_add_u32 s4, s0, s4
	s_addc_u32 s5, s1, s5
	global_store_dword v9, v0, s[4:5]
.LBB239_11:
	s_or_b32 exec_lo, exec_lo, s3
	ds_bpermute_b32 v0, v1, v8
	s_waitcnt lgkmcnt(0)
	v_add_f32_e32 v0, v8, v0
	ds_bpermute_b32 v8, v2, v0
	s_waitcnt lgkmcnt(0)
	v_add_f32_e32 v0, v0, v8
	;; [unrolled: 3-line block ×4, first 2 shown]
	ds_bpermute_b32 v8, v12, v0
	s_and_saveexec_b32 s3, vcc_lo
	s_cbranch_execz .LBB239_13
; %bb.12:
	s_mul_i32 s4, s2, 3
	s_mov_b32 s5, 0
	s_waitcnt lgkmcnt(0)
	v_add_f32_e32 v0, v0, v8
	s_lshl_b64 s[4:5], s[4:5], 2
	v_mov_b32_e32 v8, 0
	s_add_u32 s4, s0, s4
	s_addc_u32 s5, s1, s5
	global_store_dword v8, v0, s[4:5]
.LBB239_13:
	s_or_b32 exec_lo, exec_lo, s3
	ds_bpermute_b32 v0, v1, v7
	s_waitcnt lgkmcnt(0)
	v_add_f32_e32 v0, v7, v0
	ds_bpermute_b32 v7, v2, v0
	s_waitcnt lgkmcnt(0)
	v_add_f32_e32 v0, v0, v7
	;; [unrolled: 3-line block ×4, first 2 shown]
	ds_bpermute_b32 v7, v12, v0
	s_and_saveexec_b32 s3, vcc_lo
	s_cbranch_execz .LBB239_15
; %bb.14:
	s_lshl_b32 s4, s2, 2
	s_mov_b32 s5, 0
	s_waitcnt lgkmcnt(0)
	v_add_f32_e32 v0, v0, v7
	s_lshl_b64 s[4:5], s[4:5], 2
	v_mov_b32_e32 v7, 0
	s_add_u32 s4, s0, s4
	s_addc_u32 s5, s1, s5
	global_store_dword v7, v0, s[4:5]
.LBB239_15:
	s_or_b32 exec_lo, exec_lo, s3
	ds_bpermute_b32 v0, v1, v6
	s_waitcnt lgkmcnt(0)
	v_add_f32_e32 v0, v6, v0
	ds_bpermute_b32 v6, v2, v0
	s_waitcnt lgkmcnt(0)
	v_add_f32_e32 v0, v0, v6
	;; [unrolled: 3-line block ×4, first 2 shown]
	ds_bpermute_b32 v6, v12, v0
	s_and_saveexec_b32 s3, vcc_lo
	s_cbranch_execz .LBB239_17
; %bb.16:
	s_mul_i32 s4, s2, 5
	s_mov_b32 s5, 0
	s_waitcnt lgkmcnt(0)
	v_add_f32_e32 v0, v0, v6
	s_lshl_b64 s[4:5], s[4:5], 2
	v_mov_b32_e32 v6, 0
	s_add_u32 s4, s0, s4
	s_addc_u32 s5, s1, s5
	global_store_dword v6, v0, s[4:5]
.LBB239_17:
	s_or_b32 exec_lo, exec_lo, s3
	ds_bpermute_b32 v0, v1, v5
	s_waitcnt lgkmcnt(0)
	v_add_f32_e32 v0, v5, v0
	ds_bpermute_b32 v5, v2, v0
	s_waitcnt lgkmcnt(0)
	v_add_f32_e32 v0, v0, v5
	;; [unrolled: 3-line block ×4, first 2 shown]
	ds_bpermute_b32 v5, v12, v0
	s_and_saveexec_b32 s3, vcc_lo
	s_cbranch_execz .LBB239_19
; %bb.18:
	s_mul_i32 s4, s2, 6
	s_mov_b32 s5, 0
	s_waitcnt lgkmcnt(0)
	v_add_f32_e32 v0, v0, v5
	s_lshl_b64 s[4:5], s[4:5], 2
	v_mov_b32_e32 v5, 0
	s_add_u32 s4, s0, s4
	s_addc_u32 s5, s1, s5
	global_store_dword v5, v0, s[4:5]
.LBB239_19:
	s_or_b32 exec_lo, exec_lo, s3
	ds_bpermute_b32 v0, v1, v4
	s_waitcnt lgkmcnt(0)
	v_add_f32_e32 v0, v4, v0
	ds_bpermute_b32 v1, v2, v0
	s_waitcnt lgkmcnt(0)
	v_add_f32_e32 v0, v0, v1
	;; [unrolled: 3-line block ×4, first 2 shown]
	ds_bpermute_b32 v1, v12, v0
	s_and_b32 exec_lo, exec_lo, vcc_lo
	s_cbranch_execz .LBB239_21
; %bb.20:
	s_mul_i32 s2, s2, 7
	s_mov_b32 s3, 0
	s_waitcnt lgkmcnt(0)
	v_add_f32_e32 v0, v0, v1
	s_lshl_b64 s[2:3], s[2:3], 2
	v_mov_b32_e32 v1, 0
	s_add_u32 s0, s0, s2
	s_addc_u32 s1, s1, s3
	global_store_dword v1, v0, s[0:1]
.LBB239_21:
	s_endpgm
	.section	.rodata,"a",@progbits
	.p2align	6, 0x0
	.amdhsa_kernel _ZL13mul_mat_vec_qIL9ggml_type20ELi8ELb0ELb0EEvPKvS2_PKi31ggml_cuda_mm_fusion_args_devicePfj15HIP_vector_typeIjLj3EEjjjS8_jjjS8_jjjj
		.amdhsa_group_segment_fixed_size 0
		.amdhsa_private_segment_fixed_size 0
		.amdhsa_kernarg_size 144
		.amdhsa_user_sgpr_count 6
		.amdhsa_user_sgpr_private_segment_buffer 1
		.amdhsa_user_sgpr_dispatch_ptr 0
		.amdhsa_user_sgpr_queue_ptr 0
		.amdhsa_user_sgpr_kernarg_segment_ptr 1
		.amdhsa_user_sgpr_dispatch_id 0
		.amdhsa_user_sgpr_flat_scratch_init 0
		.amdhsa_user_sgpr_private_segment_size 0
		.amdhsa_wavefront_size32 1
		.amdhsa_uses_dynamic_stack 0
		.amdhsa_system_sgpr_private_segment_wavefront_offset 0
		.amdhsa_system_sgpr_workgroup_id_x 1
		.amdhsa_system_sgpr_workgroup_id_y 1
		.amdhsa_system_sgpr_workgroup_id_z 1
		.amdhsa_system_sgpr_workgroup_info 0
		.amdhsa_system_vgpr_workitem_id 1
		.amdhsa_next_free_vgpr 69
		.amdhsa_next_free_sgpr 26
		.amdhsa_reserve_vcc 1
		.amdhsa_reserve_flat_scratch 0
		.amdhsa_float_round_mode_32 0
		.amdhsa_float_round_mode_16_64 0
		.amdhsa_float_denorm_mode_32 3
		.amdhsa_float_denorm_mode_16_64 3
		.amdhsa_dx10_clamp 1
		.amdhsa_ieee_mode 1
		.amdhsa_fp16_overflow 0
		.amdhsa_workgroup_processor_mode 1
		.amdhsa_memory_ordered 1
		.amdhsa_forward_progress 1
		.amdhsa_shared_vgpr_count 0
		.amdhsa_exception_fp_ieee_invalid_op 0
		.amdhsa_exception_fp_denorm_src 0
		.amdhsa_exception_fp_ieee_div_zero 0
		.amdhsa_exception_fp_ieee_overflow 0
		.amdhsa_exception_fp_ieee_underflow 0
		.amdhsa_exception_fp_ieee_inexact 0
		.amdhsa_exception_int_div_zero 0
	.end_amdhsa_kernel
	.section	.text._ZL13mul_mat_vec_qIL9ggml_type20ELi8ELb0ELb0EEvPKvS2_PKi31ggml_cuda_mm_fusion_args_devicePfj15HIP_vector_typeIjLj3EEjjjS8_jjjS8_jjjj,"axG",@progbits,_ZL13mul_mat_vec_qIL9ggml_type20ELi8ELb0ELb0EEvPKvS2_PKi31ggml_cuda_mm_fusion_args_devicePfj15HIP_vector_typeIjLj3EEjjjS8_jjjS8_jjjj,comdat
.Lfunc_end239:
	.size	_ZL13mul_mat_vec_qIL9ggml_type20ELi8ELb0ELb0EEvPKvS2_PKi31ggml_cuda_mm_fusion_args_devicePfj15HIP_vector_typeIjLj3EEjjjS8_jjjS8_jjjj, .Lfunc_end239-_ZL13mul_mat_vec_qIL9ggml_type20ELi8ELb0ELb0EEvPKvS2_PKi31ggml_cuda_mm_fusion_args_devicePfj15HIP_vector_typeIjLj3EEjjjS8_jjjS8_jjjj
                                        ; -- End function
	.set _ZL13mul_mat_vec_qIL9ggml_type20ELi8ELb0ELb0EEvPKvS2_PKi31ggml_cuda_mm_fusion_args_devicePfj15HIP_vector_typeIjLj3EEjjjS8_jjjS8_jjjj.num_vgpr, 69
	.set _ZL13mul_mat_vec_qIL9ggml_type20ELi8ELb0ELb0EEvPKvS2_PKi31ggml_cuda_mm_fusion_args_devicePfj15HIP_vector_typeIjLj3EEjjjS8_jjjS8_jjjj.num_agpr, 0
	.set _ZL13mul_mat_vec_qIL9ggml_type20ELi8ELb0ELb0EEvPKvS2_PKi31ggml_cuda_mm_fusion_args_devicePfj15HIP_vector_typeIjLj3EEjjjS8_jjjS8_jjjj.numbered_sgpr, 26
	.set _ZL13mul_mat_vec_qIL9ggml_type20ELi8ELb0ELb0EEvPKvS2_PKi31ggml_cuda_mm_fusion_args_devicePfj15HIP_vector_typeIjLj3EEjjjS8_jjjS8_jjjj.num_named_barrier, 0
	.set _ZL13mul_mat_vec_qIL9ggml_type20ELi8ELb0ELb0EEvPKvS2_PKi31ggml_cuda_mm_fusion_args_devicePfj15HIP_vector_typeIjLj3EEjjjS8_jjjS8_jjjj.private_seg_size, 0
	.set _ZL13mul_mat_vec_qIL9ggml_type20ELi8ELb0ELb0EEvPKvS2_PKi31ggml_cuda_mm_fusion_args_devicePfj15HIP_vector_typeIjLj3EEjjjS8_jjjS8_jjjj.uses_vcc, 1
	.set _ZL13mul_mat_vec_qIL9ggml_type20ELi8ELb0ELb0EEvPKvS2_PKi31ggml_cuda_mm_fusion_args_devicePfj15HIP_vector_typeIjLj3EEjjjS8_jjjS8_jjjj.uses_flat_scratch, 0
	.set _ZL13mul_mat_vec_qIL9ggml_type20ELi8ELb0ELb0EEvPKvS2_PKi31ggml_cuda_mm_fusion_args_devicePfj15HIP_vector_typeIjLj3EEjjjS8_jjjS8_jjjj.has_dyn_sized_stack, 0
	.set _ZL13mul_mat_vec_qIL9ggml_type20ELi8ELb0ELb0EEvPKvS2_PKi31ggml_cuda_mm_fusion_args_devicePfj15HIP_vector_typeIjLj3EEjjjS8_jjjS8_jjjj.has_recursion, 0
	.set _ZL13mul_mat_vec_qIL9ggml_type20ELi8ELb0ELb0EEvPKvS2_PKi31ggml_cuda_mm_fusion_args_devicePfj15HIP_vector_typeIjLj3EEjjjS8_jjjS8_jjjj.has_indirect_call, 0
	.section	.AMDGPU.csdata,"",@progbits
; Kernel info:
; codeLenInByte = 2564
; TotalNumSgprs: 28
; NumVgprs: 69
; ScratchSize: 0
; MemoryBound: 0
; FloatMode: 240
; IeeeMode: 1
; LDSByteSize: 0 bytes/workgroup (compile time only)
; SGPRBlocks: 0
; VGPRBlocks: 8
; NumSGPRsForWavesPerEU: 28
; NumVGPRsForWavesPerEU: 69
; Occupancy: 12
; WaveLimiterHint : 0
; COMPUTE_PGM_RSRC2:SCRATCH_EN: 0
; COMPUTE_PGM_RSRC2:USER_SGPR: 6
; COMPUTE_PGM_RSRC2:TRAP_HANDLER: 0
; COMPUTE_PGM_RSRC2:TGID_X_EN: 1
; COMPUTE_PGM_RSRC2:TGID_Y_EN: 1
; COMPUTE_PGM_RSRC2:TGID_Z_EN: 1
; COMPUTE_PGM_RSRC2:TIDIG_COMP_CNT: 1
	.section	.text._ZL17mul_mat_vec_q_moeIL9ggml_type23ELi2EEvPKvS2_PKiPfj15HIP_vector_typeIjLj3EEjjjjjjjjj,"axG",@progbits,_ZL17mul_mat_vec_q_moeIL9ggml_type23ELi2EEvPKvS2_PKiPfj15HIP_vector_typeIjLj3EEjjjjjjjjj,comdat
	.globl	_ZL17mul_mat_vec_q_moeIL9ggml_type23ELi2EEvPKvS2_PKiPfj15HIP_vector_typeIjLj3EEjjjjjjjjj ; -- Begin function _ZL17mul_mat_vec_q_moeIL9ggml_type23ELi2EEvPKvS2_PKiPfj15HIP_vector_typeIjLj3EEjjjjjjjjj
	.p2align	8
	.type	_ZL17mul_mat_vec_q_moeIL9ggml_type23ELi2EEvPKvS2_PKiPfj15HIP_vector_typeIjLj3EEjjjjjjjjj,@function
_ZL17mul_mat_vec_q_moeIL9ggml_type23ELi2EEvPKvS2_PKiPfj15HIP_vector_typeIjLj3EEjjjjjjjjj: ; @_ZL17mul_mat_vec_q_moeIL9ggml_type23ELi2EEvPKvS2_PKiPfj15HIP_vector_typeIjLj3EEjjjjjjjjj
; %bb.0:
	s_load_dwordx8 s[16:23], s[4:5], 0x30
	s_mov_b32 s0, exec_lo
	s_waitcnt lgkmcnt(0)
	v_cmpx_gt_u32_e64 s23, v1
	s_cbranch_execz .LBB240_7
; %bb.1:
	s_clause 0x2
	s_load_dword s1, s[4:5], 0x20
	s_load_dword s0, s[4:5], 0x50
	s_load_dwordx8 s[8:15], s[4:5], 0x0
	v_lshrrev_b32_e32 v8, 3, v0
	v_mov_b32_e32 v2, 0
	v_mov_b32_e32 v3, 0
	s_mov_b32 s2, s7
	s_waitcnt lgkmcnt(0)
	s_lshr_b32 s3, s1, 8
	s_lshl_b32 s1, s6, 1
	s_mov_b32 s6, exec_lo
	v_cmpx_gt_u32_e64 s3, v8
	s_cbranch_execz .LBB240_5
; %bb.2:
	v_mad_u64_u32 v[2:3], null, s0, v1, s[2:3]
	v_mov_b32_e32 v3, 0
	s_load_dwordx4 s[24:27], s[4:5], 0x24
	v_lshrrev_b32_e32 v6, 3, v0
	v_lshlrev_b32_e32 v7, 2, v0
	s_mov_b32 s4, 0
	s_mov_b32 s5, 0xf6eaddcf
	v_lshlrev_b64 v[4:5], 2, v[2:3]
	s_mov_b32 s7, 0x71594535
	v_and_b32_e32 v12, 28, v7
	v_bfe_u32 v9, v7, 3, 2
	v_and_b32_e32 v10, 4, v7
	v_add_co_u32 v4, vcc_lo, s12, v4
	v_add_co_ci_u32_e64 v5, null, s13, v5, vcc_lo
	v_lshrrev_b32_e32 v11, 1, v12
	v_lshlrev_b32_e32 v12, 2, v12
	global_load_dword v2, v[4:5], off
	v_mul_lo_u32 v4, s18, v1
	s_waitcnt lgkmcnt(0)
	s_mul_hi_u32 s0, s24, s2
	s_add_i32 s0, s2, s0
	s_lshr_b32 s0, s0, s25
	s_mul_i32 s0, s0, s26
	v_mad_u64_u32 v[4:5], null, v4, 36, 0
	s_sub_i32 s0, s2, s0
	s_mul_i32 s0, s0, s21
	v_mad_u64_u32 v[4:5], null, 0x120, v6, v[4:5]
	v_and_b32_e32 v6, 7, v0
	v_mad_u64_u32 v[4:5], null, s0, 36, v[4:5]
	s_add_i32 s0, s1, 1
	v_mad_u64_u32 v[4:5], null, v6, 36, v[4:5]
	v_add_co_u32 v7, vcc_lo, s10, v4
	v_add_co_ci_u32_e64 v13, null, s11, v5, vcc_lo
	s_mov_b32 s10, 0x4040404
	s_waitcnt vmcnt(0)
	v_mul_lo_u32 v2, v2, s20
	v_mad_u64_u32 v[4:5], null, s1, s17, v[2:3]
	v_mad_u64_u32 v[5:6], null, s17, s0, v[2:3]
	v_add_co_u32 v6, vcc_lo, v7, 32
	v_add_co_ci_u32_e64 v7, null, 0, v13, vcc_lo
	v_mov_b32_e32 v2, v3
.LBB240_3:                              ; =>This Inner Loop Header: Depth=1
	v_add_nc_u32_e32 v21, v4, v8
	v_add_nc_u32_e32 v22, v5, v8
	s_clause 0x1
	global_load_dwordx4 v[13:16], v[6:7], off offset:-16
	global_load_dwordx4 v[17:20], v[6:7], off offset:-32
	v_add_nc_u32_e32 v8, 4, v8
	v_mad_i64_i32 v[25:26], null, 0x88, v21, s[8:9]
	v_mad_i64_i32 v[27:28], null, 0x88, v22, s[8:9]
	v_cmp_le_u32_e64 s0, s3, v8
	v_add_co_u32 v21, vcc_lo, v25, v12
	v_add_co_ci_u32_e64 v22, null, 0, v26, vcc_lo
	v_add_co_u32 v29, vcc_lo, v25, v9
	v_add_co_ci_u32_e64 v30, null, 0, v26, vcc_lo
	;; [unrolled: 2-line block ×4, first 2 shown]
	s_clause 0x5
	global_load_dwordx4 v[21:24], v[21:22], off offset:8
	global_load_ubyte v29, v[29:30], off offset:4
	global_load_dword v30, v[27:28], off
	global_load_dword v35, v[25:26], off
	global_load_dwordx4 v[25:28], v[31:32], off offset:8
	global_load_ubyte v31, v[33:34], off offset:4
	global_load_dword v32, v[6:7], off
	v_mov_b32_e32 v33, 0
	v_mov_b32_e32 v34, 0
	v_add_co_u32 v6, vcc_lo, 0x480, v6
	v_add_co_ci_u32_e64 v7, null, 0, v7, vcc_lo
	s_or_b32 s4, s0, s4
	s_waitcnt vmcnt(6)
	v_ashrrev_i32_e32 v38, 4, v22
	v_and_b32_e32 v39, 0x7070707, v22
	v_lshrrev_b32_e32 v22, 1, v22
	v_ashrrev_i32_e32 v36, 4, v21
	v_ashrrev_i32_e32 v40, 4, v23
	v_and_b32_e32 v41, 0x7070707, v23
	v_lshrrev_b32_e32 v23, 1, v23
	s_waitcnt vmcnt(2)
	v_ashrrev_i32_e32 v45, 4, v25
	v_and_b32_e32 v46, 0x7070707, v25
	v_lshrrev_b32_e32 v25, 1, v25
	v_perm_b32 v56, s5, 0xbfad9881, v39
	v_perm_b32 v39, s7, 0x26190d01, v39
	v_and_or_b32 v22, v22, s10, 0x3020100
	v_and_b32_e32 v37, 0x7070707, v21
	v_lshrrev_b32_e32 v21, 1, v21
	v_and_b32_e32 v55, 0x7070707, v36
	v_lshrrev_b32_e32 v36, 1, v36
	v_perm_b32 v58, s5, 0xbfad9881, v41
	v_perm_b32 v41, s7, 0x26190d01, v41
	v_and_or_b32 v23, v23, s10, 0x3020100
	v_perm_b32 v22, v39, v56, v22
	v_perm_b32 v56, s5, 0xbfad9881, v46
	;; [unrolled: 1-line block ×3, first 2 shown]
	v_and_or_b32 v25, v25, s10, 0x3020100
	v_ashrrev_i32_e32 v42, 4, v24
	v_and_b32_e32 v43, 0x7070707, v24
	v_lshrrev_b32_e32 v24, 1, v24
	v_perm_b32 v54, s5, 0xbfad9881, v37
	v_perm_b32 v37, s7, 0x26190d01, v37
	v_and_or_b32 v21, v21, s10, 0x3020100
	v_perm_b32 v23, v41, v58, v23
	v_and_b32_e32 v41, 0x7070707, v45
	v_lshrrev_b32_e32 v45, 1, v45
	v_perm_b32 v25, v46, v56, v25
	v_perm_b32 v56, s5, 0xbfad9881, v55
	v_perm_b32 v55, s7, 0x26190d01, v55
	v_and_or_b32 v36, v36, s10, 0x3020100
	v_ashrrev_i32_e32 v47, 4, v26
	v_and_b32_e32 v48, 0x7070707, v26
	v_lshrrev_b32_e32 v26, 1, v26
	v_perm_b32 v21, v37, v54, v21
	v_perm_b32 v54, s5, 0xbfad9881, v43
	;; [unrolled: 1-line block ×3, first 2 shown]
	v_and_or_b32 v24, v24, s10, 0x3020100
	v_perm_b32 v36, v55, v56, v36
	v_perm_b32 v56, s5, 0xbfad9881, v41
	;; [unrolled: 1-line block ×3, first 2 shown]
	v_and_or_b32 v45, v45, s10, 0x3020100
	v_and_b32_e32 v57, 0x7070707, v38
	v_lshrrev_b32_e32 v38, 1, v38
	v_perm_b32 v58, s5, 0xbfad9881, v48
	v_perm_b32 v24, v43, v54, v24
	v_and_b32_e32 v43, 0x7070707, v47
	v_perm_b32 v48, s7, 0x26190d01, v48
	v_and_or_b32 v26, v26, s10, 0x3020100
	v_lshrrev_b32_e32 v47, 1, v47
	v_perm_b32 v41, v41, v56, v45
	v_dot4c_i32_i8 v33, v21, v18
	v_dot4c_i32_i8 v34, v25, v18
	v_lshrrev_b32_sdwa v44, v11, v35 dst_sel:DWORD dst_unused:UNUSED_PAD src0_sel:DWORD src1_sel:WORD_1
	v_ashrrev_i32_e32 v49, 4, v27
	v_and_b32_e32 v50, 0x7070707, v27
	v_lshrrev_b32_e32 v27, 1, v27
	v_perm_b32 v56, s5, 0xbfad9881, v57
	v_perm_b32 v57, s7, 0x26190d01, v57
	v_and_or_b32 v38, v38, s10, 0x3020100
	v_perm_b32 v18, s5, 0xbfad9881, v43
	v_perm_b32 v25, s7, 0x26190d01, v43
	;; [unrolled: 1-line block ×3, first 2 shown]
	v_and_or_b32 v43, v47, s10, 0x3020100
	v_dot4c_i32_i8 v33, v36, v14
	v_dot4c_i32_i8 v34, v41, v14
	v_bfe_u32 v29, v29, v10, 4
	v_and_b32_e32 v37, 0x7070707, v40
	v_lshrrev_b32_e32 v40, 1, v40
	v_lshlrev_b32_e32 v44, 4, v44
	v_perm_b32 v54, s5, 0xbfad9881, v50
	v_and_b32_e32 v46, 0x7070707, v49
	v_perm_b32 v50, s7, 0x26190d01, v50
	v_and_or_b32 v27, v27, s10, 0x3020100
	v_lshrrev_b32_e32 v49, 1, v49
	v_perm_b32 v36, v57, v56, v38
	v_perm_b32 v18, v25, v18, v43
	v_dot4c_i32_i8 v33, v22, v19
	v_dot4c_i32_i8 v34, v26, v19
	v_ashrrev_i32_e32 v51, 4, v28
	v_and_b32_e32 v52, 0x7070707, v28
	v_lshrrev_b32_e32 v28, 1, v28
	v_and_or_b32 v29, v44, 48, v29
	v_perm_b32 v44, s5, 0xbfad9881, v37
	v_perm_b32 v37, s7, 0x26190d01, v37
	v_and_or_b32 v40, v40, s10, 0x3020100
	v_perm_b32 v14, s5, 0xbfad9881, v46
	v_perm_b32 v19, s7, 0x26190d01, v46
	;; [unrolled: 1-line block ×3, first 2 shown]
	v_and_or_b32 v25, v49, s10, 0x3020100
	v_dot4c_i32_i8 v33, v36, v15
	v_dot4c_i32_i8 v34, v18, v15
	v_lshrrev_b32_sdwa v53, v11, v30 dst_sel:DWORD dst_unused:UNUSED_PAD src0_sel:DWORD src1_sel:WORD_1
	v_and_b32_e32 v39, 0x7070707, v42
	v_lshrrev_b32_e32 v42, 1, v42
	v_perm_b32 v55, s5, 0xbfad9881, v52
	v_and_b32_e32 v45, 0x7070707, v51
	v_perm_b32 v52, s7, 0x26190d01, v52
	v_and_or_b32 v28, v28, s10, 0x3020100
	v_lshrrev_b32_e32 v51, 1, v51
	v_perm_b32 v18, v37, v44, v40
	v_perm_b32 v14, v19, v14, v25
	v_dot4c_i32_i8 v33, v23, v20
	v_dot4c_i32_i8 v34, v22, v20
	s_waitcnt vmcnt(1)
	v_bfe_u32 v31, v31, v10, 4
	v_lshlrev_b32_e32 v53, 4, v53
	v_perm_b32 v21, s5, 0xbfad9881, v39
	v_perm_b32 v39, s7, 0x26190d01, v39
	v_and_or_b32 v42, v42, s10, 0x3020100
	v_perm_b32 v15, s5, 0xbfad9881, v45
	v_perm_b32 v19, s7, 0x26190d01, v45
	;; [unrolled: 1-line block ×3, first 2 shown]
	v_and_or_b32 v22, v51, s10, 0x3020100
	v_dot4c_i32_i8 v33, v18, v16
	v_dot4c_i32_i8 v34, v14, v16
	v_and_or_b32 v14, v53, 48, v31
	v_perm_b32 v16, v39, v21, v42
	v_perm_b32 v15, v19, v15, v22
	v_dot4c_i32_i8 v33, v24, v13
	v_dot4c_i32_i8 v34, v20, v13
	v_subrev_nc_u32_e32 v13, 32, v29
	v_subrev_nc_u32_e32 v14, 32, v14
	s_waitcnt vmcnt(0)
	v_dot4c_i32_i8 v33, v16, v32
	v_dot4c_i32_i8 v34, v15, v32
	v_cvt_f32_f16_e32 v15, v17
	v_cvt_f32_f16_e32 v16, v35
	;; [unrolled: 1-line block ×3, first 2 shown]
	v_mul_lo_u32 v13, v13, v33
	v_mul_lo_u32 v14, v14, v34
	v_mul_f32_e32 v16, v16, v15
	v_mul_f32_e32 v15, v17, v15
	v_cvt_f32_i32_e32 v13, v13
	v_cvt_f32_i32_e32 v14, v14
	v_fmac_f32_e32 v3, v16, v13
	v_fmac_f32_e32 v2, v15, v14
	s_andn2_b32 exec_lo, exec_lo, s4
	s_cbranch_execnz .LBB240_3
; %bb.4:
	s_or_b32 exec_lo, exec_lo, s4
.LBB240_5:
	s_or_b32 exec_lo, exec_lo, s6
	v_mbcnt_lo_u32_b32 v4, -1, 0
	v_xor_b32_e32 v5, 16, v4
	v_xor_b32_e32 v7, 8, v4
	v_cmp_gt_i32_e32 vcc_lo, 32, v5
	v_cndmask_b32_e32 v5, v4, v5, vcc_lo
	v_cmp_gt_i32_e32 vcc_lo, 32, v7
	v_lshlrev_b32_e32 v5, 2, v5
	v_cndmask_b32_e32 v7, v4, v7, vcc_lo
	ds_bpermute_b32 v6, v5, v3
	ds_bpermute_b32 v5, v5, v2
	v_lshlrev_b32_e32 v7, 2, v7
	s_waitcnt lgkmcnt(1)
	v_add_f32_e32 v3, v3, v6
	s_waitcnt lgkmcnt(0)
	v_add_f32_e32 v2, v2, v5
	ds_bpermute_b32 v5, v7, v3
	ds_bpermute_b32 v6, v7, v2
	v_xor_b32_e32 v7, 4, v4
	v_cmp_gt_i32_e32 vcc_lo, 32, v7
	v_cndmask_b32_e32 v7, v4, v7, vcc_lo
	v_lshlrev_b32_e32 v7, 2, v7
	s_waitcnt lgkmcnt(1)
	v_add_f32_e32 v3, v3, v5
	s_waitcnt lgkmcnt(0)
	v_add_f32_e32 v2, v2, v6
	ds_bpermute_b32 v5, v7, v3
	ds_bpermute_b32 v6, v7, v2
	v_xor_b32_e32 v7, 2, v4
	v_cmp_gt_i32_e32 vcc_lo, 32, v7
	v_cndmask_b32_e32 v7, v4, v7, vcc_lo
	v_lshlrev_b32_e32 v7, 2, v7
	s_waitcnt lgkmcnt(1)
	v_add_f32_e32 v3, v3, v5
	s_waitcnt lgkmcnt(0)
	v_add_f32_e32 v5, v2, v6
	ds_bpermute_b32 v2, v7, v3
	ds_bpermute_b32 v6, v7, v5
	v_xor_b32_e32 v7, 1, v4
	v_cmp_gt_i32_e32 vcc_lo, 32, v7
	v_cndmask_b32_e32 v4, v4, v7, vcc_lo
	v_cmp_gt_u32_e32 vcc_lo, 2, v0
	v_lshlrev_b32_e32 v7, 2, v4
	s_waitcnt lgkmcnt(1)
	v_add_f32_e32 v2, v3, v2
	s_waitcnt lgkmcnt(0)
	v_add_f32_e32 v3, v5, v6
	v_add_nc_u32_e32 v6, s1, v0
	ds_bpermute_b32 v4, v7, v2
	ds_bpermute_b32 v5, v7, v3
	v_cmp_gt_u32_e64 s0, s16, v6
	s_and_b32 s0, vcc_lo, s0
	s_and_b32 exec_lo, exec_lo, s0
	s_cbranch_execz .LBB240_7
; %bb.6:
	v_mul_lo_u32 v1, s19, v1
	v_or_b32_e32 v6, s1, v0
	s_mul_i32 s0, s22, s2
	v_mov_b32_e32 v7, 0
	s_waitcnt lgkmcnt(1)
	v_add_f32_e32 v4, v2, v4
	s_waitcnt lgkmcnt(0)
	v_add_f32_e32 v3, v3, v5
	v_cmp_eq_u32_e32 vcc_lo, 1, v0
	v_add3_u32 v6, v6, v1, s0
	v_cndmask_b32_e32 v3, v4, v3, vcc_lo
	v_lshlrev_b64 v[1:2], 2, v[6:7]
	v_add_co_u32 v0, vcc_lo, s14, v1
	v_add_co_ci_u32_e64 v1, null, s15, v2, vcc_lo
	global_store_dword v[0:1], v3, off
.LBB240_7:
	s_endpgm
	.section	.rodata,"a",@progbits
	.p2align	6, 0x0
	.amdhsa_kernel _ZL17mul_mat_vec_q_moeIL9ggml_type23ELi2EEvPKvS2_PKiPfj15HIP_vector_typeIjLj3EEjjjjjjjjj
		.amdhsa_group_segment_fixed_size 0
		.amdhsa_private_segment_fixed_size 0
		.amdhsa_kernarg_size 84
		.amdhsa_user_sgpr_count 6
		.amdhsa_user_sgpr_private_segment_buffer 1
		.amdhsa_user_sgpr_dispatch_ptr 0
		.amdhsa_user_sgpr_queue_ptr 0
		.amdhsa_user_sgpr_kernarg_segment_ptr 1
		.amdhsa_user_sgpr_dispatch_id 0
		.amdhsa_user_sgpr_flat_scratch_init 0
		.amdhsa_user_sgpr_private_segment_size 0
		.amdhsa_wavefront_size32 1
		.amdhsa_uses_dynamic_stack 0
		.amdhsa_system_sgpr_private_segment_wavefront_offset 0
		.amdhsa_system_sgpr_workgroup_id_x 1
		.amdhsa_system_sgpr_workgroup_id_y 1
		.amdhsa_system_sgpr_workgroup_id_z 0
		.amdhsa_system_sgpr_workgroup_info 0
		.amdhsa_system_vgpr_workitem_id 1
		.amdhsa_next_free_vgpr 59
		.amdhsa_next_free_sgpr 28
		.amdhsa_reserve_vcc 1
		.amdhsa_reserve_flat_scratch 0
		.amdhsa_float_round_mode_32 0
		.amdhsa_float_round_mode_16_64 0
		.amdhsa_float_denorm_mode_32 3
		.amdhsa_float_denorm_mode_16_64 3
		.amdhsa_dx10_clamp 1
		.amdhsa_ieee_mode 1
		.amdhsa_fp16_overflow 0
		.amdhsa_workgroup_processor_mode 1
		.amdhsa_memory_ordered 1
		.amdhsa_forward_progress 1
		.amdhsa_shared_vgpr_count 0
		.amdhsa_exception_fp_ieee_invalid_op 0
		.amdhsa_exception_fp_denorm_src 0
		.amdhsa_exception_fp_ieee_div_zero 0
		.amdhsa_exception_fp_ieee_overflow 0
		.amdhsa_exception_fp_ieee_underflow 0
		.amdhsa_exception_fp_ieee_inexact 0
		.amdhsa_exception_int_div_zero 0
	.end_amdhsa_kernel
	.section	.text._ZL17mul_mat_vec_q_moeIL9ggml_type23ELi2EEvPKvS2_PKiPfj15HIP_vector_typeIjLj3EEjjjjjjjjj,"axG",@progbits,_ZL17mul_mat_vec_q_moeIL9ggml_type23ELi2EEvPKvS2_PKiPfj15HIP_vector_typeIjLj3EEjjjjjjjjj,comdat
.Lfunc_end240:
	.size	_ZL17mul_mat_vec_q_moeIL9ggml_type23ELi2EEvPKvS2_PKiPfj15HIP_vector_typeIjLj3EEjjjjjjjjj, .Lfunc_end240-_ZL17mul_mat_vec_q_moeIL9ggml_type23ELi2EEvPKvS2_PKiPfj15HIP_vector_typeIjLj3EEjjjjjjjjj
                                        ; -- End function
	.set _ZL17mul_mat_vec_q_moeIL9ggml_type23ELi2EEvPKvS2_PKiPfj15HIP_vector_typeIjLj3EEjjjjjjjjj.num_vgpr, 59
	.set _ZL17mul_mat_vec_q_moeIL9ggml_type23ELi2EEvPKvS2_PKiPfj15HIP_vector_typeIjLj3EEjjjjjjjjj.num_agpr, 0
	.set _ZL17mul_mat_vec_q_moeIL9ggml_type23ELi2EEvPKvS2_PKiPfj15HIP_vector_typeIjLj3EEjjjjjjjjj.numbered_sgpr, 28
	.set _ZL17mul_mat_vec_q_moeIL9ggml_type23ELi2EEvPKvS2_PKiPfj15HIP_vector_typeIjLj3EEjjjjjjjjj.num_named_barrier, 0
	.set _ZL17mul_mat_vec_q_moeIL9ggml_type23ELi2EEvPKvS2_PKiPfj15HIP_vector_typeIjLj3EEjjjjjjjjj.private_seg_size, 0
	.set _ZL17mul_mat_vec_q_moeIL9ggml_type23ELi2EEvPKvS2_PKiPfj15HIP_vector_typeIjLj3EEjjjjjjjjj.uses_vcc, 1
	.set _ZL17mul_mat_vec_q_moeIL9ggml_type23ELi2EEvPKvS2_PKiPfj15HIP_vector_typeIjLj3EEjjjjjjjjj.uses_flat_scratch, 0
	.set _ZL17mul_mat_vec_q_moeIL9ggml_type23ELi2EEvPKvS2_PKiPfj15HIP_vector_typeIjLj3EEjjjjjjjjj.has_dyn_sized_stack, 0
	.set _ZL17mul_mat_vec_q_moeIL9ggml_type23ELi2EEvPKvS2_PKiPfj15HIP_vector_typeIjLj3EEjjjjjjjjj.has_recursion, 0
	.set _ZL17mul_mat_vec_q_moeIL9ggml_type23ELi2EEvPKvS2_PKiPfj15HIP_vector_typeIjLj3EEjjjjjjjjj.has_indirect_call, 0
	.section	.AMDGPU.csdata,"",@progbits
; Kernel info:
; codeLenInByte = 2064
; TotalNumSgprs: 30
; NumVgprs: 59
; ScratchSize: 0
; MemoryBound: 0
; FloatMode: 240
; IeeeMode: 1
; LDSByteSize: 0 bytes/workgroup (compile time only)
; SGPRBlocks: 0
; VGPRBlocks: 7
; NumSGPRsForWavesPerEU: 30
; NumVGPRsForWavesPerEU: 59
; Occupancy: 16
; WaveLimiterHint : 1
; COMPUTE_PGM_RSRC2:SCRATCH_EN: 0
; COMPUTE_PGM_RSRC2:USER_SGPR: 6
; COMPUTE_PGM_RSRC2:TRAP_HANDLER: 0
; COMPUTE_PGM_RSRC2:TGID_X_EN: 1
; COMPUTE_PGM_RSRC2:TGID_Y_EN: 1
; COMPUTE_PGM_RSRC2:TGID_Z_EN: 0
; COMPUTE_PGM_RSRC2:TIDIG_COMP_CNT: 1
	.section	.text._ZL13mul_mat_vec_qIL9ggml_type23ELi1ELb1ELb1EEvPKvS2_PKi31ggml_cuda_mm_fusion_args_devicePfj15HIP_vector_typeIjLj3EEjjjS8_jjjS8_jjjj,"axG",@progbits,_ZL13mul_mat_vec_qIL9ggml_type23ELi1ELb1ELb1EEvPKvS2_PKi31ggml_cuda_mm_fusion_args_devicePfj15HIP_vector_typeIjLj3EEjjjS8_jjjS8_jjjj,comdat
	.globl	_ZL13mul_mat_vec_qIL9ggml_type23ELi1ELb1ELb1EEvPKvS2_PKi31ggml_cuda_mm_fusion_args_devicePfj15HIP_vector_typeIjLj3EEjjjS8_jjjS8_jjjj ; -- Begin function _ZL13mul_mat_vec_qIL9ggml_type23ELi1ELb1ELb1EEvPKvS2_PKi31ggml_cuda_mm_fusion_args_devicePfj15HIP_vector_typeIjLj3EEjjjS8_jjjS8_jjjj
	.p2align	8
	.type	_ZL13mul_mat_vec_qIL9ggml_type23ELi1ELb1ELb1EEvPKvS2_PKi31ggml_cuda_mm_fusion_args_devicePfj15HIP_vector_typeIjLj3EEjjjS8_jjjS8_jjjj,@function
_ZL13mul_mat_vec_qIL9ggml_type23ELi1ELb1ELb1EEvPKvS2_PKi31ggml_cuda_mm_fusion_args_devicePfj15HIP_vector_typeIjLj3EEjjjS8_jjjS8_jjjj: ; @_ZL13mul_mat_vec_qIL9ggml_type23ELi1ELb1ELb1EEvPKvS2_PKi31ggml_cuda_mm_fusion_args_devicePfj15HIP_vector_typeIjLj3EEjjjS8_jjjS8_jjjj
; %bb.0:
	s_clause 0x3
	s_load_dwordx8 s[12:19], s[4:5], 0x0
	s_load_dwordx4 s[28:31], s[4:5], 0x20
	s_load_dwordx4 s[36:39], s[4:5], 0x40
	;; [unrolled: 1-line block ×3, first 2 shown]
	s_mov_b32 s10, s7
	s_waitcnt lgkmcnt(0)
	s_cmp_lg_u64 s[16:17], 0
	s_cselect_b32 s0, -1, 0
	s_cmp_eq_u64 s[16:17], 0
	s_cbranch_scc1 .LBB241_5
; %bb.1:
	s_mov_b32 s11, 0
	s_lshl_b64 s[2:3], s[10:11], 2
	s_add_u32 s2, s16, s2
	s_addc_u32 s3, s17, s3
	s_load_dword s34, s[2:3], 0x0
	s_clause 0x1
	s_load_dword s35, s[4:5], 0x50
	s_load_dword s33, s[4:5], 0x78
	s_cbranch_execnz .LBB241_3
.LBB241_2:
	s_load_dwordx2 s[2:3], s[4:5], 0x5c
	s_waitcnt lgkmcnt(0)
	s_mul_hi_u32 s1, s2, s10
	s_add_i32 s1, s10, s1
	s_lshr_b32 s34, s1, s3
.LBB241_3:
	s_andn2_b32 vcc_lo, exec_lo, s0
	s_cbranch_vccnz .LBB241_6
; %bb.4:
	s_mul_hi_u32 s0, s37, s10
	s_waitcnt lgkmcnt(0)
	s_mov_b32 s1, s34
	s_add_i32 s0, s10, s0
	s_lshr_b32 s0, s0, s38
	s_mul_i32 s0, s0, s39
	s_sub_i32 s11, s10, s0
	s_branch .LBB241_7
.LBB241_5:
                                        ; implicit-def: $sgpr34
	s_clause 0x1
	s_load_dword s35, s[4:5], 0x50
	s_load_dword s33, s[4:5], 0x78
	s_branch .LBB241_2
.LBB241_6:
	s_mov_b32 s1, s10
	s_mov_b32 s11, s10
.LBB241_7:
	s_load_dwordx4 s[24:27], s[4:5], 0x80
	v_or_b32_e32 v2, v0, v1
	s_cmp_lg_u64 s[18:19], 0
	v_mov_b32_e32 v16, 0
	v_mov_b32_e32 v17, 0
	s_cselect_b32 s0, -1, 0
	v_cmp_eq_u32_e32 vcc_lo, 0, v2
	s_mov_b32 s17, 0
	s_mul_i32 s2, s1, s22
	s_and_b32 s3, s0, vcc_lo
	s_and_saveexec_b32 s1, s3
	s_cbranch_execz .LBB241_9
; %bb.8:
	s_waitcnt lgkmcnt(0)
	s_mul_i32 s16, s26, s8
	s_mov_b32 s3, s17
	s_lshl_b64 s[38:39], s[16:17], 2
	v_lshlrev_b32_e32 v2, 2, v0
	s_add_u32 s7, s18, s38
	s_addc_u32 s9, s19, s39
	s_lshl_b64 s[16:17], s[2:3], 2
	s_add_u32 s3, s7, s16
	s_addc_u32 s9, s9, s17
	s_ashr_i32 s7, s6, 31
	s_lshl_b64 s[16:17], s[6:7], 2
	s_add_u32 s16, s3, s16
	s_addc_u32 s17, s9, s17
	global_load_dword v17, v2, s[16:17]
.LBB241_9:
	s_or_b32 exec_lo, exec_lo, s1
	s_cmp_lg_u64 s[28:29], 0
	s_cselect_b32 s9, -1, 0
	s_cmp_lg_u64 s[30:31], 0
	s_cselect_b32 s1, -1, 0
	s_and_b32 s3, s1, s9
	s_and_b32 s3, s3, vcc_lo
	s_and_saveexec_b32 s16, s3
	s_cbranch_execz .LBB241_11
; %bb.10:
	s_waitcnt lgkmcnt(0)
	s_mul_i32 s18, s26, s8
	s_mov_b32 s19, 0
	v_lshlrev_b32_e32 v2, 2, v0
	s_lshl_b64 s[38:39], s[18:19], 2
	s_mov_b32 s3, s19
	s_add_u32 s7, s30, s38
	s_addc_u32 s17, s31, s39
	s_lshl_b64 s[2:3], s[2:3], 2
	s_add_u32 s18, s7, s2
	s_addc_u32 s17, s17, s3
	s_ashr_i32 s7, s6, 31
	s_lshl_b64 s[2:3], s[6:7], 2
	s_add_u32 s2, s18, s2
	s_addc_u32 s3, s17, s3
	global_load_dword v16, v2, s[2:3]
.LBB241_11:
	s_or_b32 exec_lo, exec_lo, s16
	v_lshl_or_b32 v2, v1, 5, v0
	v_mov_b32_e32 v20, 0
	v_cndmask_b32_e64 v18, 0, 1, s9
	v_mov_b32_e32 v19, 0
	s_lshr_b32 s3, s36, 8
	v_lshrrev_b32_e32 v21, 3, v2
	s_mov_b32 s7, exec_lo
	v_cmpx_gt_u32_e64 s3, v21
	s_cbranch_execz .LBB241_17
; %bb.12:
	v_lshrrev_b32_e32 v2, 3, v2
	s_mul_i32 s2, s11, s21
	s_waitcnt lgkmcnt(0)
	s_mul_i32 s11, s25, s8
	s_mul_hi_u32 s17, s2, 36
	s_mul_i32 s16, s2, 36
	v_and_b32_e32 v5, 7, v0
	v_mad_u64_u32 v[2:3], null, 0x120, v2, s[16:17]
	v_lshlrev_b32_e32 v4, 2, v0
	s_mul_hi_u32 s2, s23, s8
	s_mul_i32 s35, s35, s6
	s_add_i32 s2, s8, s2
	v_mov_b32_e32 v20, 0
	s_lshr_b32 s2, s2, s33
	v_mad_u64_u32 v[2:3], null, s11, 36, v[2:3]
	s_mul_i32 s2, s2, s24
	v_bfe_u32 v22, v4, 3, 2
	v_and_b32_e32 v23, 4, v4
	v_mov_b32_e32 v19, 0
	s_mul_i32 s16, s34, s20
	s_add_i32 s2, s2, s35
	v_mad_u64_u32 v[2:3], null, v5, 36, v[2:3]
	v_and_b32_e32 v5, 28, v4
	s_mov_b32 s11, 0
	s_add_i32 s16, s16, s2
	s_mov_b32 s17, 0x4040404
	v_lshrrev_b32_e32 v24, 1, v5
	v_add_co_u32 v2, vcc_lo, s14, v2
	v_add_co_ci_u32_e64 v3, null, s15, v3, vcc_lo
	v_lshlrev_b32_e32 v25, 2, v5
	v_add_co_u32 v14, vcc_lo, v2, 32
	v_add_co_ci_u32_e64 v15, null, 0, v3, vcc_lo
	s_mov_b32 s14, 0xf6eaddcf
	s_mov_b32 s15, 0x71594535
	s_branch .LBB241_14
.LBB241_13:                             ;   in Loop: Header=BB241_14 Depth=1
	s_waitcnt vmcnt(2)
	v_ashrrev_i32_e32 v29, 4, v6
	v_and_b32_e32 v30, 0x7070707, v6
	v_lshrrev_b32_e32 v6, 1, v6
	v_mov_b32_e32 v34, 0
	v_add_nc_u32_e32 v21, 4, v21
	v_and_b32_e32 v31, 0x7070707, v29
	v_perm_b32 v32, s14, 0xbfad9881, v30
	v_perm_b32 v30, s15, 0x26190d01, v30
	v_and_or_b32 v6, v6, s17, 0x3020100
	v_lshrrev_b32_e32 v29, 1, v29
	v_perm_b32 v33, s14, 0xbfad9881, v31
	v_perm_b32 v31, s15, 0x26190d01, v31
	v_cmp_le_u32_e32 vcc_lo, s3, v21
	v_perm_b32 v6, v30, v32, v6
	v_and_or_b32 v29, v29, s17, 0x3020100
	v_and_b32_e32 v30, 0x7070707, v7
	v_ashrrev_i32_e32 v32, 4, v7
	v_add_co_u32 v14, s2, 0x480, v14
	v_dot4c_i32_i8 v34, v6, v11
	v_lshrrev_b32_e32 v6, 1, v7
	v_perm_b32 v29, v31, v33, v29
	v_perm_b32 v7, s14, 0xbfad9881, v30
	;; [unrolled: 1-line block ×3, first 2 shown]
	v_and_b32_e32 v11, 0x7070707, v32
	v_and_or_b32 v6, v6, s17, 0x3020100
	v_lshrrev_b32_e32 v31, 1, v32
	v_dot4c_i32_i8 v34, v29, v3
	v_add_co_ci_u32_e64 v15, null, 0, v15, s2
	v_perm_b32 v6, v30, v7, v6
	v_perm_b32 v3, s14, 0xbfad9881, v11
	v_perm_b32 v11, s15, 0x26190d01, v11
	v_and_or_b32 v29, v31, s17, 0x3020100
	v_and_b32_e32 v7, 0x7070707, v8
	v_ashrrev_i32_e32 v30, 4, v8
	v_dot4c_i32_i8 v34, v6, v12
	v_lshrrev_b32_e32 v6, 1, v8
	v_perm_b32 v3, v11, v3, v29
	v_perm_b32 v8, s14, 0xbfad9881, v7
	v_and_b32_e32 v11, 0x7070707, v30
	v_perm_b32 v7, s15, 0x26190d01, v7
	v_lshrrev_b32_e32 v12, 1, v30
	v_and_or_b32 v6, v6, s17, 0x3020100
	v_dot4c_i32_i8 v34, v3, v4
	v_perm_b32 v3, s14, 0xbfad9881, v11
	v_perm_b32 v4, s15, 0x26190d01, v11
	v_and_or_b32 v11, v12, s17, 0x3020100
	v_perm_b32 v6, v7, v8, v6
	v_ashrrev_i32_e32 v7, 4, v9
	v_lshrrev_b32_e32 v8, 1, v9
	s_or_b32 s11, vcc_lo, s11
	v_perm_b32 v3, v4, v3, v11
	v_dot4c_i32_i8 v34, v6, v13
	v_and_b32_e32 v4, 0x7070707, v9
	v_and_b32_e32 v6, 0x7070707, v7
	v_and_or_b32 v8, v8, s17, 0x3020100
	v_lshrrev_b32_e32 v7, 1, v7
	v_dot4c_i32_i8 v34, v3, v5
	v_perm_b32 v3, s14, 0xbfad9881, v4
	v_perm_b32 v4, s15, 0x26190d01, v4
	s_waitcnt vmcnt(1)
	v_and_b32_e32 v9, 0xff, v28
	s_waitcnt vmcnt(0)
	v_lshrrev_b32_sdwa v11, v24, v27 dst_sel:DWORD dst_unused:UNUSED_PAD src0_sel:DWORD src1_sel:WORD_1
	v_perm_b32 v5, s14, 0xbfad9881, v6
	v_perm_b32 v6, s15, 0x26190d01, v6
	v_perm_b32 v3, v4, v3, v8
	v_and_or_b32 v4, v7, s17, 0x3020100
	v_bfe_u32 v7, v9, v23, 4
	v_lshlrev_b32_e32 v8, 4, v11
	v_dot4c_i32_i8 v34, v3, v2
	v_perm_b32 v4, v6, v5, v4
	v_cvt_f32_f16_e32 v3, v27
	v_and_or_b32 v2, v8, 48, v7
	v_dot4c_i32_i8 v34, v4, v26
	v_mul_f32_e32 v3, v3, v10
	v_subrev_nc_u32_e32 v2, 32, v2
	v_mul_lo_u32 v2, v2, v34
	v_cvt_f32_i32_e32 v2, v2
	v_fmac_f32_e32 v20, v3, v2
	s_andn2_b32 exec_lo, exec_lo, s11
	s_cbranch_execz .LBB241_16
.LBB241_14:                             ; =>This Inner Loop Header: Depth=1
	v_add_nc_u32_e32 v29, s16, v21
	v_mad_i64_i32 v[30:31], null, 0x88, v29, s[12:13]
	v_add_co_u32 v6, vcc_lo, v30, v25
	v_add_co_ci_u32_e64 v7, null, 0, v31, vcc_lo
	v_add_co_u32 v27, vcc_lo, v30, v22
	v_add_co_ci_u32_e64 v28, null, 0, v31, vcc_lo
	s_clause 0x2
	global_load_dwordx4 v[10:13], v[14:15], off offset:-32
	global_load_dwordx4 v[2:5], v[14:15], off offset:-16
	global_load_dword v26, v[14:15], off
	s_clause 0x2
	global_load_dwordx4 v[6:9], v[6:7], off offset:8
	global_load_ubyte v28, v[27:28], off offset:4
	global_load_dword v27, v[30:31], off
	s_andn2_b32 vcc_lo, exec_lo, s9
	s_waitcnt vmcnt(5)
	v_cvt_f32_f16_e32 v10, v10
	s_cbranch_vccnz .LBB241_13
; %bb.15:                               ;   in Loop: Header=BB241_14 Depth=1
	v_mad_i64_i32 v[33:34], null, 0x88, v29, s[28:29]
	v_add_co_u32 v29, vcc_lo, v33, v25
	v_add_co_ci_u32_e64 v30, null, 0, v34, vcc_lo
	v_add_co_u32 v35, vcc_lo, v33, v22
	v_add_co_ci_u32_e64 v36, null, 0, v34, vcc_lo
	s_clause 0x2
	global_load_dwordx4 v[29:32], v[29:30], off offset:8
	global_load_ubyte v35, v[35:36], off offset:4
	global_load_dword v33, v[33:34], off
	v_mov_b32_e32 v34, 0
	s_waitcnt vmcnt(2)
	v_ashrrev_i32_e32 v36, 4, v29
	v_and_b32_e32 v37, 0x7070707, v29
	v_lshrrev_b32_e32 v29, 1, v29
	v_ashrrev_i32_e32 v38, 4, v30
	v_and_b32_e32 v39, 0x7070707, v30
	v_and_b32_e32 v46, 0x7070707, v36
	v_perm_b32 v45, s14, 0xbfad9881, v37
	v_perm_b32 v37, s15, 0x26190d01, v37
	v_and_or_b32 v29, v29, s17, 0x3020100
	v_lshrrev_b32_e32 v36, 1, v36
	v_lshrrev_b32_e32 v30, 1, v30
	v_perm_b32 v50, s14, 0xbfad9881, v46
	v_perm_b32 v46, s15, 0x26190d01, v46
	;; [unrolled: 1-line block ×3, first 2 shown]
	v_and_or_b32 v36, v36, s17, 0x3020100
	v_perm_b32 v47, s14, 0xbfad9881, v39
	v_and_b32_e32 v48, 0x7070707, v38
	v_perm_b32 v39, s15, 0x26190d01, v39
	v_and_or_b32 v30, v30, s17, 0x3020100
	v_lshrrev_b32_e32 v38, 1, v38
	v_perm_b32 v36, v46, v50, v36
	v_dot4c_i32_i8 v34, v29, v11
	v_ashrrev_i32_e32 v40, 4, v31
	v_and_b32_e32 v41, 0x7070707, v31
	v_lshrrev_b32_e32 v31, 1, v31
	v_perm_b32 v29, s14, 0xbfad9881, v48
	v_perm_b32 v45, s15, 0x26190d01, v48
	v_perm_b32 v30, v39, v47, v30
	v_and_or_b32 v38, v38, s17, 0x3020100
	v_dot4c_i32_i8 v34, v36, v3
	v_perm_b32 v49, s14, 0xbfad9881, v41
	v_and_b32_e32 v37, 0x7070707, v40
	v_perm_b32 v41, s15, 0x26190d01, v41
	v_and_or_b32 v31, v31, s17, 0x3020100
	v_lshrrev_b32_e32 v36, 1, v40
	v_perm_b32 v29, v45, v29, v38
	v_dot4c_i32_i8 v34, v30, v12
	v_ashrrev_i32_e32 v42, 4, v32
	v_and_b32_e32 v43, 0x7070707, v32
	v_lshrrev_b32_e32 v32, 1, v32
	v_perm_b32 v30, s14, 0xbfad9881, v37
	v_perm_b32 v37, s15, 0x26190d01, v37
	;; [unrolled: 1-line block ×3, first 2 shown]
	v_and_or_b32 v36, v36, s17, 0x3020100
	v_dot4c_i32_i8 v34, v29, v4
	s_waitcnt vmcnt(0)
	v_lshrrev_b32_sdwa v44, v24, v33 dst_sel:DWORD dst_unused:UNUSED_PAD src0_sel:DWORD src1_sel:WORD_1
	v_perm_b32 v39, s14, 0xbfad9881, v43
	v_and_b32_e32 v40, 0x7070707, v42
	v_perm_b32 v29, s15, 0x26190d01, v43
	v_and_or_b32 v32, v32, s17, 0x3020100
	v_lshrrev_b32_e32 v38, 1, v42
	v_perm_b32 v30, v37, v30, v36
	v_dot4c_i32_i8 v34, v31, v13
	v_bfe_u32 v35, v35, v23, 4
	v_perm_b32 v31, s14, 0xbfad9881, v40
	v_perm_b32 v36, s15, 0x26190d01, v40
	v_perm_b32 v29, v29, v39, v32
	v_and_or_b32 v32, v38, s17, 0x3020100
	v_dot4c_i32_i8 v34, v30, v5
	v_lshlrev_b32_e32 v30, 4, v44
	v_perm_b32 v31, v36, v31, v32
	v_dot4c_i32_i8 v34, v29, v2
	v_and_or_b32 v29, v30, 48, v35
	v_cvt_f32_f16_e32 v30, v33
	v_dot4c_i32_i8 v34, v31, v26
	v_subrev_nc_u32_e32 v29, 32, v29
	v_mul_f32_e32 v30, v10, v30
	v_mul_lo_u32 v29, v34, v29
	v_cvt_f32_i32_e32 v29, v29
	v_fmac_f32_e32 v19, v30, v29
	s_branch .LBB241_13
.LBB241_16:
	s_or_b32 exec_lo, exec_lo, s11
.LBB241_17:
	s_or_b32 exec_lo, exec_lo, s7
	s_load_dword s2, s[4:5], 0x30
	s_waitcnt vmcnt(0) lgkmcnt(0)
	; wave barrier
	buffer_gl0_inv
	s_mov_b32 s3, exec_lo
	v_cmpx_eq_u32_e32 0, v1
	s_cbranch_execz .LBB241_44
; %bb.18:
	v_mbcnt_lo_u32_b32 v2, -1, 0
	v_xor_b32_e32 v1, 16, v2
	v_xor_b32_e32 v4, 8, v2
	;; [unrolled: 1-line block ×3, first 2 shown]
	v_cmp_gt_i32_e32 vcc_lo, 32, v1
	v_cndmask_b32_e32 v1, v2, v1, vcc_lo
	v_cmp_gt_i32_e32 vcc_lo, 32, v4
	v_lshlrev_b32_e32 v1, 2, v1
	v_cndmask_b32_e32 v4, v2, v4, vcc_lo
	v_cmp_gt_i32_e32 vcc_lo, 32, v5
	ds_bpermute_b32 v3, v1, v20
	v_lshlrev_b32_e32 v4, 2, v4
	v_cndmask_b32_e32 v5, v2, v5, vcc_lo
	v_lshlrev_b32_e32 v5, 2, v5
	s_waitcnt lgkmcnt(0)
	v_add_f32_e32 v3, v20, v3
	ds_bpermute_b32 v6, v4, v3
	s_waitcnt lgkmcnt(0)
	v_add_f32_e32 v3, v3, v6
	v_xor_b32_e32 v6, 2, v2
	ds_bpermute_b32 v7, v5, v3
	v_cmp_gt_i32_e32 vcc_lo, 32, v6
	v_cndmask_b32_e32 v6, v2, v6, vcc_lo
	v_lshlrev_b32_e32 v6, 2, v6
	s_waitcnt lgkmcnt(0)
	v_add_f32_e32 v3, v3, v7
	v_xor_b32_e32 v7, 1, v2
	ds_bpermute_b32 v8, v6, v3
	v_cmp_gt_i32_e32 vcc_lo, 32, v7
	v_cndmask_b32_e32 v2, v2, v7, vcc_lo
	v_cmp_ne_u32_e32 vcc_lo, 1, v18
	v_lshlrev_b32_e32 v7, 2, v2
	s_waitcnt lgkmcnt(0)
	v_add_f32_e32 v2, v3, v8
	ds_bpermute_b32 v3, v7, v2
	s_cbranch_vccnz .LBB241_20
; %bb.19:
	ds_bpermute_b32 v1, v1, v19
	s_waitcnt lgkmcnt(0)
	v_add_f32_e32 v1, v19, v1
	ds_bpermute_b32 v4, v4, v1
	s_waitcnt lgkmcnt(0)
	v_add_f32_e32 v1, v1, v4
	;; [unrolled: 3-line block ×5, first 2 shown]
.LBB241_20:
	v_cmp_eq_u32_e32 vcc_lo, 0, v0
	s_and_b32 exec_lo, exec_lo, vcc_lo
	s_cbranch_execz .LBB241_44
; %bb.21:
	s_waitcnt lgkmcnt(0)
	v_add_f32_e32 v1, v2, v3
	v_cmp_ne_u32_e32 vcc_lo, 1, v18
	v_add_f32_e32 v2, v17, v1
	v_cndmask_b32_e64 v1, v1, v2, s0
	s_cbranch_vccnz .LBB241_43
; %bb.22:
	v_add_f32_e32 v2, v16, v19
	s_cmp_lt_i32 s2, 2
	s_mov_b32 s0, 0
	v_cndmask_b32_e64 v2, v19, v2, s1
	s_cbranch_scc1 .LBB241_26
; %bb.23:
	s_cmp_gt_i32 s2, 2
	s_cbranch_scc0 .LBB241_27
; %bb.24:
	s_cmp_eq_u32 s2, 3
	s_cbranch_scc0 .LBB241_28
; %bb.25:
	v_max_f32_e32 v3, v2, v2
	s_mov_b32 s1, 0
	v_min_f32_e32 v3, 0x40e00000, v3
	v_mul_f32_e32 v4, 0xbfd9db23, v3
	v_mul_f32_e32 v5, 0x3fb8aa3b, v4
	v_cmp_ngt_f32_e32 vcc_lo, 0xc2ce8ed0, v4
	v_fma_f32 v6, 0x3fb8aa3b, v4, -v5
	v_rndne_f32_e32 v7, v5
	v_fmamk_f32 v6, v4, 0x32a5705f, v6
	v_sub_f32_e32 v5, v5, v7
	v_add_f32_e32 v5, v5, v6
	v_cvt_i32_f32_e32 v6, v7
	v_exp_f32_e32 v5, v5
	v_ldexp_f32 v5, v5, v6
	v_cndmask_b32_e32 v5, 0, v5, vcc_lo
	v_cmp_nlt_f32_e32 vcc_lo, 0x42b17218, v4
	v_cndmask_b32_e32 v4, 0x7f800000, v5, vcc_lo
	v_add_f32_e32 v4, 1.0, v4
	v_div_scale_f32 v5, null, v4, v4, v3
	v_div_scale_f32 v8, vcc_lo, v3, v4, v3
	v_rcp_f32_e32 v6, v5
	v_fma_f32 v7, -v5, v6, 1.0
	v_fmac_f32_e32 v6, v7, v6
	v_mul_f32_e32 v7, v8, v6
	v_fma_f32 v9, -v5, v7, v8
	v_fmac_f32_e32 v7, v9, v6
	v_max_f32_e32 v9, v1, v1
	v_fma_f32 v5, -v5, v7, v8
	v_min_f32_e32 v8, 0x40e00000, v9
	v_div_fmas_f32 v5, v5, v6, v7
	v_max_f32_e32 v6, 0xc0e00000, v8
	v_div_fixup_f32 v3, v5, v4, v3
	v_add_f32_e32 v4, 1.0, v6
	v_mul_f32_e32 v3, v4, v3
	s_branch .LBB241_29
.LBB241_26:
	s_mov_b32 s1, 0
                                        ; implicit-def: $vgpr3
	s_cbranch_execnz .LBB241_33
	s_branch .LBB241_34
.LBB241_27:
	s_mov_b32 s3, -1
	s_mov_b32 s1, 0
                                        ; implicit-def: $vgpr3
	s_branch .LBB241_30
.LBB241_28:
	s_mov_b32 s1, -1
                                        ; implicit-def: $vgpr3
.LBB241_29:
	s_mov_b32 s3, 0
.LBB241_30:
	s_and_b32 vcc_lo, exec_lo, s3
	s_cbranch_vccz .LBB241_32
; %bb.31:
	v_mul_f32_e32 v3, 0xbfb8aa3b, v2
	v_cmp_nlt_f32_e32 vcc_lo, 0x42ce8ed0, v2
	v_rndne_f32_e32 v4, v3
	v_fma_f32 v5, 0xbfb8aa3b, v2, -v3
	v_sub_f32_e32 v3, v3, v4
	v_fmamk_f32 v5, v2, 0xb2a5705f, v5
	v_cvt_i32_f32_e32 v4, v4
	v_add_f32_e32 v3, v3, v5
	v_exp_f32_e32 v3, v3
	v_ldexp_f32 v3, v3, v4
	v_cndmask_b32_e32 v3, 0, v3, vcc_lo
	v_cmp_ngt_f32_e32 vcc_lo, 0xc2b17218, v2
	v_cndmask_b32_e32 v3, 0x7f800000, v3, vcc_lo
	v_add_f32_e32 v3, 1.0, v3
	v_div_scale_f32 v4, null, v3, v3, v2
	v_rcp_f32_e32 v5, v4
	v_fma_f32 v6, -v4, v5, 1.0
	v_fmac_f32_e32 v5, v6, v5
	v_div_scale_f32 v6, vcc_lo, v2, v3, v2
	v_mul_f32_e32 v7, v6, v5
	v_fma_f32 v8, -v4, v7, v6
	v_fmac_f32_e32 v7, v8, v5
	v_fma_f32 v4, -v4, v7, v6
	v_div_fmas_f32 v4, v4, v5, v7
	v_div_fixup_f32 v3, v4, v3, v2
	v_mul_f32_e32 v3, v1, v3
.LBB241_32:
	s_branch .LBB241_34
.LBB241_33:
	s_cmp_lg_u32 s2, 1
	s_mov_b32 s0, -1
	s_cselect_b32 s1, -1, 0
.LBB241_34:
	s_andn2_b32 vcc_lo, exec_lo, s1
	s_cbranch_vccz .LBB241_36
; %bb.35:
	s_andn2_b32 vcc_lo, exec_lo, s0
	s_cbranch_vccz .LBB241_37
	s_branch .LBB241_42
.LBB241_36:
	v_mul_f32_e32 v3, v2, v1
	s_cbranch_execnz .LBB241_42
.LBB241_37:
	v_mul_f32_e32 v3, 0x3d372713, v2
	v_mul_f32_e32 v4, 0x3f4c422a, v2
	v_fma_f32 v3, v2, v3, 1.0
	v_mul_f32_e32 v3, v4, v3
                                        ; implicit-def: $vgpr4
	v_cmp_ngt_f32_e64 s0, 0x3f200000, |v3|
	s_and_saveexec_b32 s1, s0
	s_xor_b32 s0, exec_lo, s1
	s_cbranch_execz .LBB241_39
; %bb.38:
	v_add_f32_e64 v4, |v3|, |v3|
	v_mul_f32_e32 v5, 0x3fb8aa3b, v4
	v_cmp_ngt_f32_e32 vcc_lo, 0xc2ce8ed0, v4
	v_rndne_f32_e32 v6, v5
	v_fma_f32 v7, 0x3fb8aa3b, v4, -v5
	v_sub_f32_e32 v5, v5, v6
	v_fmamk_f32 v7, v4, 0x32a5705f, v7
	v_cvt_i32_f32_e32 v6, v6
	v_add_f32_e32 v5, v5, v7
	v_exp_f32_e32 v5, v5
	v_ldexp_f32 v5, v5, v6
	v_cndmask_b32_e32 v5, 0, v5, vcc_lo
	v_cmp_nlt_f32_e32 vcc_lo, 0x42b17218, v4
	v_cndmask_b32_e32 v4, 0x7f800000, v5, vcc_lo
	v_add_f32_e32 v4, 1.0, v4
	v_rcp_f32_e32 v4, v4
	v_fma_f32 v4, v4, -2.0, 1.0
.LBB241_39:
	s_andn2_saveexec_b32 s0, s0
	s_cbranch_execz .LBB241_41
; %bb.40:
	v_mul_f32_e32 v4, v3, v3
	s_mov_b32 s1, 0xbbbac73d
	v_fmaak_f32 v5, s1, v4, 0x3ca908c9
	v_fmaak_f32 v5, v4, v5, 0xbd5c1c4e
	;; [unrolled: 1-line block ×4, first 2 shown]
	v_mul_f32_e64 v5, |v3|, v5
	v_fma_f32 v4, v4, v5, |v3|
.LBB241_41:
	s_or_b32 exec_lo, exec_lo, s0
	v_bfi_b32 v3, 0x7fffffff, v4, v3
	v_mul_f32_e32 v2, 0.5, v2
	v_add_f32_e32 v3, 1.0, v3
	v_mul_f32_e32 v2, v2, v3
	v_mul_f32_e32 v3, v1, v2
.LBB241_42:
	v_mov_b32_e32 v1, v3
.LBB241_43:
	s_load_dwordx2 s[0:1], s[4:5], 0x38
	s_mul_i32 s2, s22, s10
	s_mul_i32 s3, s26, s8
	s_add_i32 s2, s2, s6
	v_lshlrev_b32_e32 v0, 2, v0
	s_add_i32 s2, s2, s3
	s_mov_b32 s3, 0
	s_lshl_b64 s[2:3], s[2:3], 2
	s_waitcnt lgkmcnt(0)
	s_add_u32 s0, s0, s2
	s_addc_u32 s1, s1, s3
	global_store_dword v0, v1, s[0:1]
.LBB241_44:
	s_endpgm
	.section	.rodata,"a",@progbits
	.p2align	6, 0x0
	.amdhsa_kernel _ZL13mul_mat_vec_qIL9ggml_type23ELi1ELb1ELb1EEvPKvS2_PKi31ggml_cuda_mm_fusion_args_devicePfj15HIP_vector_typeIjLj3EEjjjS8_jjjS8_jjjj
		.amdhsa_group_segment_fixed_size 0
		.amdhsa_private_segment_fixed_size 0
		.amdhsa_kernarg_size 144
		.amdhsa_user_sgpr_count 6
		.amdhsa_user_sgpr_private_segment_buffer 1
		.amdhsa_user_sgpr_dispatch_ptr 0
		.amdhsa_user_sgpr_queue_ptr 0
		.amdhsa_user_sgpr_kernarg_segment_ptr 1
		.amdhsa_user_sgpr_dispatch_id 0
		.amdhsa_user_sgpr_flat_scratch_init 0
		.amdhsa_user_sgpr_private_segment_size 0
		.amdhsa_wavefront_size32 1
		.amdhsa_uses_dynamic_stack 0
		.amdhsa_system_sgpr_private_segment_wavefront_offset 0
		.amdhsa_system_sgpr_workgroup_id_x 1
		.amdhsa_system_sgpr_workgroup_id_y 1
		.amdhsa_system_sgpr_workgroup_id_z 1
		.amdhsa_system_sgpr_workgroup_info 0
		.amdhsa_system_vgpr_workitem_id 1
		.amdhsa_next_free_vgpr 51
		.amdhsa_next_free_sgpr 40
		.amdhsa_reserve_vcc 1
		.amdhsa_reserve_flat_scratch 0
		.amdhsa_float_round_mode_32 0
		.amdhsa_float_round_mode_16_64 0
		.amdhsa_float_denorm_mode_32 3
		.amdhsa_float_denorm_mode_16_64 3
		.amdhsa_dx10_clamp 1
		.amdhsa_ieee_mode 1
		.amdhsa_fp16_overflow 0
		.amdhsa_workgroup_processor_mode 1
		.amdhsa_memory_ordered 1
		.amdhsa_forward_progress 1
		.amdhsa_shared_vgpr_count 0
		.amdhsa_exception_fp_ieee_invalid_op 0
		.amdhsa_exception_fp_denorm_src 0
		.amdhsa_exception_fp_ieee_div_zero 0
		.amdhsa_exception_fp_ieee_overflow 0
		.amdhsa_exception_fp_ieee_underflow 0
		.amdhsa_exception_fp_ieee_inexact 0
		.amdhsa_exception_int_div_zero 0
	.end_amdhsa_kernel
	.section	.text._ZL13mul_mat_vec_qIL9ggml_type23ELi1ELb1ELb1EEvPKvS2_PKi31ggml_cuda_mm_fusion_args_devicePfj15HIP_vector_typeIjLj3EEjjjS8_jjjS8_jjjj,"axG",@progbits,_ZL13mul_mat_vec_qIL9ggml_type23ELi1ELb1ELb1EEvPKvS2_PKi31ggml_cuda_mm_fusion_args_devicePfj15HIP_vector_typeIjLj3EEjjjS8_jjjS8_jjjj,comdat
.Lfunc_end241:
	.size	_ZL13mul_mat_vec_qIL9ggml_type23ELi1ELb1ELb1EEvPKvS2_PKi31ggml_cuda_mm_fusion_args_devicePfj15HIP_vector_typeIjLj3EEjjjS8_jjjS8_jjjj, .Lfunc_end241-_ZL13mul_mat_vec_qIL9ggml_type23ELi1ELb1ELb1EEvPKvS2_PKi31ggml_cuda_mm_fusion_args_devicePfj15HIP_vector_typeIjLj3EEjjjS8_jjjS8_jjjj
                                        ; -- End function
	.set _ZL13mul_mat_vec_qIL9ggml_type23ELi1ELb1ELb1EEvPKvS2_PKi31ggml_cuda_mm_fusion_args_devicePfj15HIP_vector_typeIjLj3EEjjjS8_jjjS8_jjjj.num_vgpr, 51
	.set _ZL13mul_mat_vec_qIL9ggml_type23ELi1ELb1ELb1EEvPKvS2_PKi31ggml_cuda_mm_fusion_args_devicePfj15HIP_vector_typeIjLj3EEjjjS8_jjjS8_jjjj.num_agpr, 0
	.set _ZL13mul_mat_vec_qIL9ggml_type23ELi1ELb1ELb1EEvPKvS2_PKi31ggml_cuda_mm_fusion_args_devicePfj15HIP_vector_typeIjLj3EEjjjS8_jjjS8_jjjj.numbered_sgpr, 40
	.set _ZL13mul_mat_vec_qIL9ggml_type23ELi1ELb1ELb1EEvPKvS2_PKi31ggml_cuda_mm_fusion_args_devicePfj15HIP_vector_typeIjLj3EEjjjS8_jjjS8_jjjj.num_named_barrier, 0
	.set _ZL13mul_mat_vec_qIL9ggml_type23ELi1ELb1ELb1EEvPKvS2_PKi31ggml_cuda_mm_fusion_args_devicePfj15HIP_vector_typeIjLj3EEjjjS8_jjjS8_jjjj.private_seg_size, 0
	.set _ZL13mul_mat_vec_qIL9ggml_type23ELi1ELb1ELb1EEvPKvS2_PKi31ggml_cuda_mm_fusion_args_devicePfj15HIP_vector_typeIjLj3EEjjjS8_jjjS8_jjjj.uses_vcc, 1
	.set _ZL13mul_mat_vec_qIL9ggml_type23ELi1ELb1ELb1EEvPKvS2_PKi31ggml_cuda_mm_fusion_args_devicePfj15HIP_vector_typeIjLj3EEjjjS8_jjjS8_jjjj.uses_flat_scratch, 0
	.set _ZL13mul_mat_vec_qIL9ggml_type23ELi1ELb1ELb1EEvPKvS2_PKi31ggml_cuda_mm_fusion_args_devicePfj15HIP_vector_typeIjLj3EEjjjS8_jjjS8_jjjj.has_dyn_sized_stack, 0
	.set _ZL13mul_mat_vec_qIL9ggml_type23ELi1ELb1ELb1EEvPKvS2_PKi31ggml_cuda_mm_fusion_args_devicePfj15HIP_vector_typeIjLj3EEjjjS8_jjjS8_jjjj.has_recursion, 0
	.set _ZL13mul_mat_vec_qIL9ggml_type23ELi1ELb1ELb1EEvPKvS2_PKi31ggml_cuda_mm_fusion_args_devicePfj15HIP_vector_typeIjLj3EEjjjS8_jjjS8_jjjj.has_indirect_call, 0
	.section	.AMDGPU.csdata,"",@progbits
; Kernel info:
; codeLenInByte = 3196
; TotalNumSgprs: 42
; NumVgprs: 51
; ScratchSize: 0
; MemoryBound: 0
; FloatMode: 240
; IeeeMode: 1
; LDSByteSize: 0 bytes/workgroup (compile time only)
; SGPRBlocks: 0
; VGPRBlocks: 6
; NumSGPRsForWavesPerEU: 42
; NumVGPRsForWavesPerEU: 51
; Occupancy: 16
; WaveLimiterHint : 0
; COMPUTE_PGM_RSRC2:SCRATCH_EN: 0
; COMPUTE_PGM_RSRC2:USER_SGPR: 6
; COMPUTE_PGM_RSRC2:TRAP_HANDLER: 0
; COMPUTE_PGM_RSRC2:TGID_X_EN: 1
; COMPUTE_PGM_RSRC2:TGID_Y_EN: 1
; COMPUTE_PGM_RSRC2:TGID_Z_EN: 1
; COMPUTE_PGM_RSRC2:TIDIG_COMP_CNT: 1
	.section	.text._ZL13mul_mat_vec_qIL9ggml_type23ELi1ELb0ELb1EEvPKvS2_PKi31ggml_cuda_mm_fusion_args_devicePfj15HIP_vector_typeIjLj3EEjjjS8_jjjS8_jjjj,"axG",@progbits,_ZL13mul_mat_vec_qIL9ggml_type23ELi1ELb0ELb1EEvPKvS2_PKi31ggml_cuda_mm_fusion_args_devicePfj15HIP_vector_typeIjLj3EEjjjS8_jjjS8_jjjj,comdat
	.globl	_ZL13mul_mat_vec_qIL9ggml_type23ELi1ELb0ELb1EEvPKvS2_PKi31ggml_cuda_mm_fusion_args_devicePfj15HIP_vector_typeIjLj3EEjjjS8_jjjS8_jjjj ; -- Begin function _ZL13mul_mat_vec_qIL9ggml_type23ELi1ELb0ELb1EEvPKvS2_PKi31ggml_cuda_mm_fusion_args_devicePfj15HIP_vector_typeIjLj3EEjjjS8_jjjS8_jjjj
	.p2align	8
	.type	_ZL13mul_mat_vec_qIL9ggml_type23ELi1ELb0ELb1EEvPKvS2_PKi31ggml_cuda_mm_fusion_args_devicePfj15HIP_vector_typeIjLj3EEjjjS8_jjjS8_jjjj,@function
_ZL13mul_mat_vec_qIL9ggml_type23ELi1ELb0ELb1EEvPKvS2_PKi31ggml_cuda_mm_fusion_args_devicePfj15HIP_vector_typeIjLj3EEjjjS8_jjjS8_jjjj: ; @_ZL13mul_mat_vec_qIL9ggml_type23ELi1ELb0ELb1EEvPKvS2_PKi31ggml_cuda_mm_fusion_args_devicePfj15HIP_vector_typeIjLj3EEjjjS8_jjjS8_jjjj
; %bb.0:
	s_clause 0x1
	s_load_dwordx2 s[0:1], s[4:5], 0x10
	s_load_dwordx4 s[16:19], s[4:5], 0x40
	s_mov_b32 s10, s7
	s_waitcnt lgkmcnt(0)
	s_cmp_lg_u64 s[0:1], 0
	s_cselect_b32 s7, -1, 0
	s_cmp_eq_u64 s[0:1], 0
	s_cbranch_scc1 .LBB242_5
; %bb.1:
	s_mov_b32 s11, 0
	s_lshl_b64 s[2:3], s[10:11], 2
	s_add_u32 s0, s0, s2
	s_addc_u32 s1, s1, s3
	s_load_dword s20, s[0:1], 0x0
	s_clause 0x1
	s_load_dwordx4 s[0:3], s[4:5], 0x68
	s_load_dword s21, s[4:5], 0x50
	s_cbranch_execnz .LBB242_3
.LBB242_2:
	s_load_dwordx2 s[12:13], s[4:5], 0x5c
	s_waitcnt lgkmcnt(0)
	s_mul_hi_u32 s9, s12, s10
	s_add_i32 s9, s10, s9
	s_lshr_b32 s20, s9, s13
.LBB242_3:
	s_load_dword s11, s[4:5], 0x78
	s_andn2_b32 vcc_lo, exec_lo, s7
	s_cbranch_vccnz .LBB242_6
; %bb.4:
	s_mul_hi_u32 s7, s17, s10
	s_add_i32 s7, s10, s7
	s_lshr_b32 s7, s7, s18
	s_mul_i32 s7, s7, s19
	s_sub_i32 s17, s10, s7
	s_branch .LBB242_7
.LBB242_5:
                                        ; implicit-def: $sgpr20
	s_clause 0x1
	s_load_dwordx4 s[0:3], s[4:5], 0x68
	s_load_dword s21, s[4:5], 0x50
	s_branch .LBB242_2
.LBB242_6:
	s_mov_b32 s17, s10
.LBB242_7:
	s_load_dwordx4 s[12:15], s[4:5], 0x80
	v_lshl_or_b32 v2, v1, 5, v0
	v_mov_b32_e32 v4, 0
	s_lshr_b32 s9, s16, 8
	s_mov_b32 s7, exec_lo
	v_lshrrev_b32_e32 v5, 3, v2
	v_cmpx_gt_u32_e64 s9, v5
	s_cbranch_execz .LBB242_11
; %bb.8:
	v_lshrrev_b32_e32 v2, 3, v2
	s_waitcnt lgkmcnt(0)
	s_mul_i32 s1, s17, s1
	v_and_b32_e32 v6, 7, v0
	s_mul_hi_u32 s17, s1, 36
	s_mul_i32 s16, s1, 36
	s_mul_i32 s1, s20, s0
	v_mad_u64_u32 v[2:3], null, 0x120, v2, s[16:17]
	s_load_dwordx4 s[16:19], s[4:5], 0x0
	s_mul_i32 s0, s13, s8
	v_lshlrev_b32_e32 v7, 2, v0
	s_mul_i32 s21, s21, s6
	v_mov_b32_e32 v4, 0
	s_mov_b32 s13, 0x4040404
	v_mad_u64_u32 v[2:3], null, s0, 36, v[2:3]
	s_mul_hi_u32 s0, s3, s8
	v_and_b32_e32 v9, 28, v7
	s_add_i32 s0, s8, s0
	s_mov_b32 s3, 0
	s_lshr_b32 s0, s0, s11
	s_mov_b32 s11, 0xf6eaddcf
	v_mad_u64_u32 v[2:3], null, v6, 36, v[2:3]
	s_mul_i32 s0, s0, s12
	v_bfe_u32 v6, v7, 3, 2
	v_and_b32_e32 v7, 4, v7
	v_lshrrev_b32_e32 v8, 1, v9
	v_lshlrev_b32_e32 v9, 2, v9
	s_add_i32 s0, s0, s21
	s_waitcnt lgkmcnt(0)
	v_add_co_u32 v2, vcc_lo, s18, v2
	v_add_co_ci_u32_e64 v3, null, s19, v3, vcc_lo
	s_add_i32 s1, s1, s0
	v_add_co_u32 v2, vcc_lo, v2, 32
	v_add_co_ci_u32_e64 v3, null, 0, v3, vcc_lo
	s_mov_b32 s12, 0x71594535
.LBB242_9:                              ; =>This Inner Loop Header: Depth=1
	v_add_nc_u32_e32 v18, s1, v5
	s_clause 0x1
	global_load_dwordx4 v[10:13], v[2:3], off offset:-32
	global_load_dwordx4 v[14:17], v[2:3], off offset:-16
	v_add_nc_u32_e32 v5, 4, v5
	v_mad_i64_i32 v[22:23], null, 0x88, v18, s[16:17]
	v_cmp_le_u32_e64 s0, s9, v5
	s_or_b32 s3, s0, s3
	v_add_co_u32 v18, vcc_lo, v22, v9
	v_add_co_ci_u32_e64 v19, null, 0, v23, vcc_lo
	v_add_co_u32 v24, vcc_lo, v22, v6
	v_add_co_ci_u32_e64 v25, null, 0, v23, vcc_lo
	s_clause 0x2
	global_load_dwordx4 v[18:21], v[18:19], off offset:8
	global_load_ubyte v24, v[24:25], off offset:4
	global_load_dword v22, v[22:23], off
	global_load_dword v23, v[2:3], off
	v_mov_b32_e32 v25, 0
	v_add_co_u32 v2, vcc_lo, 0x480, v2
	v_add_co_ci_u32_e64 v3, null, 0, v3, vcc_lo
	s_waitcnt vmcnt(5)
	v_cvt_f32_f16_e32 v10, v10
	s_waitcnt vmcnt(3)
	v_ashrrev_i32_e32 v26, 4, v18
	v_and_b32_e32 v27, 0x7070707, v18
	v_lshrrev_b32_e32 v18, 1, v18
	v_ashrrev_i32_e32 v28, 4, v19
	v_and_b32_e32 v29, 0x7070707, v19
	v_and_b32_e32 v36, 0x7070707, v26
	v_perm_b32 v35, s11, 0xbfad9881, v27
	v_perm_b32 v27, s12, 0x26190d01, v27
	v_and_or_b32 v18, v18, s13, 0x3020100
	v_lshrrev_b32_e32 v26, 1, v26
	v_lshrrev_b32_e32 v19, 1, v19
	v_perm_b32 v43, s11, 0xbfad9881, v36
	v_perm_b32 v36, s12, 0x26190d01, v36
	;; [unrolled: 1-line block ×3, first 2 shown]
	v_and_or_b32 v26, v26, s13, 0x3020100
	v_perm_b32 v37, s11, 0xbfad9881, v29
	v_and_b32_e32 v38, 0x7070707, v28
	v_perm_b32 v29, s12, 0x26190d01, v29
	v_and_or_b32 v19, v19, s13, 0x3020100
	v_lshrrev_b32_e32 v28, 1, v28
	v_perm_b32 v26, v36, v43, v26
	v_dot4c_i32_i8 v25, v18, v11
	v_ashrrev_i32_e32 v30, 4, v20
	v_and_b32_e32 v31, 0x7070707, v20
	v_lshrrev_b32_e32 v20, 1, v20
	v_perm_b32 v27, s11, 0xbfad9881, v38
	v_perm_b32 v11, s12, 0x26190d01, v38
	v_perm_b32 v18, v29, v37, v19
	v_and_or_b32 v19, v28, s13, 0x3020100
	v_dot4c_i32_i8 v25, v26, v15
	v_perm_b32 v39, s11, 0xbfad9881, v31
	v_and_b32_e32 v40, 0x7070707, v30
	v_perm_b32 v31, s12, 0x26190d01, v31
	v_and_or_b32 v20, v20, s13, 0x3020100
	v_lshrrev_b32_e32 v30, 1, v30
	v_perm_b32 v11, v11, v27, v19
	v_dot4c_i32_i8 v25, v18, v12
	v_ashrrev_i32_e32 v32, 4, v21
	v_and_b32_e32 v33, 0x7070707, v21
	v_lshrrev_b32_e32 v21, 1, v21
	v_perm_b32 v26, s11, 0xbfad9881, v40
	v_perm_b32 v12, s12, 0x26190d01, v40
	;; [unrolled: 1-line block ×3, first 2 shown]
	v_and_or_b32 v19, v30, s13, 0x3020100
	v_dot4c_i32_i8 v25, v11, v16
	s_waitcnt vmcnt(1)
	v_lshrrev_b32_sdwa v34, v8, v22 dst_sel:DWORD dst_unused:UNUSED_PAD src0_sel:DWORD src1_sel:WORD_1
	v_perm_b32 v41, s11, 0xbfad9881, v33
	v_and_b32_e32 v42, 0x7070707, v32
	v_perm_b32 v33, s12, 0x26190d01, v33
	v_and_or_b32 v21, v21, s13, 0x3020100
	v_lshrrev_b32_e32 v15, 1, v32
	v_perm_b32 v12, v12, v26, v19
	v_dot4c_i32_i8 v25, v18, v13
	v_bfe_u32 v24, v24, v7, 4
	v_lshlrev_b32_e32 v11, 4, v34
	v_perm_b32 v16, s11, 0xbfad9881, v42
	v_perm_b32 v13, s12, 0x26190d01, v42
	;; [unrolled: 1-line block ×3, first 2 shown]
	v_and_or_b32 v15, v15, s13, 0x3020100
	v_dot4c_i32_i8 v25, v12, v17
	v_and_or_b32 v11, v11, 48, v24
	v_perm_b32 v12, v13, v16, v15
	v_dot4c_i32_i8 v25, v18, v14
	v_subrev_nc_u32_e32 v11, 32, v11
	s_waitcnt vmcnt(0)
	v_dot4c_i32_i8 v25, v12, v23
	v_cvt_f32_f16_e32 v12, v22
	v_mul_lo_u32 v11, v11, v25
	v_mul_f32_e32 v10, v12, v10
	v_cvt_f32_i32_e32 v11, v11
	v_fmac_f32_e32 v4, v10, v11
	s_andn2_b32 exec_lo, exec_lo, s3
	s_cbranch_execnz .LBB242_9
; %bb.10:
	s_or_b32 exec_lo, exec_lo, s3
.LBB242_11:
	s_or_b32 exec_lo, exec_lo, s7
	s_waitcnt lgkmcnt(0)
	; wave barrier
	buffer_gl0_inv
	s_mov_b32 s0, exec_lo
	v_cmpx_eq_u32_e32 0, v1
	s_cbranch_execz .LBB242_14
; %bb.12:
	v_mbcnt_lo_u32_b32 v1, -1, 0
	v_xor_b32_e32 v2, 16, v1
	v_xor_b32_e32 v3, 8, v1
	v_cmp_gt_i32_e32 vcc_lo, 32, v2
	v_cndmask_b32_e32 v2, v1, v2, vcc_lo
	v_cmp_gt_i32_e32 vcc_lo, 32, v3
	v_lshlrev_b32_e32 v2, 2, v2
	v_cndmask_b32_e32 v3, v1, v3, vcc_lo
	ds_bpermute_b32 v2, v2, v4
	v_lshlrev_b32_e32 v3, 2, v3
	s_waitcnt lgkmcnt(0)
	v_add_f32_e32 v2, v4, v2
	v_xor_b32_e32 v4, 4, v1
	ds_bpermute_b32 v3, v3, v2
	v_cmp_gt_i32_e32 vcc_lo, 32, v4
	v_cndmask_b32_e32 v4, v1, v4, vcc_lo
	v_lshlrev_b32_e32 v4, 2, v4
	s_waitcnt lgkmcnt(0)
	v_add_f32_e32 v2, v2, v3
	ds_bpermute_b32 v3, v4, v2
	v_xor_b32_e32 v4, 2, v1
	v_cmp_gt_i32_e32 vcc_lo, 32, v4
	v_cndmask_b32_e32 v4, v1, v4, vcc_lo
	v_lshlrev_b32_e32 v4, 2, v4
	s_waitcnt lgkmcnt(0)
	v_add_f32_e32 v2, v2, v3
	ds_bpermute_b32 v3, v4, v2
	v_xor_b32_e32 v4, 1, v1
	v_cmp_gt_i32_e32 vcc_lo, 32, v4
	v_cndmask_b32_e32 v1, v1, v4, vcc_lo
	v_cmp_eq_u32_e32 vcc_lo, 0, v0
	v_lshlrev_b32_e32 v4, 2, v1
	s_waitcnt lgkmcnt(0)
	v_add_f32_e32 v1, v2, v3
	ds_bpermute_b32 v2, v4, v1
	s_and_b32 exec_lo, exec_lo, vcc_lo
	s_cbranch_execz .LBB242_14
; %bb.13:
	s_load_dwordx2 s[0:1], s[4:5], 0x38
	s_mul_i32 s2, s2, s10
	s_mul_i32 s3, s14, s8
	s_add_i32 s2, s2, s6
	s_waitcnt lgkmcnt(0)
	v_add_f32_e32 v0, v1, v2
	s_add_i32 s2, s2, s3
	s_mov_b32 s3, 0
	v_mov_b32_e32 v1, 0
	s_lshl_b64 s[2:3], s[2:3], 2
	s_add_u32 s0, s0, s2
	s_addc_u32 s1, s1, s3
	global_store_dword v1, v0, s[0:1]
.LBB242_14:
	s_endpgm
	.section	.rodata,"a",@progbits
	.p2align	6, 0x0
	.amdhsa_kernel _ZL13mul_mat_vec_qIL9ggml_type23ELi1ELb0ELb1EEvPKvS2_PKi31ggml_cuda_mm_fusion_args_devicePfj15HIP_vector_typeIjLj3EEjjjS8_jjjS8_jjjj
		.amdhsa_group_segment_fixed_size 0
		.amdhsa_private_segment_fixed_size 0
		.amdhsa_kernarg_size 144
		.amdhsa_user_sgpr_count 6
		.amdhsa_user_sgpr_private_segment_buffer 1
		.amdhsa_user_sgpr_dispatch_ptr 0
		.amdhsa_user_sgpr_queue_ptr 0
		.amdhsa_user_sgpr_kernarg_segment_ptr 1
		.amdhsa_user_sgpr_dispatch_id 0
		.amdhsa_user_sgpr_flat_scratch_init 0
		.amdhsa_user_sgpr_private_segment_size 0
		.amdhsa_wavefront_size32 1
		.amdhsa_uses_dynamic_stack 0
		.amdhsa_system_sgpr_private_segment_wavefront_offset 0
		.amdhsa_system_sgpr_workgroup_id_x 1
		.amdhsa_system_sgpr_workgroup_id_y 1
		.amdhsa_system_sgpr_workgroup_id_z 1
		.amdhsa_system_sgpr_workgroup_info 0
		.amdhsa_system_vgpr_workitem_id 1
		.amdhsa_next_free_vgpr 44
		.amdhsa_next_free_sgpr 22
		.amdhsa_reserve_vcc 1
		.amdhsa_reserve_flat_scratch 0
		.amdhsa_float_round_mode_32 0
		.amdhsa_float_round_mode_16_64 0
		.amdhsa_float_denorm_mode_32 3
		.amdhsa_float_denorm_mode_16_64 3
		.amdhsa_dx10_clamp 1
		.amdhsa_ieee_mode 1
		.amdhsa_fp16_overflow 0
		.amdhsa_workgroup_processor_mode 1
		.amdhsa_memory_ordered 1
		.amdhsa_forward_progress 1
		.amdhsa_shared_vgpr_count 0
		.amdhsa_exception_fp_ieee_invalid_op 0
		.amdhsa_exception_fp_denorm_src 0
		.amdhsa_exception_fp_ieee_div_zero 0
		.amdhsa_exception_fp_ieee_overflow 0
		.amdhsa_exception_fp_ieee_underflow 0
		.amdhsa_exception_fp_ieee_inexact 0
		.amdhsa_exception_int_div_zero 0
	.end_amdhsa_kernel
	.section	.text._ZL13mul_mat_vec_qIL9ggml_type23ELi1ELb0ELb1EEvPKvS2_PKi31ggml_cuda_mm_fusion_args_devicePfj15HIP_vector_typeIjLj3EEjjjS8_jjjS8_jjjj,"axG",@progbits,_ZL13mul_mat_vec_qIL9ggml_type23ELi1ELb0ELb1EEvPKvS2_PKi31ggml_cuda_mm_fusion_args_devicePfj15HIP_vector_typeIjLj3EEjjjS8_jjjS8_jjjj,comdat
.Lfunc_end242:
	.size	_ZL13mul_mat_vec_qIL9ggml_type23ELi1ELb0ELb1EEvPKvS2_PKi31ggml_cuda_mm_fusion_args_devicePfj15HIP_vector_typeIjLj3EEjjjS8_jjjS8_jjjj, .Lfunc_end242-_ZL13mul_mat_vec_qIL9ggml_type23ELi1ELb0ELb1EEvPKvS2_PKi31ggml_cuda_mm_fusion_args_devicePfj15HIP_vector_typeIjLj3EEjjjS8_jjjS8_jjjj
                                        ; -- End function
	.set _ZL13mul_mat_vec_qIL9ggml_type23ELi1ELb0ELb1EEvPKvS2_PKi31ggml_cuda_mm_fusion_args_devicePfj15HIP_vector_typeIjLj3EEjjjS8_jjjS8_jjjj.num_vgpr, 44
	.set _ZL13mul_mat_vec_qIL9ggml_type23ELi1ELb0ELb1EEvPKvS2_PKi31ggml_cuda_mm_fusion_args_devicePfj15HIP_vector_typeIjLj3EEjjjS8_jjjS8_jjjj.num_agpr, 0
	.set _ZL13mul_mat_vec_qIL9ggml_type23ELi1ELb0ELb1EEvPKvS2_PKi31ggml_cuda_mm_fusion_args_devicePfj15HIP_vector_typeIjLj3EEjjjS8_jjjS8_jjjj.numbered_sgpr, 22
	.set _ZL13mul_mat_vec_qIL9ggml_type23ELi1ELb0ELb1EEvPKvS2_PKi31ggml_cuda_mm_fusion_args_devicePfj15HIP_vector_typeIjLj3EEjjjS8_jjjS8_jjjj.num_named_barrier, 0
	.set _ZL13mul_mat_vec_qIL9ggml_type23ELi1ELb0ELb1EEvPKvS2_PKi31ggml_cuda_mm_fusion_args_devicePfj15HIP_vector_typeIjLj3EEjjjS8_jjjS8_jjjj.private_seg_size, 0
	.set _ZL13mul_mat_vec_qIL9ggml_type23ELi1ELb0ELb1EEvPKvS2_PKi31ggml_cuda_mm_fusion_args_devicePfj15HIP_vector_typeIjLj3EEjjjS8_jjjS8_jjjj.uses_vcc, 1
	.set _ZL13mul_mat_vec_qIL9ggml_type23ELi1ELb0ELb1EEvPKvS2_PKi31ggml_cuda_mm_fusion_args_devicePfj15HIP_vector_typeIjLj3EEjjjS8_jjjS8_jjjj.uses_flat_scratch, 0
	.set _ZL13mul_mat_vec_qIL9ggml_type23ELi1ELb0ELb1EEvPKvS2_PKi31ggml_cuda_mm_fusion_args_devicePfj15HIP_vector_typeIjLj3EEjjjS8_jjjS8_jjjj.has_dyn_sized_stack, 0
	.set _ZL13mul_mat_vec_qIL9ggml_type23ELi1ELb0ELb1EEvPKvS2_PKi31ggml_cuda_mm_fusion_args_devicePfj15HIP_vector_typeIjLj3EEjjjS8_jjjS8_jjjj.has_recursion, 0
	.set _ZL13mul_mat_vec_qIL9ggml_type23ELi1ELb0ELb1EEvPKvS2_PKi31ggml_cuda_mm_fusion_args_devicePfj15HIP_vector_typeIjLj3EEjjjS8_jjjS8_jjjj.has_indirect_call, 0
	.section	.AMDGPU.csdata,"",@progbits
; Kernel info:
; codeLenInByte = 1412
; TotalNumSgprs: 24
; NumVgprs: 44
; ScratchSize: 0
; MemoryBound: 0
; FloatMode: 240
; IeeeMode: 1
; LDSByteSize: 0 bytes/workgroup (compile time only)
; SGPRBlocks: 0
; VGPRBlocks: 5
; NumSGPRsForWavesPerEU: 24
; NumVGPRsForWavesPerEU: 44
; Occupancy: 16
; WaveLimiterHint : 0
; COMPUTE_PGM_RSRC2:SCRATCH_EN: 0
; COMPUTE_PGM_RSRC2:USER_SGPR: 6
; COMPUTE_PGM_RSRC2:TRAP_HANDLER: 0
; COMPUTE_PGM_RSRC2:TGID_X_EN: 1
; COMPUTE_PGM_RSRC2:TGID_Y_EN: 1
; COMPUTE_PGM_RSRC2:TGID_Z_EN: 1
; COMPUTE_PGM_RSRC2:TIDIG_COMP_CNT: 1
	.section	.text._ZL13mul_mat_vec_qIL9ggml_type23ELi1ELb1ELb0EEvPKvS2_PKi31ggml_cuda_mm_fusion_args_devicePfj15HIP_vector_typeIjLj3EEjjjS8_jjjS8_jjjj,"axG",@progbits,_ZL13mul_mat_vec_qIL9ggml_type23ELi1ELb1ELb0EEvPKvS2_PKi31ggml_cuda_mm_fusion_args_devicePfj15HIP_vector_typeIjLj3EEjjjS8_jjjS8_jjjj,comdat
	.globl	_ZL13mul_mat_vec_qIL9ggml_type23ELi1ELb1ELb0EEvPKvS2_PKi31ggml_cuda_mm_fusion_args_devicePfj15HIP_vector_typeIjLj3EEjjjS8_jjjS8_jjjj ; -- Begin function _ZL13mul_mat_vec_qIL9ggml_type23ELi1ELb1ELb0EEvPKvS2_PKi31ggml_cuda_mm_fusion_args_devicePfj15HIP_vector_typeIjLj3EEjjjS8_jjjS8_jjjj
	.p2align	8
	.type	_ZL13mul_mat_vec_qIL9ggml_type23ELi1ELb1ELb0EEvPKvS2_PKi31ggml_cuda_mm_fusion_args_devicePfj15HIP_vector_typeIjLj3EEjjjS8_jjjS8_jjjj,@function
_ZL13mul_mat_vec_qIL9ggml_type23ELi1ELb1ELb0EEvPKvS2_PKi31ggml_cuda_mm_fusion_args_devicePfj15HIP_vector_typeIjLj3EEjjjS8_jjjS8_jjjj: ; @_ZL13mul_mat_vec_qIL9ggml_type23ELi1ELb1ELb0EEvPKvS2_PKi31ggml_cuda_mm_fusion_args_devicePfj15HIP_vector_typeIjLj3EEjjjS8_jjjS8_jjjj
; %bb.0:
	s_clause 0x3
	s_load_dwordx8 s[12:19], s[4:5], 0x0
	s_load_dwordx4 s[28:31], s[4:5], 0x20
	s_load_dwordx4 s[36:39], s[4:5], 0x40
	;; [unrolled: 1-line block ×3, first 2 shown]
	s_mov_b32 s10, s7
	s_waitcnt lgkmcnt(0)
	s_cmp_lg_u64 s[16:17], 0
	s_cselect_b32 s0, -1, 0
	s_cmp_eq_u64 s[16:17], 0
	s_cbranch_scc1 .LBB243_5
; %bb.1:
	s_mov_b32 s11, 0
	s_lshl_b64 s[2:3], s[10:11], 2
	s_add_u32 s2, s16, s2
	s_addc_u32 s3, s17, s3
	s_load_dword s34, s[2:3], 0x0
	s_clause 0x1
	s_load_dword s35, s[4:5], 0x50
	s_load_dword s33, s[4:5], 0x78
	s_cbranch_execnz .LBB243_3
.LBB243_2:
	s_load_dwordx2 s[2:3], s[4:5], 0x5c
	s_waitcnt lgkmcnt(0)
	s_mul_hi_u32 s1, s2, s10
	s_add_i32 s1, s10, s1
	s_lshr_b32 s34, s1, s3
.LBB243_3:
	s_andn2_b32 vcc_lo, exec_lo, s0
	s_cbranch_vccnz .LBB243_6
; %bb.4:
	s_mul_hi_u32 s0, s37, s10
	s_waitcnt lgkmcnt(0)
	s_mov_b32 s1, s34
	s_add_i32 s0, s10, s0
	s_lshr_b32 s0, s0, s38
	s_mul_i32 s0, s0, s39
	s_sub_i32 s11, s10, s0
	s_branch .LBB243_7
.LBB243_5:
                                        ; implicit-def: $sgpr34
	s_clause 0x1
	s_load_dword s35, s[4:5], 0x50
	s_load_dword s33, s[4:5], 0x78
	s_branch .LBB243_2
.LBB243_6:
	s_mov_b32 s1, s10
	s_mov_b32 s11, s10
.LBB243_7:
	s_load_dwordx4 s[24:27], s[4:5], 0x80
	v_or_b32_e32 v2, v0, v1
	s_cmp_lg_u64 s[18:19], 0
	v_mov_b32_e32 v16, 0
	v_mov_b32_e32 v17, 0
	s_cselect_b32 s0, -1, 0
	v_cmp_eq_u32_e32 vcc_lo, 0, v2
	s_mov_b32 s17, 0
	s_mul_i32 s2, s1, s22
	s_and_b32 s3, s0, vcc_lo
	s_and_saveexec_b32 s1, s3
	s_cbranch_execz .LBB243_9
; %bb.8:
	s_waitcnt lgkmcnt(0)
	s_mul_i32 s16, s26, s8
	s_mov_b32 s3, s17
	s_lshl_b64 s[38:39], s[16:17], 2
	v_lshlrev_b32_e32 v2, 2, v0
	s_add_u32 s7, s18, s38
	s_addc_u32 s9, s19, s39
	s_lshl_b64 s[16:17], s[2:3], 2
	s_add_u32 s3, s7, s16
	s_addc_u32 s9, s9, s17
	s_ashr_i32 s7, s6, 31
	s_lshl_b64 s[16:17], s[6:7], 2
	s_add_u32 s16, s3, s16
	s_addc_u32 s17, s9, s17
	global_load_dword v17, v2, s[16:17]
.LBB243_9:
	s_or_b32 exec_lo, exec_lo, s1
	s_cmp_lg_u64 s[28:29], 0
	s_cselect_b32 s9, -1, 0
	s_cmp_lg_u64 s[30:31], 0
	s_cselect_b32 s1, -1, 0
	s_and_b32 s3, s1, s9
	s_and_b32 s3, s3, vcc_lo
	s_and_saveexec_b32 s16, s3
	s_cbranch_execz .LBB243_11
; %bb.10:
	s_waitcnt lgkmcnt(0)
	s_mul_i32 s18, s26, s8
	s_mov_b32 s19, 0
	v_lshlrev_b32_e32 v2, 2, v0
	s_lshl_b64 s[38:39], s[18:19], 2
	s_mov_b32 s3, s19
	s_add_u32 s7, s30, s38
	s_addc_u32 s17, s31, s39
	s_lshl_b64 s[2:3], s[2:3], 2
	s_add_u32 s18, s7, s2
	s_addc_u32 s17, s17, s3
	s_ashr_i32 s7, s6, 31
	s_lshl_b64 s[2:3], s[6:7], 2
	s_add_u32 s2, s18, s2
	s_addc_u32 s3, s17, s3
	global_load_dword v16, v2, s[2:3]
.LBB243_11:
	s_or_b32 exec_lo, exec_lo, s16
	v_lshl_or_b32 v2, v1, 5, v0
	v_mov_b32_e32 v20, 0
	v_cndmask_b32_e64 v18, 0, 1, s9
	v_mov_b32_e32 v19, 0
	s_lshr_b32 s3, s36, 8
	v_lshrrev_b32_e32 v21, 3, v2
	s_mov_b32 s7, exec_lo
	v_cmpx_gt_u32_e64 s3, v21
	s_cbranch_execz .LBB243_17
; %bb.12:
	v_lshrrev_b32_e32 v2, 3, v2
	s_mul_i32 s2, s11, s21
	s_waitcnt lgkmcnt(0)
	s_mul_i32 s11, s25, s8
	s_mul_hi_u32 s17, s2, 36
	s_mul_i32 s16, s2, 36
	v_and_b32_e32 v5, 7, v0
	v_mad_u64_u32 v[2:3], null, 0x120, v2, s[16:17]
	v_lshlrev_b32_e32 v4, 2, v0
	s_mul_hi_u32 s2, s23, s8
	s_mul_i32 s35, s35, s6
	s_add_i32 s2, s8, s2
	v_mov_b32_e32 v20, 0
	s_lshr_b32 s2, s2, s33
	v_mad_u64_u32 v[2:3], null, s11, 36, v[2:3]
	s_mul_i32 s2, s2, s24
	v_bfe_u32 v22, v4, 3, 2
	v_and_b32_e32 v23, 4, v4
	v_mov_b32_e32 v19, 0
	s_mul_i32 s16, s34, s20
	s_add_i32 s2, s2, s35
	v_mad_u64_u32 v[2:3], null, v5, 36, v[2:3]
	v_and_b32_e32 v5, 28, v4
	s_mov_b32 s11, 0
	s_add_i32 s16, s16, s2
	s_mov_b32 s17, 0x4040404
	v_lshrrev_b32_e32 v24, 1, v5
	v_add_co_u32 v2, vcc_lo, s14, v2
	v_add_co_ci_u32_e64 v3, null, s15, v3, vcc_lo
	v_lshlrev_b32_e32 v25, 2, v5
	v_add_co_u32 v14, vcc_lo, v2, 32
	v_add_co_ci_u32_e64 v15, null, 0, v3, vcc_lo
	s_mov_b32 s14, 0xf6eaddcf
	s_mov_b32 s15, 0x71594535
	s_branch .LBB243_14
.LBB243_13:                             ;   in Loop: Header=BB243_14 Depth=1
	s_waitcnt vmcnt(2)
	v_ashrrev_i32_e32 v29, 4, v6
	v_and_b32_e32 v30, 0x7070707, v6
	v_lshrrev_b32_e32 v6, 1, v6
	v_mov_b32_e32 v34, 0
	v_add_nc_u32_e32 v21, 4, v21
	v_and_b32_e32 v31, 0x7070707, v29
	v_perm_b32 v32, s14, 0xbfad9881, v30
	v_perm_b32 v30, s15, 0x26190d01, v30
	v_and_or_b32 v6, v6, s17, 0x3020100
	v_lshrrev_b32_e32 v29, 1, v29
	v_perm_b32 v33, s14, 0xbfad9881, v31
	v_perm_b32 v31, s15, 0x26190d01, v31
	v_cmp_le_u32_e32 vcc_lo, s3, v21
	v_perm_b32 v6, v30, v32, v6
	v_and_or_b32 v29, v29, s17, 0x3020100
	v_and_b32_e32 v30, 0x7070707, v7
	v_ashrrev_i32_e32 v32, 4, v7
	v_add_co_u32 v14, s2, 0x480, v14
	v_dot4c_i32_i8 v34, v6, v11
	v_lshrrev_b32_e32 v6, 1, v7
	v_perm_b32 v29, v31, v33, v29
	v_perm_b32 v7, s14, 0xbfad9881, v30
	;; [unrolled: 1-line block ×3, first 2 shown]
	v_and_b32_e32 v11, 0x7070707, v32
	v_and_or_b32 v6, v6, s17, 0x3020100
	v_lshrrev_b32_e32 v31, 1, v32
	v_dot4c_i32_i8 v34, v29, v3
	v_add_co_ci_u32_e64 v15, null, 0, v15, s2
	v_perm_b32 v6, v30, v7, v6
	v_perm_b32 v3, s14, 0xbfad9881, v11
	;; [unrolled: 1-line block ×3, first 2 shown]
	v_and_or_b32 v29, v31, s17, 0x3020100
	v_and_b32_e32 v7, 0x7070707, v8
	v_ashrrev_i32_e32 v30, 4, v8
	v_dot4c_i32_i8 v34, v6, v12
	v_lshrrev_b32_e32 v6, 1, v8
	v_perm_b32 v3, v11, v3, v29
	v_perm_b32 v8, s14, 0xbfad9881, v7
	v_and_b32_e32 v11, 0x7070707, v30
	v_perm_b32 v7, s15, 0x26190d01, v7
	v_lshrrev_b32_e32 v12, 1, v30
	v_and_or_b32 v6, v6, s17, 0x3020100
	v_dot4c_i32_i8 v34, v3, v4
	v_perm_b32 v3, s14, 0xbfad9881, v11
	v_perm_b32 v4, s15, 0x26190d01, v11
	v_and_or_b32 v11, v12, s17, 0x3020100
	v_perm_b32 v6, v7, v8, v6
	v_ashrrev_i32_e32 v7, 4, v9
	v_lshrrev_b32_e32 v8, 1, v9
	s_or_b32 s11, vcc_lo, s11
	v_perm_b32 v3, v4, v3, v11
	v_dot4c_i32_i8 v34, v6, v13
	v_and_b32_e32 v4, 0x7070707, v9
	v_and_b32_e32 v6, 0x7070707, v7
	v_and_or_b32 v8, v8, s17, 0x3020100
	v_lshrrev_b32_e32 v7, 1, v7
	v_dot4c_i32_i8 v34, v3, v5
	v_perm_b32 v3, s14, 0xbfad9881, v4
	v_perm_b32 v4, s15, 0x26190d01, v4
	s_waitcnt vmcnt(1)
	v_and_b32_e32 v9, 0xff, v28
	s_waitcnt vmcnt(0)
	v_lshrrev_b32_sdwa v11, v24, v27 dst_sel:DWORD dst_unused:UNUSED_PAD src0_sel:DWORD src1_sel:WORD_1
	v_perm_b32 v5, s14, 0xbfad9881, v6
	v_perm_b32 v6, s15, 0x26190d01, v6
	;; [unrolled: 1-line block ×3, first 2 shown]
	v_and_or_b32 v4, v7, s17, 0x3020100
	v_bfe_u32 v7, v9, v23, 4
	v_lshlrev_b32_e32 v8, 4, v11
	v_dot4c_i32_i8 v34, v3, v2
	v_perm_b32 v4, v6, v5, v4
	v_cvt_f32_f16_e32 v3, v27
	v_and_or_b32 v2, v8, 48, v7
	v_dot4c_i32_i8 v34, v4, v26
	v_mul_f32_e32 v3, v3, v10
	v_subrev_nc_u32_e32 v2, 32, v2
	v_mul_lo_u32 v2, v2, v34
	v_cvt_f32_i32_e32 v2, v2
	v_fmac_f32_e32 v20, v3, v2
	s_andn2_b32 exec_lo, exec_lo, s11
	s_cbranch_execz .LBB243_16
.LBB243_14:                             ; =>This Inner Loop Header: Depth=1
	v_add_nc_u32_e32 v29, s16, v21
	v_mad_i64_i32 v[30:31], null, 0x88, v29, s[12:13]
	v_add_co_u32 v6, vcc_lo, v30, v25
	v_add_co_ci_u32_e64 v7, null, 0, v31, vcc_lo
	v_add_co_u32 v27, vcc_lo, v30, v22
	v_add_co_ci_u32_e64 v28, null, 0, v31, vcc_lo
	s_clause 0x2
	global_load_dwordx4 v[10:13], v[14:15], off offset:-32
	global_load_dwordx4 v[2:5], v[14:15], off offset:-16
	global_load_dword v26, v[14:15], off
	s_clause 0x2
	global_load_dwordx4 v[6:9], v[6:7], off offset:8
	global_load_ubyte v28, v[27:28], off offset:4
	global_load_dword v27, v[30:31], off
	s_andn2_b32 vcc_lo, exec_lo, s9
	s_waitcnt vmcnt(5)
	v_cvt_f32_f16_e32 v10, v10
	s_cbranch_vccnz .LBB243_13
; %bb.15:                               ;   in Loop: Header=BB243_14 Depth=1
	v_mad_i64_i32 v[33:34], null, 0x88, v29, s[28:29]
	v_add_co_u32 v29, vcc_lo, v33, v25
	v_add_co_ci_u32_e64 v30, null, 0, v34, vcc_lo
	v_add_co_u32 v35, vcc_lo, v33, v22
	v_add_co_ci_u32_e64 v36, null, 0, v34, vcc_lo
	s_clause 0x2
	global_load_dwordx4 v[29:32], v[29:30], off offset:8
	global_load_ubyte v35, v[35:36], off offset:4
	global_load_dword v33, v[33:34], off
	v_mov_b32_e32 v34, 0
	s_waitcnt vmcnt(2)
	v_ashrrev_i32_e32 v36, 4, v29
	v_and_b32_e32 v37, 0x7070707, v29
	v_lshrrev_b32_e32 v29, 1, v29
	v_ashrrev_i32_e32 v38, 4, v30
	v_and_b32_e32 v39, 0x7070707, v30
	v_and_b32_e32 v46, 0x7070707, v36
	v_perm_b32 v45, s14, 0xbfad9881, v37
	v_perm_b32 v37, s15, 0x26190d01, v37
	v_and_or_b32 v29, v29, s17, 0x3020100
	v_lshrrev_b32_e32 v36, 1, v36
	v_lshrrev_b32_e32 v30, 1, v30
	v_perm_b32 v50, s14, 0xbfad9881, v46
	v_perm_b32 v46, s15, 0x26190d01, v46
	;; [unrolled: 1-line block ×3, first 2 shown]
	v_and_or_b32 v36, v36, s17, 0x3020100
	v_perm_b32 v47, s14, 0xbfad9881, v39
	v_and_b32_e32 v48, 0x7070707, v38
	v_perm_b32 v39, s15, 0x26190d01, v39
	v_and_or_b32 v30, v30, s17, 0x3020100
	v_lshrrev_b32_e32 v38, 1, v38
	v_perm_b32 v36, v46, v50, v36
	v_dot4c_i32_i8 v34, v29, v11
	v_ashrrev_i32_e32 v40, 4, v31
	v_and_b32_e32 v41, 0x7070707, v31
	v_lshrrev_b32_e32 v31, 1, v31
	v_perm_b32 v29, s14, 0xbfad9881, v48
	v_perm_b32 v45, s15, 0x26190d01, v48
	;; [unrolled: 1-line block ×3, first 2 shown]
	v_and_or_b32 v38, v38, s17, 0x3020100
	v_dot4c_i32_i8 v34, v36, v3
	v_perm_b32 v49, s14, 0xbfad9881, v41
	v_and_b32_e32 v37, 0x7070707, v40
	v_perm_b32 v41, s15, 0x26190d01, v41
	v_and_or_b32 v31, v31, s17, 0x3020100
	v_lshrrev_b32_e32 v36, 1, v40
	v_perm_b32 v29, v45, v29, v38
	v_dot4c_i32_i8 v34, v30, v12
	v_ashrrev_i32_e32 v42, 4, v32
	v_and_b32_e32 v43, 0x7070707, v32
	v_lshrrev_b32_e32 v32, 1, v32
	v_perm_b32 v30, s14, 0xbfad9881, v37
	v_perm_b32 v37, s15, 0x26190d01, v37
	;; [unrolled: 1-line block ×3, first 2 shown]
	v_and_or_b32 v36, v36, s17, 0x3020100
	v_dot4c_i32_i8 v34, v29, v4
	s_waitcnt vmcnt(0)
	v_lshrrev_b32_sdwa v44, v24, v33 dst_sel:DWORD dst_unused:UNUSED_PAD src0_sel:DWORD src1_sel:WORD_1
	v_perm_b32 v39, s14, 0xbfad9881, v43
	v_and_b32_e32 v40, 0x7070707, v42
	v_perm_b32 v29, s15, 0x26190d01, v43
	v_and_or_b32 v32, v32, s17, 0x3020100
	v_lshrrev_b32_e32 v38, 1, v42
	v_perm_b32 v30, v37, v30, v36
	v_dot4c_i32_i8 v34, v31, v13
	v_bfe_u32 v35, v35, v23, 4
	v_perm_b32 v31, s14, 0xbfad9881, v40
	v_perm_b32 v36, s15, 0x26190d01, v40
	v_perm_b32 v29, v29, v39, v32
	v_and_or_b32 v32, v38, s17, 0x3020100
	v_dot4c_i32_i8 v34, v30, v5
	v_lshlrev_b32_e32 v30, 4, v44
	v_perm_b32 v31, v36, v31, v32
	v_dot4c_i32_i8 v34, v29, v2
	v_and_or_b32 v29, v30, 48, v35
	v_cvt_f32_f16_e32 v30, v33
	v_dot4c_i32_i8 v34, v31, v26
	v_subrev_nc_u32_e32 v29, 32, v29
	v_mul_f32_e32 v30, v10, v30
	v_mul_lo_u32 v29, v34, v29
	v_cvt_f32_i32_e32 v29, v29
	v_fmac_f32_e32 v19, v30, v29
	s_branch .LBB243_13
.LBB243_16:
	s_or_b32 exec_lo, exec_lo, s11
.LBB243_17:
	s_or_b32 exec_lo, exec_lo, s7
	s_load_dword s2, s[4:5], 0x30
	s_waitcnt vmcnt(0) lgkmcnt(0)
	; wave barrier
	buffer_gl0_inv
	s_mov_b32 s3, exec_lo
	v_cmpx_eq_u32_e32 0, v1
	s_cbranch_execz .LBB243_44
; %bb.18:
	v_mbcnt_lo_u32_b32 v2, -1, 0
	v_xor_b32_e32 v1, 16, v2
	v_xor_b32_e32 v4, 8, v2
	v_xor_b32_e32 v5, 4, v2
	v_cmp_gt_i32_e32 vcc_lo, 32, v1
	v_cndmask_b32_e32 v1, v2, v1, vcc_lo
	v_cmp_gt_i32_e32 vcc_lo, 32, v4
	v_lshlrev_b32_e32 v1, 2, v1
	v_cndmask_b32_e32 v4, v2, v4, vcc_lo
	v_cmp_gt_i32_e32 vcc_lo, 32, v5
	ds_bpermute_b32 v3, v1, v20
	v_lshlrev_b32_e32 v4, 2, v4
	v_cndmask_b32_e32 v5, v2, v5, vcc_lo
	v_lshlrev_b32_e32 v5, 2, v5
	s_waitcnt lgkmcnt(0)
	v_add_f32_e32 v3, v20, v3
	ds_bpermute_b32 v6, v4, v3
	s_waitcnt lgkmcnt(0)
	v_add_f32_e32 v3, v3, v6
	v_xor_b32_e32 v6, 2, v2
	ds_bpermute_b32 v7, v5, v3
	v_cmp_gt_i32_e32 vcc_lo, 32, v6
	v_cndmask_b32_e32 v6, v2, v6, vcc_lo
	v_lshlrev_b32_e32 v6, 2, v6
	s_waitcnt lgkmcnt(0)
	v_add_f32_e32 v3, v3, v7
	v_xor_b32_e32 v7, 1, v2
	ds_bpermute_b32 v8, v6, v3
	v_cmp_gt_i32_e32 vcc_lo, 32, v7
	v_cndmask_b32_e32 v2, v2, v7, vcc_lo
	v_cmp_ne_u32_e32 vcc_lo, 1, v18
	v_lshlrev_b32_e32 v7, 2, v2
	s_waitcnt lgkmcnt(0)
	v_add_f32_e32 v2, v3, v8
	ds_bpermute_b32 v3, v7, v2
	s_cbranch_vccnz .LBB243_20
; %bb.19:
	ds_bpermute_b32 v1, v1, v19
	s_waitcnt lgkmcnt(0)
	v_add_f32_e32 v1, v19, v1
	ds_bpermute_b32 v4, v4, v1
	s_waitcnt lgkmcnt(0)
	v_add_f32_e32 v1, v1, v4
	;; [unrolled: 3-line block ×5, first 2 shown]
.LBB243_20:
	v_cmp_eq_u32_e32 vcc_lo, 0, v0
	s_and_b32 exec_lo, exec_lo, vcc_lo
	s_cbranch_execz .LBB243_44
; %bb.21:
	s_waitcnt lgkmcnt(0)
	v_add_f32_e32 v1, v2, v3
	v_cmp_ne_u32_e32 vcc_lo, 1, v18
	v_add_f32_e32 v2, v17, v1
	v_cndmask_b32_e64 v1, v1, v2, s0
	s_cbranch_vccnz .LBB243_43
; %bb.22:
	v_add_f32_e32 v2, v16, v19
	s_cmp_lt_i32 s2, 2
	s_mov_b32 s0, 0
	v_cndmask_b32_e64 v2, v19, v2, s1
	s_cbranch_scc1 .LBB243_26
; %bb.23:
	s_cmp_gt_i32 s2, 2
	s_cbranch_scc0 .LBB243_27
; %bb.24:
	s_cmp_eq_u32 s2, 3
	s_cbranch_scc0 .LBB243_28
; %bb.25:
	v_max_f32_e32 v3, v2, v2
	s_mov_b32 s1, 0
	v_min_f32_e32 v3, 0x40e00000, v3
	v_mul_f32_e32 v4, 0xbfd9db23, v3
	v_mul_f32_e32 v5, 0x3fb8aa3b, v4
	v_cmp_ngt_f32_e32 vcc_lo, 0xc2ce8ed0, v4
	v_fma_f32 v6, 0x3fb8aa3b, v4, -v5
	v_rndne_f32_e32 v7, v5
	v_fmamk_f32 v6, v4, 0x32a5705f, v6
	v_sub_f32_e32 v5, v5, v7
	v_add_f32_e32 v5, v5, v6
	v_cvt_i32_f32_e32 v6, v7
	v_exp_f32_e32 v5, v5
	v_ldexp_f32 v5, v5, v6
	v_cndmask_b32_e32 v5, 0, v5, vcc_lo
	v_cmp_nlt_f32_e32 vcc_lo, 0x42b17218, v4
	v_cndmask_b32_e32 v4, 0x7f800000, v5, vcc_lo
	v_add_f32_e32 v4, 1.0, v4
	v_div_scale_f32 v5, null, v4, v4, v3
	v_div_scale_f32 v8, vcc_lo, v3, v4, v3
	v_rcp_f32_e32 v6, v5
	v_fma_f32 v7, -v5, v6, 1.0
	v_fmac_f32_e32 v6, v7, v6
	v_mul_f32_e32 v7, v8, v6
	v_fma_f32 v9, -v5, v7, v8
	v_fmac_f32_e32 v7, v9, v6
	v_max_f32_e32 v9, v1, v1
	v_fma_f32 v5, -v5, v7, v8
	v_min_f32_e32 v8, 0x40e00000, v9
	v_div_fmas_f32 v5, v5, v6, v7
	v_max_f32_e32 v6, 0xc0e00000, v8
	v_div_fixup_f32 v3, v5, v4, v3
	v_add_f32_e32 v4, 1.0, v6
	v_mul_f32_e32 v3, v4, v3
	s_branch .LBB243_29
.LBB243_26:
	s_mov_b32 s1, 0
                                        ; implicit-def: $vgpr3
	s_cbranch_execnz .LBB243_33
	s_branch .LBB243_34
.LBB243_27:
	s_mov_b32 s3, -1
	s_mov_b32 s1, 0
                                        ; implicit-def: $vgpr3
	s_branch .LBB243_30
.LBB243_28:
	s_mov_b32 s1, -1
                                        ; implicit-def: $vgpr3
.LBB243_29:
	s_mov_b32 s3, 0
.LBB243_30:
	s_and_b32 vcc_lo, exec_lo, s3
	s_cbranch_vccz .LBB243_32
; %bb.31:
	v_mul_f32_e32 v3, 0xbfb8aa3b, v2
	v_cmp_nlt_f32_e32 vcc_lo, 0x42ce8ed0, v2
	v_rndne_f32_e32 v4, v3
	v_fma_f32 v5, 0xbfb8aa3b, v2, -v3
	v_sub_f32_e32 v3, v3, v4
	v_fmamk_f32 v5, v2, 0xb2a5705f, v5
	v_cvt_i32_f32_e32 v4, v4
	v_add_f32_e32 v3, v3, v5
	v_exp_f32_e32 v3, v3
	v_ldexp_f32 v3, v3, v4
	v_cndmask_b32_e32 v3, 0, v3, vcc_lo
	v_cmp_ngt_f32_e32 vcc_lo, 0xc2b17218, v2
	v_cndmask_b32_e32 v3, 0x7f800000, v3, vcc_lo
	v_add_f32_e32 v3, 1.0, v3
	v_div_scale_f32 v4, null, v3, v3, v2
	v_rcp_f32_e32 v5, v4
	v_fma_f32 v6, -v4, v5, 1.0
	v_fmac_f32_e32 v5, v6, v5
	v_div_scale_f32 v6, vcc_lo, v2, v3, v2
	v_mul_f32_e32 v7, v6, v5
	v_fma_f32 v8, -v4, v7, v6
	v_fmac_f32_e32 v7, v8, v5
	v_fma_f32 v4, -v4, v7, v6
	v_div_fmas_f32 v4, v4, v5, v7
	v_div_fixup_f32 v3, v4, v3, v2
	v_mul_f32_e32 v3, v1, v3
.LBB243_32:
	s_branch .LBB243_34
.LBB243_33:
	s_cmp_lg_u32 s2, 1
	s_mov_b32 s0, -1
	s_cselect_b32 s1, -1, 0
.LBB243_34:
	s_andn2_b32 vcc_lo, exec_lo, s1
	s_cbranch_vccz .LBB243_36
; %bb.35:
	s_andn2_b32 vcc_lo, exec_lo, s0
	s_cbranch_vccz .LBB243_37
	s_branch .LBB243_42
.LBB243_36:
	v_mul_f32_e32 v3, v2, v1
	s_cbranch_execnz .LBB243_42
.LBB243_37:
	v_mul_f32_e32 v3, 0x3d372713, v2
	v_mul_f32_e32 v4, 0x3f4c422a, v2
	v_fma_f32 v3, v2, v3, 1.0
	v_mul_f32_e32 v3, v4, v3
                                        ; implicit-def: $vgpr4
	v_cmp_ngt_f32_e64 s0, 0x3f200000, |v3|
	s_and_saveexec_b32 s1, s0
	s_xor_b32 s0, exec_lo, s1
	s_cbranch_execz .LBB243_39
; %bb.38:
	v_add_f32_e64 v4, |v3|, |v3|
	v_mul_f32_e32 v5, 0x3fb8aa3b, v4
	v_cmp_ngt_f32_e32 vcc_lo, 0xc2ce8ed0, v4
	v_rndne_f32_e32 v6, v5
	v_fma_f32 v7, 0x3fb8aa3b, v4, -v5
	v_sub_f32_e32 v5, v5, v6
	v_fmamk_f32 v7, v4, 0x32a5705f, v7
	v_cvt_i32_f32_e32 v6, v6
	v_add_f32_e32 v5, v5, v7
	v_exp_f32_e32 v5, v5
	v_ldexp_f32 v5, v5, v6
	v_cndmask_b32_e32 v5, 0, v5, vcc_lo
	v_cmp_nlt_f32_e32 vcc_lo, 0x42b17218, v4
	v_cndmask_b32_e32 v4, 0x7f800000, v5, vcc_lo
	v_add_f32_e32 v4, 1.0, v4
	v_rcp_f32_e32 v4, v4
	v_fma_f32 v4, v4, -2.0, 1.0
.LBB243_39:
	s_andn2_saveexec_b32 s0, s0
	s_cbranch_execz .LBB243_41
; %bb.40:
	v_mul_f32_e32 v4, v3, v3
	s_mov_b32 s1, 0xbbbac73d
	v_fmaak_f32 v5, s1, v4, 0x3ca908c9
	v_fmaak_f32 v5, v4, v5, 0xbd5c1c4e
	;; [unrolled: 1-line block ×4, first 2 shown]
	v_mul_f32_e64 v5, |v3|, v5
	v_fma_f32 v4, v4, v5, |v3|
.LBB243_41:
	s_or_b32 exec_lo, exec_lo, s0
	v_bfi_b32 v3, 0x7fffffff, v4, v3
	v_mul_f32_e32 v2, 0.5, v2
	v_add_f32_e32 v3, 1.0, v3
	v_mul_f32_e32 v2, v2, v3
	v_mul_f32_e32 v3, v1, v2
.LBB243_42:
	v_mov_b32_e32 v1, v3
.LBB243_43:
	s_load_dwordx2 s[0:1], s[4:5], 0x38
	s_mul_i32 s2, s22, s10
	s_mul_i32 s3, s26, s8
	s_add_i32 s2, s2, s6
	v_lshlrev_b32_e32 v0, 2, v0
	s_add_i32 s2, s2, s3
	s_mov_b32 s3, 0
	s_lshl_b64 s[2:3], s[2:3], 2
	s_waitcnt lgkmcnt(0)
	s_add_u32 s0, s0, s2
	s_addc_u32 s1, s1, s3
	global_store_dword v0, v1, s[0:1]
.LBB243_44:
	s_endpgm
	.section	.rodata,"a",@progbits
	.p2align	6, 0x0
	.amdhsa_kernel _ZL13mul_mat_vec_qIL9ggml_type23ELi1ELb1ELb0EEvPKvS2_PKi31ggml_cuda_mm_fusion_args_devicePfj15HIP_vector_typeIjLj3EEjjjS8_jjjS8_jjjj
		.amdhsa_group_segment_fixed_size 0
		.amdhsa_private_segment_fixed_size 0
		.amdhsa_kernarg_size 144
		.amdhsa_user_sgpr_count 6
		.amdhsa_user_sgpr_private_segment_buffer 1
		.amdhsa_user_sgpr_dispatch_ptr 0
		.amdhsa_user_sgpr_queue_ptr 0
		.amdhsa_user_sgpr_kernarg_segment_ptr 1
		.amdhsa_user_sgpr_dispatch_id 0
		.amdhsa_user_sgpr_flat_scratch_init 0
		.amdhsa_user_sgpr_private_segment_size 0
		.amdhsa_wavefront_size32 1
		.amdhsa_uses_dynamic_stack 0
		.amdhsa_system_sgpr_private_segment_wavefront_offset 0
		.amdhsa_system_sgpr_workgroup_id_x 1
		.amdhsa_system_sgpr_workgroup_id_y 1
		.amdhsa_system_sgpr_workgroup_id_z 1
		.amdhsa_system_sgpr_workgroup_info 0
		.amdhsa_system_vgpr_workitem_id 1
		.amdhsa_next_free_vgpr 51
		.amdhsa_next_free_sgpr 40
		.amdhsa_reserve_vcc 1
		.amdhsa_reserve_flat_scratch 0
		.amdhsa_float_round_mode_32 0
		.amdhsa_float_round_mode_16_64 0
		.amdhsa_float_denorm_mode_32 3
		.amdhsa_float_denorm_mode_16_64 3
		.amdhsa_dx10_clamp 1
		.amdhsa_ieee_mode 1
		.amdhsa_fp16_overflow 0
		.amdhsa_workgroup_processor_mode 1
		.amdhsa_memory_ordered 1
		.amdhsa_forward_progress 1
		.amdhsa_shared_vgpr_count 0
		.amdhsa_exception_fp_ieee_invalid_op 0
		.amdhsa_exception_fp_denorm_src 0
		.amdhsa_exception_fp_ieee_div_zero 0
		.amdhsa_exception_fp_ieee_overflow 0
		.amdhsa_exception_fp_ieee_underflow 0
		.amdhsa_exception_fp_ieee_inexact 0
		.amdhsa_exception_int_div_zero 0
	.end_amdhsa_kernel
	.section	.text._ZL13mul_mat_vec_qIL9ggml_type23ELi1ELb1ELb0EEvPKvS2_PKi31ggml_cuda_mm_fusion_args_devicePfj15HIP_vector_typeIjLj3EEjjjS8_jjjS8_jjjj,"axG",@progbits,_ZL13mul_mat_vec_qIL9ggml_type23ELi1ELb1ELb0EEvPKvS2_PKi31ggml_cuda_mm_fusion_args_devicePfj15HIP_vector_typeIjLj3EEjjjS8_jjjS8_jjjj,comdat
.Lfunc_end243:
	.size	_ZL13mul_mat_vec_qIL9ggml_type23ELi1ELb1ELb0EEvPKvS2_PKi31ggml_cuda_mm_fusion_args_devicePfj15HIP_vector_typeIjLj3EEjjjS8_jjjS8_jjjj, .Lfunc_end243-_ZL13mul_mat_vec_qIL9ggml_type23ELi1ELb1ELb0EEvPKvS2_PKi31ggml_cuda_mm_fusion_args_devicePfj15HIP_vector_typeIjLj3EEjjjS8_jjjS8_jjjj
                                        ; -- End function
	.set _ZL13mul_mat_vec_qIL9ggml_type23ELi1ELb1ELb0EEvPKvS2_PKi31ggml_cuda_mm_fusion_args_devicePfj15HIP_vector_typeIjLj3EEjjjS8_jjjS8_jjjj.num_vgpr, 51
	.set _ZL13mul_mat_vec_qIL9ggml_type23ELi1ELb1ELb0EEvPKvS2_PKi31ggml_cuda_mm_fusion_args_devicePfj15HIP_vector_typeIjLj3EEjjjS8_jjjS8_jjjj.num_agpr, 0
	.set _ZL13mul_mat_vec_qIL9ggml_type23ELi1ELb1ELb0EEvPKvS2_PKi31ggml_cuda_mm_fusion_args_devicePfj15HIP_vector_typeIjLj3EEjjjS8_jjjS8_jjjj.numbered_sgpr, 40
	.set _ZL13mul_mat_vec_qIL9ggml_type23ELi1ELb1ELb0EEvPKvS2_PKi31ggml_cuda_mm_fusion_args_devicePfj15HIP_vector_typeIjLj3EEjjjS8_jjjS8_jjjj.num_named_barrier, 0
	.set _ZL13mul_mat_vec_qIL9ggml_type23ELi1ELb1ELb0EEvPKvS2_PKi31ggml_cuda_mm_fusion_args_devicePfj15HIP_vector_typeIjLj3EEjjjS8_jjjS8_jjjj.private_seg_size, 0
	.set _ZL13mul_mat_vec_qIL9ggml_type23ELi1ELb1ELb0EEvPKvS2_PKi31ggml_cuda_mm_fusion_args_devicePfj15HIP_vector_typeIjLj3EEjjjS8_jjjS8_jjjj.uses_vcc, 1
	.set _ZL13mul_mat_vec_qIL9ggml_type23ELi1ELb1ELb0EEvPKvS2_PKi31ggml_cuda_mm_fusion_args_devicePfj15HIP_vector_typeIjLj3EEjjjS8_jjjS8_jjjj.uses_flat_scratch, 0
	.set _ZL13mul_mat_vec_qIL9ggml_type23ELi1ELb1ELb0EEvPKvS2_PKi31ggml_cuda_mm_fusion_args_devicePfj15HIP_vector_typeIjLj3EEjjjS8_jjjS8_jjjj.has_dyn_sized_stack, 0
	.set _ZL13mul_mat_vec_qIL9ggml_type23ELi1ELb1ELb0EEvPKvS2_PKi31ggml_cuda_mm_fusion_args_devicePfj15HIP_vector_typeIjLj3EEjjjS8_jjjS8_jjjj.has_recursion, 0
	.set _ZL13mul_mat_vec_qIL9ggml_type23ELi1ELb1ELb0EEvPKvS2_PKi31ggml_cuda_mm_fusion_args_devicePfj15HIP_vector_typeIjLj3EEjjjS8_jjjS8_jjjj.has_indirect_call, 0
	.section	.AMDGPU.csdata,"",@progbits
; Kernel info:
; codeLenInByte = 3196
; TotalNumSgprs: 42
; NumVgprs: 51
; ScratchSize: 0
; MemoryBound: 0
; FloatMode: 240
; IeeeMode: 1
; LDSByteSize: 0 bytes/workgroup (compile time only)
; SGPRBlocks: 0
; VGPRBlocks: 6
; NumSGPRsForWavesPerEU: 42
; NumVGPRsForWavesPerEU: 51
; Occupancy: 16
; WaveLimiterHint : 0
; COMPUTE_PGM_RSRC2:SCRATCH_EN: 0
; COMPUTE_PGM_RSRC2:USER_SGPR: 6
; COMPUTE_PGM_RSRC2:TRAP_HANDLER: 0
; COMPUTE_PGM_RSRC2:TGID_X_EN: 1
; COMPUTE_PGM_RSRC2:TGID_Y_EN: 1
; COMPUTE_PGM_RSRC2:TGID_Z_EN: 1
; COMPUTE_PGM_RSRC2:TIDIG_COMP_CNT: 1
	.section	.text._ZL13mul_mat_vec_qIL9ggml_type23ELi1ELb0ELb0EEvPKvS2_PKi31ggml_cuda_mm_fusion_args_devicePfj15HIP_vector_typeIjLj3EEjjjS8_jjjS8_jjjj,"axG",@progbits,_ZL13mul_mat_vec_qIL9ggml_type23ELi1ELb0ELb0EEvPKvS2_PKi31ggml_cuda_mm_fusion_args_devicePfj15HIP_vector_typeIjLj3EEjjjS8_jjjS8_jjjj,comdat
	.globl	_ZL13mul_mat_vec_qIL9ggml_type23ELi1ELb0ELb0EEvPKvS2_PKi31ggml_cuda_mm_fusion_args_devicePfj15HIP_vector_typeIjLj3EEjjjS8_jjjS8_jjjj ; -- Begin function _ZL13mul_mat_vec_qIL9ggml_type23ELi1ELb0ELb0EEvPKvS2_PKi31ggml_cuda_mm_fusion_args_devicePfj15HIP_vector_typeIjLj3EEjjjS8_jjjS8_jjjj
	.p2align	8
	.type	_ZL13mul_mat_vec_qIL9ggml_type23ELi1ELb0ELb0EEvPKvS2_PKi31ggml_cuda_mm_fusion_args_devicePfj15HIP_vector_typeIjLj3EEjjjS8_jjjS8_jjjj,@function
_ZL13mul_mat_vec_qIL9ggml_type23ELi1ELb0ELb0EEvPKvS2_PKi31ggml_cuda_mm_fusion_args_devicePfj15HIP_vector_typeIjLj3EEjjjS8_jjjS8_jjjj: ; @_ZL13mul_mat_vec_qIL9ggml_type23ELi1ELb0ELb0EEvPKvS2_PKi31ggml_cuda_mm_fusion_args_devicePfj15HIP_vector_typeIjLj3EEjjjS8_jjjS8_jjjj
; %bb.0:
	s_clause 0x1
	s_load_dwordx2 s[0:1], s[4:5], 0x10
	s_load_dwordx4 s[16:19], s[4:5], 0x40
	s_mov_b32 s10, s7
	s_waitcnt lgkmcnt(0)
	s_cmp_lg_u64 s[0:1], 0
	s_cselect_b32 s7, -1, 0
	s_cmp_eq_u64 s[0:1], 0
	s_cbranch_scc1 .LBB244_5
; %bb.1:
	s_mov_b32 s11, 0
	s_lshl_b64 s[2:3], s[10:11], 2
	s_add_u32 s0, s0, s2
	s_addc_u32 s1, s1, s3
	s_load_dword s20, s[0:1], 0x0
	s_clause 0x1
	s_load_dwordx4 s[0:3], s[4:5], 0x68
	s_load_dword s21, s[4:5], 0x50
	s_cbranch_execnz .LBB244_3
.LBB244_2:
	s_load_dwordx2 s[12:13], s[4:5], 0x5c
	s_waitcnt lgkmcnt(0)
	s_mul_hi_u32 s9, s12, s10
	s_add_i32 s9, s10, s9
	s_lshr_b32 s20, s9, s13
.LBB244_3:
	s_load_dword s11, s[4:5], 0x78
	s_andn2_b32 vcc_lo, exec_lo, s7
	s_cbranch_vccnz .LBB244_6
; %bb.4:
	s_mul_hi_u32 s7, s17, s10
	s_add_i32 s7, s10, s7
	s_lshr_b32 s7, s7, s18
	s_mul_i32 s7, s7, s19
	s_sub_i32 s17, s10, s7
	s_branch .LBB244_7
.LBB244_5:
                                        ; implicit-def: $sgpr20
	s_clause 0x1
	s_load_dwordx4 s[0:3], s[4:5], 0x68
	s_load_dword s21, s[4:5], 0x50
	s_branch .LBB244_2
.LBB244_6:
	s_mov_b32 s17, s10
.LBB244_7:
	s_load_dwordx4 s[12:15], s[4:5], 0x80
	v_lshl_or_b32 v2, v1, 5, v0
	v_mov_b32_e32 v4, 0
	s_lshr_b32 s9, s16, 8
	s_mov_b32 s7, exec_lo
	v_lshrrev_b32_e32 v5, 3, v2
	v_cmpx_gt_u32_e64 s9, v5
	s_cbranch_execz .LBB244_11
; %bb.8:
	v_lshrrev_b32_e32 v2, 3, v2
	s_waitcnt lgkmcnt(0)
	s_mul_i32 s1, s17, s1
	v_and_b32_e32 v6, 7, v0
	s_mul_hi_u32 s17, s1, 36
	s_mul_i32 s16, s1, 36
	s_mul_i32 s1, s20, s0
	v_mad_u64_u32 v[2:3], null, 0x120, v2, s[16:17]
	s_load_dwordx4 s[16:19], s[4:5], 0x0
	s_mul_i32 s0, s13, s8
	v_lshlrev_b32_e32 v7, 2, v0
	s_mul_i32 s21, s21, s6
	v_mov_b32_e32 v4, 0
	s_mov_b32 s13, 0x4040404
	v_mad_u64_u32 v[2:3], null, s0, 36, v[2:3]
	s_mul_hi_u32 s0, s3, s8
	v_and_b32_e32 v9, 28, v7
	s_add_i32 s0, s8, s0
	s_mov_b32 s3, 0
	s_lshr_b32 s0, s0, s11
	s_mov_b32 s11, 0xf6eaddcf
	v_mad_u64_u32 v[2:3], null, v6, 36, v[2:3]
	s_mul_i32 s0, s0, s12
	v_bfe_u32 v6, v7, 3, 2
	v_and_b32_e32 v7, 4, v7
	v_lshrrev_b32_e32 v8, 1, v9
	v_lshlrev_b32_e32 v9, 2, v9
	s_add_i32 s0, s0, s21
	s_waitcnt lgkmcnt(0)
	v_add_co_u32 v2, vcc_lo, s18, v2
	v_add_co_ci_u32_e64 v3, null, s19, v3, vcc_lo
	s_add_i32 s1, s1, s0
	v_add_co_u32 v2, vcc_lo, v2, 32
	v_add_co_ci_u32_e64 v3, null, 0, v3, vcc_lo
	s_mov_b32 s12, 0x71594535
.LBB244_9:                              ; =>This Inner Loop Header: Depth=1
	v_add_nc_u32_e32 v18, s1, v5
	s_clause 0x1
	global_load_dwordx4 v[10:13], v[2:3], off offset:-32
	global_load_dwordx4 v[14:17], v[2:3], off offset:-16
	v_add_nc_u32_e32 v5, 4, v5
	v_mad_i64_i32 v[22:23], null, 0x88, v18, s[16:17]
	v_cmp_le_u32_e64 s0, s9, v5
	s_or_b32 s3, s0, s3
	v_add_co_u32 v18, vcc_lo, v22, v9
	v_add_co_ci_u32_e64 v19, null, 0, v23, vcc_lo
	v_add_co_u32 v24, vcc_lo, v22, v6
	v_add_co_ci_u32_e64 v25, null, 0, v23, vcc_lo
	s_clause 0x2
	global_load_dwordx4 v[18:21], v[18:19], off offset:8
	global_load_ubyte v24, v[24:25], off offset:4
	global_load_dword v22, v[22:23], off
	global_load_dword v23, v[2:3], off
	v_mov_b32_e32 v25, 0
	v_add_co_u32 v2, vcc_lo, 0x480, v2
	v_add_co_ci_u32_e64 v3, null, 0, v3, vcc_lo
	s_waitcnt vmcnt(5)
	v_cvt_f32_f16_e32 v10, v10
	s_waitcnt vmcnt(3)
	v_ashrrev_i32_e32 v26, 4, v18
	v_and_b32_e32 v27, 0x7070707, v18
	v_lshrrev_b32_e32 v18, 1, v18
	v_ashrrev_i32_e32 v28, 4, v19
	v_and_b32_e32 v29, 0x7070707, v19
	v_and_b32_e32 v36, 0x7070707, v26
	v_perm_b32 v35, s11, 0xbfad9881, v27
	v_perm_b32 v27, s12, 0x26190d01, v27
	v_and_or_b32 v18, v18, s13, 0x3020100
	v_lshrrev_b32_e32 v26, 1, v26
	v_lshrrev_b32_e32 v19, 1, v19
	v_perm_b32 v43, s11, 0xbfad9881, v36
	v_perm_b32 v36, s12, 0x26190d01, v36
	;; [unrolled: 1-line block ×3, first 2 shown]
	v_and_or_b32 v26, v26, s13, 0x3020100
	v_perm_b32 v37, s11, 0xbfad9881, v29
	v_and_b32_e32 v38, 0x7070707, v28
	v_perm_b32 v29, s12, 0x26190d01, v29
	v_and_or_b32 v19, v19, s13, 0x3020100
	v_lshrrev_b32_e32 v28, 1, v28
	v_perm_b32 v26, v36, v43, v26
	v_dot4c_i32_i8 v25, v18, v11
	v_ashrrev_i32_e32 v30, 4, v20
	v_and_b32_e32 v31, 0x7070707, v20
	v_lshrrev_b32_e32 v20, 1, v20
	v_perm_b32 v27, s11, 0xbfad9881, v38
	v_perm_b32 v11, s12, 0x26190d01, v38
	;; [unrolled: 1-line block ×3, first 2 shown]
	v_and_or_b32 v19, v28, s13, 0x3020100
	v_dot4c_i32_i8 v25, v26, v15
	v_perm_b32 v39, s11, 0xbfad9881, v31
	v_and_b32_e32 v40, 0x7070707, v30
	v_perm_b32 v31, s12, 0x26190d01, v31
	v_and_or_b32 v20, v20, s13, 0x3020100
	v_lshrrev_b32_e32 v30, 1, v30
	v_perm_b32 v11, v11, v27, v19
	v_dot4c_i32_i8 v25, v18, v12
	v_ashrrev_i32_e32 v32, 4, v21
	v_and_b32_e32 v33, 0x7070707, v21
	v_lshrrev_b32_e32 v21, 1, v21
	v_perm_b32 v26, s11, 0xbfad9881, v40
	v_perm_b32 v12, s12, 0x26190d01, v40
	;; [unrolled: 1-line block ×3, first 2 shown]
	v_and_or_b32 v19, v30, s13, 0x3020100
	v_dot4c_i32_i8 v25, v11, v16
	s_waitcnt vmcnt(1)
	v_lshrrev_b32_sdwa v34, v8, v22 dst_sel:DWORD dst_unused:UNUSED_PAD src0_sel:DWORD src1_sel:WORD_1
	v_perm_b32 v41, s11, 0xbfad9881, v33
	v_and_b32_e32 v42, 0x7070707, v32
	v_perm_b32 v33, s12, 0x26190d01, v33
	v_and_or_b32 v21, v21, s13, 0x3020100
	v_lshrrev_b32_e32 v15, 1, v32
	v_perm_b32 v12, v12, v26, v19
	v_dot4c_i32_i8 v25, v18, v13
	v_bfe_u32 v24, v24, v7, 4
	v_lshlrev_b32_e32 v11, 4, v34
	v_perm_b32 v16, s11, 0xbfad9881, v42
	v_perm_b32 v13, s12, 0x26190d01, v42
	;; [unrolled: 1-line block ×3, first 2 shown]
	v_and_or_b32 v15, v15, s13, 0x3020100
	v_dot4c_i32_i8 v25, v12, v17
	v_and_or_b32 v11, v11, 48, v24
	v_perm_b32 v12, v13, v16, v15
	v_dot4c_i32_i8 v25, v18, v14
	v_subrev_nc_u32_e32 v11, 32, v11
	s_waitcnt vmcnt(0)
	v_dot4c_i32_i8 v25, v12, v23
	v_cvt_f32_f16_e32 v12, v22
	v_mul_lo_u32 v11, v11, v25
	v_mul_f32_e32 v10, v12, v10
	v_cvt_f32_i32_e32 v11, v11
	v_fmac_f32_e32 v4, v10, v11
	s_andn2_b32 exec_lo, exec_lo, s3
	s_cbranch_execnz .LBB244_9
; %bb.10:
	s_or_b32 exec_lo, exec_lo, s3
.LBB244_11:
	s_or_b32 exec_lo, exec_lo, s7
	s_waitcnt lgkmcnt(0)
	; wave barrier
	buffer_gl0_inv
	s_mov_b32 s0, exec_lo
	v_cmpx_eq_u32_e32 0, v1
	s_cbranch_execz .LBB244_14
; %bb.12:
	v_mbcnt_lo_u32_b32 v1, -1, 0
	v_xor_b32_e32 v2, 16, v1
	v_xor_b32_e32 v3, 8, v1
	v_cmp_gt_i32_e32 vcc_lo, 32, v2
	v_cndmask_b32_e32 v2, v1, v2, vcc_lo
	v_cmp_gt_i32_e32 vcc_lo, 32, v3
	v_lshlrev_b32_e32 v2, 2, v2
	v_cndmask_b32_e32 v3, v1, v3, vcc_lo
	ds_bpermute_b32 v2, v2, v4
	v_lshlrev_b32_e32 v3, 2, v3
	s_waitcnt lgkmcnt(0)
	v_add_f32_e32 v2, v4, v2
	v_xor_b32_e32 v4, 4, v1
	ds_bpermute_b32 v3, v3, v2
	v_cmp_gt_i32_e32 vcc_lo, 32, v4
	v_cndmask_b32_e32 v4, v1, v4, vcc_lo
	v_lshlrev_b32_e32 v4, 2, v4
	s_waitcnt lgkmcnt(0)
	v_add_f32_e32 v2, v2, v3
	ds_bpermute_b32 v3, v4, v2
	v_xor_b32_e32 v4, 2, v1
	v_cmp_gt_i32_e32 vcc_lo, 32, v4
	v_cndmask_b32_e32 v4, v1, v4, vcc_lo
	v_lshlrev_b32_e32 v4, 2, v4
	s_waitcnt lgkmcnt(0)
	v_add_f32_e32 v2, v2, v3
	ds_bpermute_b32 v3, v4, v2
	v_xor_b32_e32 v4, 1, v1
	v_cmp_gt_i32_e32 vcc_lo, 32, v4
	v_cndmask_b32_e32 v1, v1, v4, vcc_lo
	v_cmp_eq_u32_e32 vcc_lo, 0, v0
	v_lshlrev_b32_e32 v4, 2, v1
	s_waitcnt lgkmcnt(0)
	v_add_f32_e32 v1, v2, v3
	ds_bpermute_b32 v2, v4, v1
	s_and_b32 exec_lo, exec_lo, vcc_lo
	s_cbranch_execz .LBB244_14
; %bb.13:
	s_load_dwordx2 s[0:1], s[4:5], 0x38
	s_mul_i32 s2, s2, s10
	s_mul_i32 s3, s14, s8
	s_add_i32 s2, s2, s6
	s_waitcnt lgkmcnt(0)
	v_add_f32_e32 v0, v1, v2
	s_add_i32 s2, s2, s3
	s_mov_b32 s3, 0
	v_mov_b32_e32 v1, 0
	s_lshl_b64 s[2:3], s[2:3], 2
	s_add_u32 s0, s0, s2
	s_addc_u32 s1, s1, s3
	global_store_dword v1, v0, s[0:1]
.LBB244_14:
	s_endpgm
	.section	.rodata,"a",@progbits
	.p2align	6, 0x0
	.amdhsa_kernel _ZL13mul_mat_vec_qIL9ggml_type23ELi1ELb0ELb0EEvPKvS2_PKi31ggml_cuda_mm_fusion_args_devicePfj15HIP_vector_typeIjLj3EEjjjS8_jjjS8_jjjj
		.amdhsa_group_segment_fixed_size 0
		.amdhsa_private_segment_fixed_size 0
		.amdhsa_kernarg_size 144
		.amdhsa_user_sgpr_count 6
		.amdhsa_user_sgpr_private_segment_buffer 1
		.amdhsa_user_sgpr_dispatch_ptr 0
		.amdhsa_user_sgpr_queue_ptr 0
		.amdhsa_user_sgpr_kernarg_segment_ptr 1
		.amdhsa_user_sgpr_dispatch_id 0
		.amdhsa_user_sgpr_flat_scratch_init 0
		.amdhsa_user_sgpr_private_segment_size 0
		.amdhsa_wavefront_size32 1
		.amdhsa_uses_dynamic_stack 0
		.amdhsa_system_sgpr_private_segment_wavefront_offset 0
		.amdhsa_system_sgpr_workgroup_id_x 1
		.amdhsa_system_sgpr_workgroup_id_y 1
		.amdhsa_system_sgpr_workgroup_id_z 1
		.amdhsa_system_sgpr_workgroup_info 0
		.amdhsa_system_vgpr_workitem_id 1
		.amdhsa_next_free_vgpr 44
		.amdhsa_next_free_sgpr 22
		.amdhsa_reserve_vcc 1
		.amdhsa_reserve_flat_scratch 0
		.amdhsa_float_round_mode_32 0
		.amdhsa_float_round_mode_16_64 0
		.amdhsa_float_denorm_mode_32 3
		.amdhsa_float_denorm_mode_16_64 3
		.amdhsa_dx10_clamp 1
		.amdhsa_ieee_mode 1
		.amdhsa_fp16_overflow 0
		.amdhsa_workgroup_processor_mode 1
		.amdhsa_memory_ordered 1
		.amdhsa_forward_progress 1
		.amdhsa_shared_vgpr_count 0
		.amdhsa_exception_fp_ieee_invalid_op 0
		.amdhsa_exception_fp_denorm_src 0
		.amdhsa_exception_fp_ieee_div_zero 0
		.amdhsa_exception_fp_ieee_overflow 0
		.amdhsa_exception_fp_ieee_underflow 0
		.amdhsa_exception_fp_ieee_inexact 0
		.amdhsa_exception_int_div_zero 0
	.end_amdhsa_kernel
	.section	.text._ZL13mul_mat_vec_qIL9ggml_type23ELi1ELb0ELb0EEvPKvS2_PKi31ggml_cuda_mm_fusion_args_devicePfj15HIP_vector_typeIjLj3EEjjjS8_jjjS8_jjjj,"axG",@progbits,_ZL13mul_mat_vec_qIL9ggml_type23ELi1ELb0ELb0EEvPKvS2_PKi31ggml_cuda_mm_fusion_args_devicePfj15HIP_vector_typeIjLj3EEjjjS8_jjjS8_jjjj,comdat
.Lfunc_end244:
	.size	_ZL13mul_mat_vec_qIL9ggml_type23ELi1ELb0ELb0EEvPKvS2_PKi31ggml_cuda_mm_fusion_args_devicePfj15HIP_vector_typeIjLj3EEjjjS8_jjjS8_jjjj, .Lfunc_end244-_ZL13mul_mat_vec_qIL9ggml_type23ELi1ELb0ELb0EEvPKvS2_PKi31ggml_cuda_mm_fusion_args_devicePfj15HIP_vector_typeIjLj3EEjjjS8_jjjS8_jjjj
                                        ; -- End function
	.set _ZL13mul_mat_vec_qIL9ggml_type23ELi1ELb0ELb0EEvPKvS2_PKi31ggml_cuda_mm_fusion_args_devicePfj15HIP_vector_typeIjLj3EEjjjS8_jjjS8_jjjj.num_vgpr, 44
	.set _ZL13mul_mat_vec_qIL9ggml_type23ELi1ELb0ELb0EEvPKvS2_PKi31ggml_cuda_mm_fusion_args_devicePfj15HIP_vector_typeIjLj3EEjjjS8_jjjS8_jjjj.num_agpr, 0
	.set _ZL13mul_mat_vec_qIL9ggml_type23ELi1ELb0ELb0EEvPKvS2_PKi31ggml_cuda_mm_fusion_args_devicePfj15HIP_vector_typeIjLj3EEjjjS8_jjjS8_jjjj.numbered_sgpr, 22
	.set _ZL13mul_mat_vec_qIL9ggml_type23ELi1ELb0ELb0EEvPKvS2_PKi31ggml_cuda_mm_fusion_args_devicePfj15HIP_vector_typeIjLj3EEjjjS8_jjjS8_jjjj.num_named_barrier, 0
	.set _ZL13mul_mat_vec_qIL9ggml_type23ELi1ELb0ELb0EEvPKvS2_PKi31ggml_cuda_mm_fusion_args_devicePfj15HIP_vector_typeIjLj3EEjjjS8_jjjS8_jjjj.private_seg_size, 0
	.set _ZL13mul_mat_vec_qIL9ggml_type23ELi1ELb0ELb0EEvPKvS2_PKi31ggml_cuda_mm_fusion_args_devicePfj15HIP_vector_typeIjLj3EEjjjS8_jjjS8_jjjj.uses_vcc, 1
	.set _ZL13mul_mat_vec_qIL9ggml_type23ELi1ELb0ELb0EEvPKvS2_PKi31ggml_cuda_mm_fusion_args_devicePfj15HIP_vector_typeIjLj3EEjjjS8_jjjS8_jjjj.uses_flat_scratch, 0
	.set _ZL13mul_mat_vec_qIL9ggml_type23ELi1ELb0ELb0EEvPKvS2_PKi31ggml_cuda_mm_fusion_args_devicePfj15HIP_vector_typeIjLj3EEjjjS8_jjjS8_jjjj.has_dyn_sized_stack, 0
	.set _ZL13mul_mat_vec_qIL9ggml_type23ELi1ELb0ELb0EEvPKvS2_PKi31ggml_cuda_mm_fusion_args_devicePfj15HIP_vector_typeIjLj3EEjjjS8_jjjS8_jjjj.has_recursion, 0
	.set _ZL13mul_mat_vec_qIL9ggml_type23ELi1ELb0ELb0EEvPKvS2_PKi31ggml_cuda_mm_fusion_args_devicePfj15HIP_vector_typeIjLj3EEjjjS8_jjjS8_jjjj.has_indirect_call, 0
	.section	.AMDGPU.csdata,"",@progbits
; Kernel info:
; codeLenInByte = 1412
; TotalNumSgprs: 24
; NumVgprs: 44
; ScratchSize: 0
; MemoryBound: 0
; FloatMode: 240
; IeeeMode: 1
; LDSByteSize: 0 bytes/workgroup (compile time only)
; SGPRBlocks: 0
; VGPRBlocks: 5
; NumSGPRsForWavesPerEU: 24
; NumVGPRsForWavesPerEU: 44
; Occupancy: 16
; WaveLimiterHint : 0
; COMPUTE_PGM_RSRC2:SCRATCH_EN: 0
; COMPUTE_PGM_RSRC2:USER_SGPR: 6
; COMPUTE_PGM_RSRC2:TRAP_HANDLER: 0
; COMPUTE_PGM_RSRC2:TGID_X_EN: 1
; COMPUTE_PGM_RSRC2:TGID_Y_EN: 1
; COMPUTE_PGM_RSRC2:TGID_Z_EN: 1
; COMPUTE_PGM_RSRC2:TIDIG_COMP_CNT: 1
	.section	.text._ZL13mul_mat_vec_qIL9ggml_type23ELi2ELb0ELb0EEvPKvS2_PKi31ggml_cuda_mm_fusion_args_devicePfj15HIP_vector_typeIjLj3EEjjjS8_jjjS8_jjjj,"axG",@progbits,_ZL13mul_mat_vec_qIL9ggml_type23ELi2ELb0ELb0EEvPKvS2_PKi31ggml_cuda_mm_fusion_args_devicePfj15HIP_vector_typeIjLj3EEjjjS8_jjjS8_jjjj,comdat
	.globl	_ZL13mul_mat_vec_qIL9ggml_type23ELi2ELb0ELb0EEvPKvS2_PKi31ggml_cuda_mm_fusion_args_devicePfj15HIP_vector_typeIjLj3EEjjjS8_jjjS8_jjjj ; -- Begin function _ZL13mul_mat_vec_qIL9ggml_type23ELi2ELb0ELb0EEvPKvS2_PKi31ggml_cuda_mm_fusion_args_devicePfj15HIP_vector_typeIjLj3EEjjjS8_jjjS8_jjjj
	.p2align	8
	.type	_ZL13mul_mat_vec_qIL9ggml_type23ELi2ELb0ELb0EEvPKvS2_PKi31ggml_cuda_mm_fusion_args_devicePfj15HIP_vector_typeIjLj3EEjjjS8_jjjS8_jjjj,@function
_ZL13mul_mat_vec_qIL9ggml_type23ELi2ELb0ELb0EEvPKvS2_PKi31ggml_cuda_mm_fusion_args_devicePfj15HIP_vector_typeIjLj3EEjjjS8_jjjS8_jjjj: ; @_ZL13mul_mat_vec_qIL9ggml_type23ELi2ELb0ELb0EEvPKvS2_PKi31ggml_cuda_mm_fusion_args_devicePfj15HIP_vector_typeIjLj3EEjjjS8_jjjS8_jjjj
; %bb.0:
	s_clause 0x5
	s_load_dword s9, s[4:5], 0x40
	s_load_dwordx4 s[0:3], s[4:5], 0x50
	s_load_dword s11, s[4:5], 0x60
	s_load_dwordx4 s[12:15], s[4:5], 0x68
	s_load_dword s24, s[4:5], 0x78
	s_load_dwordx4 s[16:19], s[4:5], 0x80
	v_lshl_or_b32 v2, v1, 5, v0
	v_mov_b32_e32 v6, 0
	v_mov_b32_e32 v8, 0
	v_lshrrev_b32_e32 v7, 3, v2
	s_waitcnt lgkmcnt(0)
	s_lshr_b32 s10, s9, 8
	s_mov_b32 s9, exec_lo
	v_cmpx_gt_u32_e64 s10, v7
	s_cbranch_execz .LBB245_4
; %bb.1:
	s_mul_i32 s13, s13, s7
	s_load_dwordx4 s[20:23], s[4:5], 0x0
	s_mul_hi_u32 s27, s13, 36
	s_mul_i32 s26, s13, 36
	s_mul_i32 s17, s17, s8
	v_mad_u64_u32 v[2:3], null, 0x120, v7, s[26:27]
	v_and_b32_e32 v6, 7, v0
	s_mul_hi_u32 s3, s3, s7
	s_mul_hi_u32 s15, s15, s8
	s_add_i32 s3, s7, s3
	s_add_i32 s15, s8, s15
	v_lshlrev_b32_e32 v8, 2, v0
	v_mad_u64_u32 v[2:3], null, s17, 36, v[2:3]
	s_mul_i32 s25, s17, 36
	s_lshr_b32 s3, s3, s11
	s_mul_hi_u32 s19, s17, 36
	s_lshr_b32 s11, s15, s24
	s_mul_i32 s3, s3, s12
	v_and_b32_e32 v13, 28, v8
	v_mad_u64_u32 v[4:5], null, v6, 36, v[2:3]
	s_waitcnt lgkmcnt(0)
	s_add_u32 s12, s22, s25
	s_addc_u32 s13, s23, s19
	s_add_u32 s12, s12, s26
	s_addc_u32 s13, s13, s27
	s_mul_i32 s0, s0, s6
	v_mad_u64_u32 v[2:3], null, v6, 36, s[12:13]
	v_add_co_u32 v4, vcc_lo, s22, v4
	v_add_co_ci_u32_e64 v5, null, s23, v5, vcc_lo
	v_mov_b32_e32 v6, 0
	v_add_co_u32 v4, vcc_lo, v4, 16
	v_bfe_u32 v9, v8, 3, 2
	v_and_b32_e32 v10, 4, v8
	v_lshrrev_b32_e32 v11, 1, v13
	v_lshl_add_u32 v12, v7, 3, s1
	v_add_co_ci_u32_e64 v5, null, 0, v5, vcc_lo
	v_lshlrev_b32_e32 v13, 2, v13
	v_mov_b32_e32 v8, 0
	s_mul_i32 s11, s11, s16
	s_add_i32 s3, s3, s0
	s_mov_b32 s1, 0
	s_add_i32 s3, s11, s3
	s_mov_b32 s11, 0xf6eaddcf
	s_mov_b32 s12, 0x71594535
	;; [unrolled: 1-line block ×3, first 2 shown]
.LBB245_2:                              ; =>This Inner Loop Header: Depth=1
	v_add_nc_u32_e32 v22, s3, v7
	v_mad_u64_u32 v[34:35], null, v12, 36, v[2:3]
	s_clause 0x1
	global_load_dwordx4 v[14:17], v[4:5], off offset:-16
	global_load_dwordx4 v[18:21], v[4:5], off
	v_add_nc_u32_e32 v7, 4, v7
	v_mad_i64_i32 v[36:37], null, 0x88, v22, s[20:21]
	v_add_nc_u32_e32 v12, 32, v12
	s_clause 0x1
	global_load_dwordx4 v[22:25], v[34:35], off
	global_load_dwordx4 v[26:29], v[34:35], off offset:16
	v_cmp_le_u32_e64 s0, s10, v7
	v_add_co_u32 v30, vcc_lo, v36, v13
	v_add_co_ci_u32_e64 v31, null, 0, v37, vcc_lo
	v_add_co_u32 v38, vcc_lo, v36, v9
	v_add_co_ci_u32_e64 v39, null, 0, v37, vcc_lo
	s_clause 0x2
	global_load_dwordx4 v[30:33], v[30:31], off offset:8
	global_load_ubyte v38, v[38:39], off offset:4
	global_load_dword v36, v[36:37], off
	global_load_dword v37, v[4:5], off offset:16
	global_load_dword v34, v[34:35], off offset:32
	v_mov_b32_e32 v35, 0
	v_mov_b32_e32 v39, 0
	v_add_co_u32 v4, vcc_lo, 0x480, v4
	v_add_co_ci_u32_e64 v5, null, 0, v5, vcc_lo
	s_or_b32 s1, s0, s1
	s_waitcnt vmcnt(8)
	v_cvt_f32_f16_e32 v14, v14
	s_waitcnt vmcnt(4)
	v_ashrrev_i32_e32 v40, 4, v30
	v_and_b32_e32 v41, 0x7070707, v30
	v_lshrrev_b32_e32 v30, 1, v30
	v_ashrrev_i32_e32 v42, 4, v31
	v_and_b32_e32 v43, 0x7070707, v31
	v_and_b32_e32 v50, 0x7070707, v40
	v_perm_b32 v49, s11, 0xbfad9881, v41
	v_perm_b32 v41, s12, 0x26190d01, v41
	v_and_or_b32 v30, v30, s13, 0x3020100
	v_lshrrev_b32_e32 v40, 1, v40
	v_lshrrev_b32_e32 v31, 1, v31
	v_perm_b32 v57, s11, 0xbfad9881, v50
	v_perm_b32 v50, s12, 0x26190d01, v50
	;; [unrolled: 1-line block ×3, first 2 shown]
	v_and_or_b32 v40, v40, s13, 0x3020100
	v_perm_b32 v51, s11, 0xbfad9881, v43
	v_and_b32_e32 v52, 0x7070707, v42
	v_perm_b32 v43, s12, 0x26190d01, v43
	v_and_or_b32 v31, v31, s13, 0x3020100
	v_lshrrev_b32_e32 v42, 1, v42
	v_perm_b32 v40, v50, v57, v40
	v_dot4c_i32_i8 v35, v30, v15
	v_dot4c_i32_i8 v39, v30, v23
	v_ashrrev_i32_e32 v44, 4, v32
	v_and_b32_e32 v45, 0x7070707, v32
	v_lshrrev_b32_e32 v32, 1, v32
	v_perm_b32 v41, s11, 0xbfad9881, v52
	v_perm_b32 v49, s12, 0x26190d01, v52
	v_perm_b32 v31, v43, v51, v31
	v_and_or_b32 v42, v42, s13, 0x3020100
	v_dot4c_i32_i8 v35, v40, v19
	v_dot4c_i32_i8 v39, v40, v27
	v_perm_b32 v53, s11, 0xbfad9881, v45
	v_and_b32_e32 v54, 0x7070707, v44
	v_perm_b32 v45, s12, 0x26190d01, v45
	v_and_or_b32 v32, v32, s13, 0x3020100
	v_lshrrev_b32_e32 v44, 1, v44
	v_perm_b32 v27, v49, v41, v42
	v_dot4c_i32_i8 v35, v31, v16
	v_dot4c_i32_i8 v39, v31, v24
	v_ashrrev_i32_e32 v46, 4, v33
	v_and_b32_e32 v47, 0x7070707, v33
	v_lshrrev_b32_e32 v33, 1, v33
	v_perm_b32 v15, s11, 0xbfad9881, v54
	v_perm_b32 v23, s12, 0x26190d01, v54
	;; [unrolled: 1-line block ×3, first 2 shown]
	v_and_or_b32 v16, v44, s13, 0x3020100
	v_dot4c_i32_i8 v35, v27, v20
	v_dot4c_i32_i8 v39, v27, v28
	s_waitcnt vmcnt(2)
	v_lshrrev_b32_sdwa v48, v11, v36 dst_sel:DWORD dst_unused:UNUSED_PAD src0_sel:DWORD src1_sel:WORD_1
	v_perm_b32 v55, s11, 0xbfad9881, v47
	v_and_b32_e32 v56, 0x7070707, v46
	v_perm_b32 v47, s12, 0x26190d01, v47
	v_and_or_b32 v33, v33, s13, 0x3020100
	v_lshrrev_b32_e32 v46, 1, v46
	v_perm_b32 v15, v23, v15, v16
	v_dot4c_i32_i8 v35, v19, v17
	v_dot4c_i32_i8 v39, v19, v25
	v_bfe_u32 v38, v38, v10, 4
	v_lshlrev_b32_e32 v48, 4, v48
	v_perm_b32 v24, s11, 0xbfad9881, v56
	v_perm_b32 v20, s12, 0x26190d01, v56
	;; [unrolled: 1-line block ×3, first 2 shown]
	v_and_or_b32 v17, v46, s13, 0x3020100
	v_dot4c_i32_i8 v35, v15, v21
	v_dot4c_i32_i8 v39, v15, v29
	v_and_or_b32 v15, v48, 48, v38
	v_perm_b32 v17, v20, v24, v17
	v_dot4c_i32_i8 v35, v16, v18
	v_dot4c_i32_i8 v39, v16, v26
	v_subrev_nc_u32_e32 v15, 32, v15
	v_cvt_f32_f16_e32 v16, v22
	v_cvt_f32_f16_e32 v18, v36
	s_waitcnt vmcnt(1)
	v_dot4c_i32_i8 v35, v17, v37
	s_waitcnt vmcnt(0)
	v_dot4c_i32_i8 v39, v17, v34
	v_mul_f32_e32 v14, v18, v14
	v_mul_lo_u32 v17, v15, v35
	v_mul_lo_u32 v15, v15, v39
	v_mul_f32_e32 v16, v18, v16
	v_cvt_f32_i32_e32 v17, v17
	v_cvt_f32_i32_e32 v15, v15
	v_fmac_f32_e32 v8, v14, v17
	v_fmac_f32_e32 v6, v16, v15
	s_andn2_b32 exec_lo, exec_lo, s1
	s_cbranch_execnz .LBB245_2
; %bb.3:
	s_or_b32 exec_lo, exec_lo, s1
.LBB245_4:
	s_or_b32 exec_lo, exec_lo, s9
	s_mov_b32 s1, 0
	; wave barrier
	buffer_gl0_inv
	s_mov_b32 s0, exec_lo
	v_cmpx_eq_u32_e32 0, v1
	s_cbranch_execz .LBB245_9
; %bb.5:
	v_mbcnt_lo_u32_b32 v5, -1, 0
	s_load_dwordx2 s[4:5], s[4:5], 0x38
	s_mul_i32 s0, s14, s7
	s_mul_i32 s3, s18, s8
	s_add_i32 s0, s0, s6
	v_xor_b32_e32 v1, 16, v5
	v_xor_b32_e32 v2, 8, v5
	v_xor_b32_e32 v9, 1, v5
	s_add_i32 s0, s0, s3
	s_lshl_b64 s[0:1], s[0:1], 2
	v_cmp_gt_i32_e32 vcc_lo, 32, v1
	v_cndmask_b32_e32 v1, v5, v1, vcc_lo
	v_cmp_gt_i32_e32 vcc_lo, 32, v2
	v_lshlrev_b32_e32 v1, 2, v1
	v_cndmask_b32_e32 v2, v5, v2, vcc_lo
	s_waitcnt lgkmcnt(0)
	s_add_u32 s0, s4, s0
	s_addc_u32 s1, s5, s1
	ds_bpermute_b32 v3, v1, v8
	v_lshlrev_b32_e32 v2, 2, v2
	s_waitcnt lgkmcnt(0)
	v_add_f32_e32 v4, v8, v3
	v_xor_b32_e32 v3, 4, v5
	ds_bpermute_b32 v7, v2, v4
	v_cmp_gt_i32_e32 vcc_lo, 32, v3
	v_cndmask_b32_e32 v3, v5, v3, vcc_lo
	v_lshlrev_b32_e32 v3, 2, v3
	s_waitcnt lgkmcnt(0)
	v_add_f32_e32 v7, v4, v7
	v_xor_b32_e32 v4, 2, v5
	ds_bpermute_b32 v8, v3, v7
	v_cmp_gt_i32_e32 vcc_lo, 32, v4
	v_cndmask_b32_e32 v4, v5, v4, vcc_lo
	v_cmp_gt_i32_e32 vcc_lo, 32, v9
	v_lshlrev_b32_e32 v4, 2, v4
	v_cndmask_b32_e32 v5, v5, v9, vcc_lo
	v_cmp_eq_u32_e32 vcc_lo, 0, v0
	v_lshlrev_b32_e32 v5, 2, v5
	s_waitcnt lgkmcnt(0)
	v_add_f32_e32 v7, v7, v8
	ds_bpermute_b32 v8, v4, v7
	s_waitcnt lgkmcnt(0)
	v_add_f32_e32 v7, v7, v8
	ds_bpermute_b32 v8, v5, v7
	s_and_saveexec_b32 s3, vcc_lo
	s_cbranch_execz .LBB245_7
; %bb.6:
	s_waitcnt lgkmcnt(0)
	v_add_f32_e32 v0, v7, v8
	v_mov_b32_e32 v7, 0
	global_store_dword v7, v0, s[0:1]
.LBB245_7:
	s_or_b32 exec_lo, exec_lo, s3
	ds_bpermute_b32 v0, v1, v6
	s_waitcnt lgkmcnt(0)
	v_add_f32_e32 v0, v6, v0
	ds_bpermute_b32 v1, v2, v0
	s_waitcnt lgkmcnt(0)
	v_add_f32_e32 v0, v0, v1
	;; [unrolled: 3-line block ×4, first 2 shown]
	ds_bpermute_b32 v1, v5, v0
	s_and_b32 exec_lo, exec_lo, vcc_lo
	s_cbranch_execz .LBB245_9
; %bb.8:
	s_mov_b32 s3, 0
	s_waitcnt lgkmcnt(0)
	v_add_f32_e32 v0, v0, v1
	s_lshl_b64 s[2:3], s[2:3], 2
	v_mov_b32_e32 v1, 0
	s_add_u32 s0, s0, s2
	s_addc_u32 s1, s1, s3
	global_store_dword v1, v0, s[0:1]
.LBB245_9:
	s_endpgm
	.section	.rodata,"a",@progbits
	.p2align	6, 0x0
	.amdhsa_kernel _ZL13mul_mat_vec_qIL9ggml_type23ELi2ELb0ELb0EEvPKvS2_PKi31ggml_cuda_mm_fusion_args_devicePfj15HIP_vector_typeIjLj3EEjjjS8_jjjS8_jjjj
		.amdhsa_group_segment_fixed_size 0
		.amdhsa_private_segment_fixed_size 0
		.amdhsa_kernarg_size 144
		.amdhsa_user_sgpr_count 6
		.amdhsa_user_sgpr_private_segment_buffer 1
		.amdhsa_user_sgpr_dispatch_ptr 0
		.amdhsa_user_sgpr_queue_ptr 0
		.amdhsa_user_sgpr_kernarg_segment_ptr 1
		.amdhsa_user_sgpr_dispatch_id 0
		.amdhsa_user_sgpr_flat_scratch_init 0
		.amdhsa_user_sgpr_private_segment_size 0
		.amdhsa_wavefront_size32 1
		.amdhsa_uses_dynamic_stack 0
		.amdhsa_system_sgpr_private_segment_wavefront_offset 0
		.amdhsa_system_sgpr_workgroup_id_x 1
		.amdhsa_system_sgpr_workgroup_id_y 1
		.amdhsa_system_sgpr_workgroup_id_z 1
		.amdhsa_system_sgpr_workgroup_info 0
		.amdhsa_system_vgpr_workitem_id 1
		.amdhsa_next_free_vgpr 58
		.amdhsa_next_free_sgpr 28
		.amdhsa_reserve_vcc 1
		.amdhsa_reserve_flat_scratch 0
		.amdhsa_float_round_mode_32 0
		.amdhsa_float_round_mode_16_64 0
		.amdhsa_float_denorm_mode_32 3
		.amdhsa_float_denorm_mode_16_64 3
		.amdhsa_dx10_clamp 1
		.amdhsa_ieee_mode 1
		.amdhsa_fp16_overflow 0
		.amdhsa_workgroup_processor_mode 1
		.amdhsa_memory_ordered 1
		.amdhsa_forward_progress 1
		.amdhsa_shared_vgpr_count 0
		.amdhsa_exception_fp_ieee_invalid_op 0
		.amdhsa_exception_fp_denorm_src 0
		.amdhsa_exception_fp_ieee_div_zero 0
		.amdhsa_exception_fp_ieee_overflow 0
		.amdhsa_exception_fp_ieee_underflow 0
		.amdhsa_exception_fp_ieee_inexact 0
		.amdhsa_exception_int_div_zero 0
	.end_amdhsa_kernel
	.section	.text._ZL13mul_mat_vec_qIL9ggml_type23ELi2ELb0ELb0EEvPKvS2_PKi31ggml_cuda_mm_fusion_args_devicePfj15HIP_vector_typeIjLj3EEjjjS8_jjjS8_jjjj,"axG",@progbits,_ZL13mul_mat_vec_qIL9ggml_type23ELi2ELb0ELb0EEvPKvS2_PKi31ggml_cuda_mm_fusion_args_devicePfj15HIP_vector_typeIjLj3EEjjjS8_jjjS8_jjjj,comdat
.Lfunc_end245:
	.size	_ZL13mul_mat_vec_qIL9ggml_type23ELi2ELb0ELb0EEvPKvS2_PKi31ggml_cuda_mm_fusion_args_devicePfj15HIP_vector_typeIjLj3EEjjjS8_jjjS8_jjjj, .Lfunc_end245-_ZL13mul_mat_vec_qIL9ggml_type23ELi2ELb0ELb0EEvPKvS2_PKi31ggml_cuda_mm_fusion_args_devicePfj15HIP_vector_typeIjLj3EEjjjS8_jjjS8_jjjj
                                        ; -- End function
	.set _ZL13mul_mat_vec_qIL9ggml_type23ELi2ELb0ELb0EEvPKvS2_PKi31ggml_cuda_mm_fusion_args_devicePfj15HIP_vector_typeIjLj3EEjjjS8_jjjS8_jjjj.num_vgpr, 58
	.set _ZL13mul_mat_vec_qIL9ggml_type23ELi2ELb0ELb0EEvPKvS2_PKi31ggml_cuda_mm_fusion_args_devicePfj15HIP_vector_typeIjLj3EEjjjS8_jjjS8_jjjj.num_agpr, 0
	.set _ZL13mul_mat_vec_qIL9ggml_type23ELi2ELb0ELb0EEvPKvS2_PKi31ggml_cuda_mm_fusion_args_devicePfj15HIP_vector_typeIjLj3EEjjjS8_jjjS8_jjjj.numbered_sgpr, 28
	.set _ZL13mul_mat_vec_qIL9ggml_type23ELi2ELb0ELb0EEvPKvS2_PKi31ggml_cuda_mm_fusion_args_devicePfj15HIP_vector_typeIjLj3EEjjjS8_jjjS8_jjjj.num_named_barrier, 0
	.set _ZL13mul_mat_vec_qIL9ggml_type23ELi2ELb0ELb0EEvPKvS2_PKi31ggml_cuda_mm_fusion_args_devicePfj15HIP_vector_typeIjLj3EEjjjS8_jjjS8_jjjj.private_seg_size, 0
	.set _ZL13mul_mat_vec_qIL9ggml_type23ELi2ELb0ELb0EEvPKvS2_PKi31ggml_cuda_mm_fusion_args_devicePfj15HIP_vector_typeIjLj3EEjjjS8_jjjS8_jjjj.uses_vcc, 1
	.set _ZL13mul_mat_vec_qIL9ggml_type23ELi2ELb0ELb0EEvPKvS2_PKi31ggml_cuda_mm_fusion_args_devicePfj15HIP_vector_typeIjLj3EEjjjS8_jjjS8_jjjj.uses_flat_scratch, 0
	.set _ZL13mul_mat_vec_qIL9ggml_type23ELi2ELb0ELb0EEvPKvS2_PKi31ggml_cuda_mm_fusion_args_devicePfj15HIP_vector_typeIjLj3EEjjjS8_jjjS8_jjjj.has_dyn_sized_stack, 0
	.set _ZL13mul_mat_vec_qIL9ggml_type23ELi2ELb0ELb0EEvPKvS2_PKi31ggml_cuda_mm_fusion_args_devicePfj15HIP_vector_typeIjLj3EEjjjS8_jjjS8_jjjj.has_recursion, 0
	.set _ZL13mul_mat_vec_qIL9ggml_type23ELi2ELb0ELb0EEvPKvS2_PKi31ggml_cuda_mm_fusion_args_devicePfj15HIP_vector_typeIjLj3EEjjjS8_jjjS8_jjjj.has_indirect_call, 0
	.section	.AMDGPU.csdata,"",@progbits
; Kernel info:
; codeLenInByte = 1552
; TotalNumSgprs: 30
; NumVgprs: 58
; ScratchSize: 0
; MemoryBound: 0
; FloatMode: 240
; IeeeMode: 1
; LDSByteSize: 0 bytes/workgroup (compile time only)
; SGPRBlocks: 0
; VGPRBlocks: 7
; NumSGPRsForWavesPerEU: 30
; NumVGPRsForWavesPerEU: 58
; Occupancy: 16
; WaveLimiterHint : 0
; COMPUTE_PGM_RSRC2:SCRATCH_EN: 0
; COMPUTE_PGM_RSRC2:USER_SGPR: 6
; COMPUTE_PGM_RSRC2:TRAP_HANDLER: 0
; COMPUTE_PGM_RSRC2:TGID_X_EN: 1
; COMPUTE_PGM_RSRC2:TGID_Y_EN: 1
; COMPUTE_PGM_RSRC2:TGID_Z_EN: 1
; COMPUTE_PGM_RSRC2:TIDIG_COMP_CNT: 1
	.section	.text._ZL13mul_mat_vec_qIL9ggml_type23ELi3ELb0ELb0EEvPKvS2_PKi31ggml_cuda_mm_fusion_args_devicePfj15HIP_vector_typeIjLj3EEjjjS8_jjjS8_jjjj,"axG",@progbits,_ZL13mul_mat_vec_qIL9ggml_type23ELi3ELb0ELb0EEvPKvS2_PKi31ggml_cuda_mm_fusion_args_devicePfj15HIP_vector_typeIjLj3EEjjjS8_jjjS8_jjjj,comdat
	.globl	_ZL13mul_mat_vec_qIL9ggml_type23ELi3ELb0ELb0EEvPKvS2_PKi31ggml_cuda_mm_fusion_args_devicePfj15HIP_vector_typeIjLj3EEjjjS8_jjjS8_jjjj ; -- Begin function _ZL13mul_mat_vec_qIL9ggml_type23ELi3ELb0ELb0EEvPKvS2_PKi31ggml_cuda_mm_fusion_args_devicePfj15HIP_vector_typeIjLj3EEjjjS8_jjjS8_jjjj
	.p2align	8
	.type	_ZL13mul_mat_vec_qIL9ggml_type23ELi3ELb0ELb0EEvPKvS2_PKi31ggml_cuda_mm_fusion_args_devicePfj15HIP_vector_typeIjLj3EEjjjS8_jjjS8_jjjj,@function
_ZL13mul_mat_vec_qIL9ggml_type23ELi3ELb0ELb0EEvPKvS2_PKi31ggml_cuda_mm_fusion_args_devicePfj15HIP_vector_typeIjLj3EEjjjS8_jjjS8_jjjj: ; @_ZL13mul_mat_vec_qIL9ggml_type23ELi3ELb0ELb0EEvPKvS2_PKi31ggml_cuda_mm_fusion_args_devicePfj15HIP_vector_typeIjLj3EEjjjS8_jjjS8_jjjj
; %bb.0:
	s_clause 0x5
	s_load_dword s9, s[4:5], 0x40
	s_load_dwordx4 s[0:3], s[4:5], 0x50
	s_load_dword s11, s[4:5], 0x60
	s_load_dwordx4 s[12:15], s[4:5], 0x68
	;; [unrolled: 2-line block ×3, first 2 shown]
	v_lshl_or_b32 v2, v1, 5, v0
	v_mov_b32_e32 v6, 0
	v_mov_b32_e32 v7, 0
	;; [unrolled: 1-line block ×3, first 2 shown]
	v_lshrrev_b32_e32 v8, 3, v2
	s_waitcnt lgkmcnt(0)
	s_lshr_b32 s10, s9, 8
	s_mov_b32 s9, exec_lo
	v_cmpx_gt_u32_e64 s10, v8
	s_cbranch_execz .LBB246_4
; %bb.1:
	s_mul_i32 s13, s13, s7
	s_load_dwordx4 s[20:23], s[4:5], 0x0
	s_mul_hi_u32 s27, s13, 36
	s_mul_i32 s26, s13, 36
	s_mul_i32 s17, s17, s8
	v_mad_u64_u32 v[2:3], null, 0x120, v8, s[26:27]
	v_and_b32_e32 v6, 7, v0
	s_mul_hi_u32 s3, s3, s7
	s_mul_hi_u32 s15, s15, s8
	s_add_i32 s3, s7, s3
	s_add_i32 s15, s8, s15
	v_lshlrev_b32_e32 v7, 2, v0
	v_mad_u64_u32 v[4:5], null, s17, 36, v[2:3]
	s_mul_i32 s25, s17, 36
	s_lshr_b32 s3, s3, s11
	s_mul_hi_u32 s19, s17, 36
	s_lshr_b32 s11, s15, s24
	s_mul_i32 s3, s3, s12
	v_and_b32_e32 v9, 28, v7
	v_mad_u64_u32 v[4:5], null, v6, 36, v[4:5]
	s_waitcnt lgkmcnt(0)
	s_add_u32 s12, s22, s25
	s_addc_u32 s13, s23, s19
	s_add_u32 s12, s12, s26
	s_addc_u32 s13, s13, s27
	v_lshlrev_b32_e32 v14, 3, v8
	v_mad_u64_u32 v[2:3], null, v6, 36, s[12:13]
	v_add_co_u32 v4, vcc_lo, s22, v4
	v_add_co_ci_u32_e64 v5, null, s23, v5, vcc_lo
	s_mul_i32 s0, s0, s6
	v_add_co_u32 v4, vcc_lo, v4, 16
	v_mov_b32_e32 v6, 0
	v_bfe_u32 v10, v7, 3, 2
	v_and_b32_e32 v11, 4, v7
	v_lshrrev_b32_e32 v12, 1, v9
	v_add_nc_u32_e32 v13, s1, v14
	v_lshl_add_u32 v14, s1, 1, v14
	v_add_co_ci_u32_e64 v5, null, 0, v5, vcc_lo
	v_lshlrev_b32_e32 v15, 2, v9
	v_mov_b32_e32 v7, 0
	v_mov_b32_e32 v9, 0
	s_mul_i32 s11, s11, s16
	s_add_i32 s3, s3, s0
	s_mov_b32 s1, 0
	s_add_i32 s0, s11, s3
	s_mov_b32 s3, 0xf6eaddcf
	s_mov_b32 s11, 0x71594535
	;; [unrolled: 1-line block ×3, first 2 shown]
.LBB246_2:                              ; =>This Inner Loop Header: Depth=1
	v_add_nc_u32_e32 v24, s0, v8
	v_mad_u64_u32 v[32:33], null, v13, 36, v[2:3]
	v_mad_u64_u32 v[36:37], null, v14, 36, v[2:3]
	v_mad_i64_i32 v[44:45], null, 0x88, v24, s[20:21]
	s_clause 0x1
	global_load_dwordx4 v[16:19], v[4:5], off offset:-16
	global_load_dwordx4 v[20:23], v[4:5], off
	s_clause 0x5
	global_load_dwordx4 v[24:27], v[32:33], off
	global_load_dwordx4 v[28:31], v[32:33], off offset:16
	global_load_dword v48, v[32:33], off offset:32
	global_load_dwordx4 v[32:35], v[36:37], off
	global_load_dword v49, v[36:37], off offset:32
	global_load_dwordx4 v[36:39], v[36:37], off offset:16
	v_mov_b32_e32 v50, 0
	v_mov_b32_e32 v59, 0
	v_add_nc_u32_e32 v8, 4, v8
	v_add_co_u32 v40, vcc_lo, v44, v15
	v_add_co_ci_u32_e64 v41, null, 0, v45, vcc_lo
	v_add_co_u32 v46, vcc_lo, v44, v10
	v_add_co_ci_u32_e64 v47, null, 0, v45, vcc_lo
	s_clause 0x2
	global_load_dwordx4 v[40:43], v[40:41], off offset:8
	global_load_ubyte v46, v[46:47], off offset:4
	global_load_dword v44, v[44:45], off
	global_load_dword v45, v[4:5], off offset:16
	v_mov_b32_e32 v47, 0
	v_add_co_u32 v4, vcc_lo, 0x480, v4
	v_add_co_ci_u32_e64 v5, null, 0, v5, vcc_lo
	v_cmp_le_u32_e32 vcc_lo, s10, v8
	v_add_nc_u32_e32 v13, 32, v13
	v_add_nc_u32_e32 v14, 32, v14
	s_or_b32 s1, vcc_lo, s1
	s_waitcnt vmcnt(9)
	v_cvt_f32_f16_e32 v24, v24
	v_cvt_f32_f16_e32 v16, v16
	s_waitcnt vmcnt(6)
	v_cvt_f32_f16_e32 v32, v32
	s_waitcnt vmcnt(3)
	v_ashrrev_i32_e32 v51, 4, v40
	v_and_b32_e32 v52, 0x7070707, v40
	v_lshrrev_b32_e32 v40, 1, v40
	v_ashrrev_i32_e32 v53, 4, v41
	v_and_b32_e32 v54, 0x7070707, v41
	v_lshrrev_b32_e32 v41, 1, v41
	v_perm_b32 v60, s3, 0xbfad9881, v52
	v_perm_b32 v52, s11, 0x26190d01, v52
	v_and_or_b32 v40, v40, s12, 0x3020100
	v_ashrrev_i32_e32 v55, 4, v42
	v_and_b32_e32 v56, 0x7070707, v42
	v_lshrrev_b32_e32 v42, 1, v42
	v_and_or_b32 v41, v41, s12, 0x3020100
	v_perm_b32 v40, v52, v60, v40
	v_perm_b32 v52, s3, 0xbfad9881, v54
	;; [unrolled: 1-line block ×3, first 2 shown]
	v_ashrrev_i32_e32 v57, 4, v43
	v_and_b32_e32 v58, 0x7070707, v43
	v_lshrrev_b32_e32 v43, 1, v43
	v_and_or_b32 v42, v42, s12, 0x3020100
	v_perm_b32 v41, v54, v52, v41
	v_perm_b32 v52, s3, 0xbfad9881, v56
	v_perm_b32 v54, s11, 0x26190d01, v56
	v_perm_b32 v56, s11, 0x26190d01, v58
	v_and_or_b32 v43, v43, s12, 0x3020100
	v_dot4c_i32_i8 v47, v40, v17
	v_dot4c_i32_i8 v50, v40, v25
	v_perm_b32 v42, v54, v52, v42
	v_perm_b32 v54, s3, 0xbfad9881, v58
	v_dot4c_i32_i8 v59, v40, v33
	s_waitcnt vmcnt(1)
	v_lshrrev_b32_sdwa v52, v12, v44 dst_sel:DWORD dst_unused:UNUSED_PAD src0_sel:DWORD src1_sel:WORD_1
	v_bfe_u32 v46, v46, v11, 4
	v_perm_b32 v43, v56, v54, v43
	v_and_b32_e32 v54, 0x7070707, v51
	v_lshrrev_b32_e32 v51, 1, v51
	v_lshlrev_b32_e32 v52, 4, v52
	v_perm_b32 v56, s3, 0xbfad9881, v54
	v_perm_b32 v54, s11, 0x26190d01, v54
	v_and_or_b32 v51, v51, s12, 0x3020100
	v_and_or_b32 v46, v52, 48, v46
	v_perm_b32 v51, v54, v56, v51
	v_and_b32_e32 v54, 0x7070707, v53
	v_lshrrev_b32_e32 v53, 1, v53
	v_subrev_nc_u32_e32 v25, 32, v46
	v_dot4c_i32_i8 v47, v51, v21
	v_perm_b32 v56, s3, 0xbfad9881, v54
	v_perm_b32 v54, s11, 0x26190d01, v54
	v_and_or_b32 v53, v53, s12, 0x3020100
	v_dot4c_i32_i8 v50, v51, v29
	v_dot4c_i32_i8 v59, v51, v37
	;; [unrolled: 1-line block ×3, first 2 shown]
	v_perm_b32 v53, v54, v56, v53
	v_and_b32_e32 v54, 0x7070707, v55
	v_lshrrev_b32_e32 v55, 1, v55
	v_dot4c_i32_i8 v50, v41, v26
	v_dot4c_i32_i8 v59, v41, v34
	;; [unrolled: 1-line block ×3, first 2 shown]
	v_perm_b32 v56, s3, 0xbfad9881, v54
	v_perm_b32 v54, s11, 0x26190d01, v54
	v_and_or_b32 v55, v55, s12, 0x3020100
	v_dot4c_i32_i8 v50, v53, v30
	v_dot4c_i32_i8 v59, v53, v38
	;; [unrolled: 1-line block ×3, first 2 shown]
	v_perm_b32 v54, v54, v56, v55
	v_and_b32_e32 v55, 0x7070707, v57
	v_lshrrev_b32_e32 v56, 1, v57
	v_dot4c_i32_i8 v50, v42, v27
	v_dot4c_i32_i8 v59, v42, v35
	;; [unrolled: 1-line block ×3, first 2 shown]
	v_perm_b32 v57, s3, 0xbfad9881, v55
	v_perm_b32 v55, s11, 0x26190d01, v55
	v_and_or_b32 v56, v56, s12, 0x3020100
	v_dot4c_i32_i8 v50, v54, v31
	v_dot4c_i32_i8 v59, v54, v39
	;; [unrolled: 1-line block ×3, first 2 shown]
	v_cvt_f32_f16_e32 v20, v44
	v_perm_b32 v17, v55, v57, v56
	v_dot4c_i32_i8 v50, v43, v28
	v_dot4c_i32_i8 v59, v43, v36
	v_mul_f32_e32 v16, v20, v16
	s_waitcnt vmcnt(0)
	v_dot4c_i32_i8 v47, v17, v45
	v_dot4c_i32_i8 v50, v17, v48
	;; [unrolled: 1-line block ×3, first 2 shown]
	v_mul_f32_e32 v21, v20, v24
	v_mul_f32_e32 v20, v20, v32
	v_mul_lo_u32 v17, v25, v47
	v_mul_lo_u32 v18, v25, v50
	;; [unrolled: 1-line block ×3, first 2 shown]
	v_cvt_f32_i32_e32 v17, v17
	v_cvt_f32_i32_e32 v18, v18
	;; [unrolled: 1-line block ×3, first 2 shown]
	v_fmac_f32_e32 v9, v16, v17
	v_fmac_f32_e32 v7, v21, v18
	;; [unrolled: 1-line block ×3, first 2 shown]
	s_andn2_b32 exec_lo, exec_lo, s1
	s_cbranch_execnz .LBB246_2
; %bb.3:
	s_or_b32 exec_lo, exec_lo, s1
.LBB246_4:
	s_or_b32 exec_lo, exec_lo, s9
	s_mov_b32 s1, 0
	; wave barrier
	buffer_gl0_inv
	s_mov_b32 s0, exec_lo
	v_cmpx_eq_u32_e32 0, v1
	s_cbranch_execz .LBB246_11
; %bb.5:
	v_mbcnt_lo_u32_b32 v5, -1, 0
	s_load_dwordx2 s[4:5], s[4:5], 0x38
	s_mul_i32 s0, s14, s7
	s_mul_i32 s3, s18, s8
	s_add_i32 s0, s0, s6
	v_xor_b32_e32 v1, 16, v5
	v_xor_b32_e32 v2, 8, v5
	v_xor_b32_e32 v10, 1, v5
	s_add_i32 s0, s0, s3
	s_lshl_b64 s[0:1], s[0:1], 2
	v_cmp_gt_i32_e32 vcc_lo, 32, v1
	v_cndmask_b32_e32 v1, v5, v1, vcc_lo
	v_cmp_gt_i32_e32 vcc_lo, 32, v2
	v_lshlrev_b32_e32 v1, 2, v1
	v_cndmask_b32_e32 v2, v5, v2, vcc_lo
	s_waitcnt lgkmcnt(0)
	s_add_u32 s0, s4, s0
	s_addc_u32 s1, s5, s1
	ds_bpermute_b32 v3, v1, v9
	v_lshlrev_b32_e32 v2, 2, v2
	s_waitcnt lgkmcnt(0)
	v_add_f32_e32 v4, v9, v3
	v_xor_b32_e32 v3, 4, v5
	ds_bpermute_b32 v8, v2, v4
	v_cmp_gt_i32_e32 vcc_lo, 32, v3
	v_cndmask_b32_e32 v3, v5, v3, vcc_lo
	v_lshlrev_b32_e32 v3, 2, v3
	s_waitcnt lgkmcnt(0)
	v_add_f32_e32 v8, v4, v8
	v_xor_b32_e32 v4, 2, v5
	ds_bpermute_b32 v9, v3, v8
	v_cmp_gt_i32_e32 vcc_lo, 32, v4
	v_cndmask_b32_e32 v4, v5, v4, vcc_lo
	v_cmp_gt_i32_e32 vcc_lo, 32, v10
	v_lshlrev_b32_e32 v4, 2, v4
	v_cndmask_b32_e32 v5, v5, v10, vcc_lo
	v_cmp_eq_u32_e32 vcc_lo, 0, v0
	v_lshlrev_b32_e32 v5, 2, v5
	s_waitcnt lgkmcnt(0)
	v_add_f32_e32 v8, v8, v9
	ds_bpermute_b32 v9, v4, v8
	s_waitcnt lgkmcnt(0)
	v_add_f32_e32 v8, v8, v9
	ds_bpermute_b32 v9, v5, v8
	s_and_saveexec_b32 s3, vcc_lo
	s_cbranch_execz .LBB246_7
; %bb.6:
	s_waitcnt lgkmcnt(0)
	v_add_f32_e32 v0, v8, v9
	v_mov_b32_e32 v8, 0
	global_store_dword v8, v0, s[0:1]
.LBB246_7:
	s_or_b32 exec_lo, exec_lo, s3
	ds_bpermute_b32 v0, v1, v7
	s_waitcnt lgkmcnt(0)
	v_add_f32_e32 v0, v7, v0
	ds_bpermute_b32 v7, v2, v0
	s_waitcnt lgkmcnt(0)
	v_add_f32_e32 v0, v0, v7
	;; [unrolled: 3-line block ×4, first 2 shown]
	ds_bpermute_b32 v7, v5, v0
	s_and_saveexec_b32 s4, vcc_lo
	s_cbranch_execz .LBB246_9
; %bb.8:
	s_mov_b32 s3, 0
	s_waitcnt lgkmcnt(0)
	v_add_f32_e32 v0, v0, v7
	s_lshl_b64 s[6:7], s[2:3], 2
	v_mov_b32_e32 v7, 0
	s_add_u32 s6, s0, s6
	s_addc_u32 s7, s1, s7
	global_store_dword v7, v0, s[6:7]
.LBB246_9:
	s_or_b32 exec_lo, exec_lo, s4
	ds_bpermute_b32 v0, v1, v6
	s_waitcnt lgkmcnt(0)
	v_add_f32_e32 v0, v6, v0
	ds_bpermute_b32 v1, v2, v0
	s_waitcnt lgkmcnt(0)
	v_add_f32_e32 v0, v0, v1
	ds_bpermute_b32 v1, v3, v0
	s_waitcnt lgkmcnt(0)
	v_add_f32_e32 v0, v0, v1
	ds_bpermute_b32 v1, v4, v0
	s_waitcnt lgkmcnt(0)
	v_add_f32_e32 v0, v0, v1
	ds_bpermute_b32 v1, v5, v0
	s_and_b32 exec_lo, exec_lo, vcc_lo
	s_cbranch_execz .LBB246_11
; %bb.10:
	s_lshl_b32 s2, s2, 1
	s_mov_b32 s3, 0
	s_waitcnt lgkmcnt(0)
	v_add_f32_e32 v0, v0, v1
	s_lshl_b64 s[2:3], s[2:3], 2
	v_mov_b32_e32 v1, 0
	s_add_u32 s0, s0, s2
	s_addc_u32 s1, s1, s3
	global_store_dword v1, v0, s[0:1]
.LBB246_11:
	s_endpgm
	.section	.rodata,"a",@progbits
	.p2align	6, 0x0
	.amdhsa_kernel _ZL13mul_mat_vec_qIL9ggml_type23ELi3ELb0ELb0EEvPKvS2_PKi31ggml_cuda_mm_fusion_args_devicePfj15HIP_vector_typeIjLj3EEjjjS8_jjjS8_jjjj
		.amdhsa_group_segment_fixed_size 0
		.amdhsa_private_segment_fixed_size 0
		.amdhsa_kernarg_size 144
		.amdhsa_user_sgpr_count 6
		.amdhsa_user_sgpr_private_segment_buffer 1
		.amdhsa_user_sgpr_dispatch_ptr 0
		.amdhsa_user_sgpr_queue_ptr 0
		.amdhsa_user_sgpr_kernarg_segment_ptr 1
		.amdhsa_user_sgpr_dispatch_id 0
		.amdhsa_user_sgpr_flat_scratch_init 0
		.amdhsa_user_sgpr_private_segment_size 0
		.amdhsa_wavefront_size32 1
		.amdhsa_uses_dynamic_stack 0
		.amdhsa_system_sgpr_private_segment_wavefront_offset 0
		.amdhsa_system_sgpr_workgroup_id_x 1
		.amdhsa_system_sgpr_workgroup_id_y 1
		.amdhsa_system_sgpr_workgroup_id_z 1
		.amdhsa_system_sgpr_workgroup_info 0
		.amdhsa_system_vgpr_workitem_id 1
		.amdhsa_next_free_vgpr 61
		.amdhsa_next_free_sgpr 28
		.amdhsa_reserve_vcc 1
		.amdhsa_reserve_flat_scratch 0
		.amdhsa_float_round_mode_32 0
		.amdhsa_float_round_mode_16_64 0
		.amdhsa_float_denorm_mode_32 3
		.amdhsa_float_denorm_mode_16_64 3
		.amdhsa_dx10_clamp 1
		.amdhsa_ieee_mode 1
		.amdhsa_fp16_overflow 0
		.amdhsa_workgroup_processor_mode 1
		.amdhsa_memory_ordered 1
		.amdhsa_forward_progress 1
		.amdhsa_shared_vgpr_count 0
		.amdhsa_exception_fp_ieee_invalid_op 0
		.amdhsa_exception_fp_denorm_src 0
		.amdhsa_exception_fp_ieee_div_zero 0
		.amdhsa_exception_fp_ieee_overflow 0
		.amdhsa_exception_fp_ieee_underflow 0
		.amdhsa_exception_fp_ieee_inexact 0
		.amdhsa_exception_int_div_zero 0
	.end_amdhsa_kernel
	.section	.text._ZL13mul_mat_vec_qIL9ggml_type23ELi3ELb0ELb0EEvPKvS2_PKi31ggml_cuda_mm_fusion_args_devicePfj15HIP_vector_typeIjLj3EEjjjS8_jjjS8_jjjj,"axG",@progbits,_ZL13mul_mat_vec_qIL9ggml_type23ELi3ELb0ELb0EEvPKvS2_PKi31ggml_cuda_mm_fusion_args_devicePfj15HIP_vector_typeIjLj3EEjjjS8_jjjS8_jjjj,comdat
.Lfunc_end246:
	.size	_ZL13mul_mat_vec_qIL9ggml_type23ELi3ELb0ELb0EEvPKvS2_PKi31ggml_cuda_mm_fusion_args_devicePfj15HIP_vector_typeIjLj3EEjjjS8_jjjS8_jjjj, .Lfunc_end246-_ZL13mul_mat_vec_qIL9ggml_type23ELi3ELb0ELb0EEvPKvS2_PKi31ggml_cuda_mm_fusion_args_devicePfj15HIP_vector_typeIjLj3EEjjjS8_jjjS8_jjjj
                                        ; -- End function
	.set _ZL13mul_mat_vec_qIL9ggml_type23ELi3ELb0ELb0EEvPKvS2_PKi31ggml_cuda_mm_fusion_args_devicePfj15HIP_vector_typeIjLj3EEjjjS8_jjjS8_jjjj.num_vgpr, 61
	.set _ZL13mul_mat_vec_qIL9ggml_type23ELi3ELb0ELb0EEvPKvS2_PKi31ggml_cuda_mm_fusion_args_devicePfj15HIP_vector_typeIjLj3EEjjjS8_jjjS8_jjjj.num_agpr, 0
	.set _ZL13mul_mat_vec_qIL9ggml_type23ELi3ELb0ELb0EEvPKvS2_PKi31ggml_cuda_mm_fusion_args_devicePfj15HIP_vector_typeIjLj3EEjjjS8_jjjS8_jjjj.numbered_sgpr, 28
	.set _ZL13mul_mat_vec_qIL9ggml_type23ELi3ELb0ELb0EEvPKvS2_PKi31ggml_cuda_mm_fusion_args_devicePfj15HIP_vector_typeIjLj3EEjjjS8_jjjS8_jjjj.num_named_barrier, 0
	.set _ZL13mul_mat_vec_qIL9ggml_type23ELi3ELb0ELb0EEvPKvS2_PKi31ggml_cuda_mm_fusion_args_devicePfj15HIP_vector_typeIjLj3EEjjjS8_jjjS8_jjjj.private_seg_size, 0
	.set _ZL13mul_mat_vec_qIL9ggml_type23ELi3ELb0ELb0EEvPKvS2_PKi31ggml_cuda_mm_fusion_args_devicePfj15HIP_vector_typeIjLj3EEjjjS8_jjjS8_jjjj.uses_vcc, 1
	.set _ZL13mul_mat_vec_qIL9ggml_type23ELi3ELb0ELb0EEvPKvS2_PKi31ggml_cuda_mm_fusion_args_devicePfj15HIP_vector_typeIjLj3EEjjjS8_jjjS8_jjjj.uses_flat_scratch, 0
	.set _ZL13mul_mat_vec_qIL9ggml_type23ELi3ELb0ELb0EEvPKvS2_PKi31ggml_cuda_mm_fusion_args_devicePfj15HIP_vector_typeIjLj3EEjjjS8_jjjS8_jjjj.has_dyn_sized_stack, 0
	.set _ZL13mul_mat_vec_qIL9ggml_type23ELi3ELb0ELb0EEvPKvS2_PKi31ggml_cuda_mm_fusion_args_devicePfj15HIP_vector_typeIjLj3EEjjjS8_jjjS8_jjjj.has_recursion, 0
	.set _ZL13mul_mat_vec_qIL9ggml_type23ELi3ELb0ELb0EEvPKvS2_PKi31ggml_cuda_mm_fusion_args_devicePfj15HIP_vector_typeIjLj3EEjjjS8_jjjS8_jjjj.has_indirect_call, 0
	.section	.AMDGPU.csdata,"",@progbits
; Kernel info:
; codeLenInByte = 1784
; TotalNumSgprs: 30
; NumVgprs: 61
; ScratchSize: 0
; MemoryBound: 0
; FloatMode: 240
; IeeeMode: 1
; LDSByteSize: 0 bytes/workgroup (compile time only)
; SGPRBlocks: 0
; VGPRBlocks: 7
; NumSGPRsForWavesPerEU: 30
; NumVGPRsForWavesPerEU: 61
; Occupancy: 16
; WaveLimiterHint : 0
; COMPUTE_PGM_RSRC2:SCRATCH_EN: 0
; COMPUTE_PGM_RSRC2:USER_SGPR: 6
; COMPUTE_PGM_RSRC2:TRAP_HANDLER: 0
; COMPUTE_PGM_RSRC2:TGID_X_EN: 1
; COMPUTE_PGM_RSRC2:TGID_Y_EN: 1
; COMPUTE_PGM_RSRC2:TGID_Z_EN: 1
; COMPUTE_PGM_RSRC2:TIDIG_COMP_CNT: 1
	.section	.text._ZL13mul_mat_vec_qIL9ggml_type23ELi4ELb0ELb0EEvPKvS2_PKi31ggml_cuda_mm_fusion_args_devicePfj15HIP_vector_typeIjLj3EEjjjS8_jjjS8_jjjj,"axG",@progbits,_ZL13mul_mat_vec_qIL9ggml_type23ELi4ELb0ELb0EEvPKvS2_PKi31ggml_cuda_mm_fusion_args_devicePfj15HIP_vector_typeIjLj3EEjjjS8_jjjS8_jjjj,comdat
	.globl	_ZL13mul_mat_vec_qIL9ggml_type23ELi4ELb0ELb0EEvPKvS2_PKi31ggml_cuda_mm_fusion_args_devicePfj15HIP_vector_typeIjLj3EEjjjS8_jjjS8_jjjj ; -- Begin function _ZL13mul_mat_vec_qIL9ggml_type23ELi4ELb0ELb0EEvPKvS2_PKi31ggml_cuda_mm_fusion_args_devicePfj15HIP_vector_typeIjLj3EEjjjS8_jjjS8_jjjj
	.p2align	8
	.type	_ZL13mul_mat_vec_qIL9ggml_type23ELi4ELb0ELb0EEvPKvS2_PKi31ggml_cuda_mm_fusion_args_devicePfj15HIP_vector_typeIjLj3EEjjjS8_jjjS8_jjjj,@function
_ZL13mul_mat_vec_qIL9ggml_type23ELi4ELb0ELb0EEvPKvS2_PKi31ggml_cuda_mm_fusion_args_devicePfj15HIP_vector_typeIjLj3EEjjjS8_jjjS8_jjjj: ; @_ZL13mul_mat_vec_qIL9ggml_type23ELi4ELb0ELb0EEvPKvS2_PKi31ggml_cuda_mm_fusion_args_devicePfj15HIP_vector_typeIjLj3EEjjjS8_jjjS8_jjjj
; %bb.0:
	s_clause 0x5
	s_load_dword s9, s[4:5], 0x40
	s_load_dwordx4 s[0:3], s[4:5], 0x50
	s_load_dword s11, s[4:5], 0x60
	s_load_dwordx4 s[12:15], s[4:5], 0x68
	;; [unrolled: 2-line block ×3, first 2 shown]
	v_lshl_or_b32 v2, v1, 5, v0
	v_mov_b32_e32 v7, 0
	v_mov_b32_e32 v8, 0
	;; [unrolled: 1-line block ×4, first 2 shown]
	v_lshrrev_b32_e32 v10, 3, v2
	s_waitcnt lgkmcnt(0)
	s_lshr_b32 s10, s9, 8
	s_mov_b32 s9, exec_lo
	v_cmpx_gt_u32_e64 s10, v10
	s_cbranch_execz .LBB247_4
; %bb.1:
	s_load_dwordx4 s[20:23], s[4:5], 0x0
	s_mul_i32 s13, s13, s7
	s_mul_hi_u32 s3, s3, s7
	s_mul_hi_u32 s27, s13, 36
	s_mul_i32 s26, s13, 36
	s_mul_hi_u32 s15, s15, s8
	v_mad_u64_u32 v[2:3], null, 0x120, v10, s[26:27]
	s_mul_i32 s17, s17, s8
	s_add_i32 s3, s7, s3
	s_add_i32 s15, s8, s15
	s_mul_i32 s25, s17, 36
	s_lshr_b32 s3, s3, s11
	s_mul_hi_u32 s19, s17, 36
	v_mad_u64_u32 v[4:5], null, s17, 36, v[2:3]
	s_lshr_b32 s11, s15, s24
	s_mul_i32 s3, s3, s12
	v_and_b32_e32 v8, 7, v0
	v_mov_b32_e32 v7, 0
	s_waitcnt lgkmcnt(0)
	s_add_u32 s12, s22, s25
	s_addc_u32 s13, s23, s19
	s_add_u32 s12, s12, s26
	s_addc_u32 s13, s13, s27
	v_lshlrev_b32_e32 v6, 3, v10
	v_mad_u64_u32 v[2:3], null, v8, 36, s[12:13]
	v_mad_u64_u32 v[8:9], null, v8, 36, v[4:5]
	v_lshlrev_b32_e32 v11, 2, v0
	v_mad_u64_u32 v[4:5], null, s1, 3, v[6:7]
	s_mul_i32 s0, s0, s6
	v_add_nc_u32_e32 v15, s1, v6
	v_and_b32_e32 v17, 28, v11
	v_add_co_u32 v5, vcc_lo, s22, v8
	v_add_co_ci_u32_e64 v8, null, s23, v9, vcc_lo
	v_bfe_u32 v12, v11, 3, 2
	v_add_co_u32 v5, vcc_lo, v5, 16
	v_and_b32_e32 v13, 4, v11
	v_lshrrev_b32_e32 v14, 1, v17
	v_lshl_add_u32 v16, s1, 1, v6
	v_add_co_ci_u32_e64 v6, null, 0, v8, vcc_lo
	v_lshlrev_b32_e32 v17, 2, v17
	v_mov_b32_e32 v8, 0
	v_mov_b32_e32 v9, 0
	;; [unrolled: 1-line block ×3, first 2 shown]
	s_mul_i32 s11, s11, s16
	s_add_i32 s3, s3, s0
	s_mov_b32 s1, 0
	s_add_i32 s0, s11, s3
	s_mov_b32 s3, 0xf6eaddcf
	s_mov_b32 s11, 0x71594535
	s_mov_b32 s12, 0x4040404
.LBB247_2:                              ; =>This Inner Loop Header: Depth=1
	v_add_nc_u32_e32 v26, s0, v10
	v_mad_u64_u32 v[34:35], null, v15, 36, v[2:3]
	v_mad_u64_u32 v[46:47], null, v16, 36, v[2:3]
	v_mad_i64_i32 v[42:43], null, 0x88, v26, s[20:21]
	s_clause 0x1
	global_load_dwordx4 v[18:21], v[5:6], off offset:-16
	global_load_dwordx4 v[22:25], v[5:6], off
	s_clause 0x3
	global_load_dwordx4 v[26:29], v[34:35], off
	global_load_dwordx4 v[30:33], v[34:35], off offset:16
	global_load_dword v53, v[34:35], off offset:32
	global_load_dwordx4 v[34:37], v[46:47], off
	v_mov_b32_e32 v50, 0
	v_mov_b32_e32 v51, 0
	v_mad_u64_u32 v[48:49], null, v4, 36, v[2:3]
	v_add_co_u32 v38, vcc_lo, v42, v17
	v_add_co_ci_u32_e64 v39, null, 0, v43, vcc_lo
	v_add_co_u32 v44, vcc_lo, v42, v12
	v_add_co_ci_u32_e64 v45, null, 0, v43, vcc_lo
	s_clause 0x2
	global_load_dwordx4 v[38:41], v[38:39], off offset:8
	global_load_ubyte v54, v[44:45], off offset:4
	global_load_dword v55, v[42:43], off
	v_mov_b32_e32 v52, 0
	v_add_nc_u32_e32 v10, 4, v10
	v_add_nc_u32_e32 v15, 32, v15
	;; [unrolled: 1-line block ×4, first 2 shown]
	s_waitcnt vmcnt(6)
	v_cvt_f32_f16_e32 v60, v26
	s_waitcnt vmcnt(2)
	v_ashrrev_i32_e32 v42, 4, v38
	v_and_b32_e32 v43, 0x7070707, v38
	v_lshrrev_b32_e32 v38, 1, v38
	v_ashrrev_i32_e32 v44, 4, v39
	v_and_b32_e32 v45, 0x7070707, v39
	v_lshrrev_b32_e32 v39, 1, v39
	v_perm_b32 v58, s3, 0xbfad9881, v43
	v_perm_b32 v43, s11, 0x26190d01, v43
	v_and_or_b32 v38, v38, s12, 0x3020100
	v_and_b32_e32 v56, 0x7070707, v40
	v_lshrrev_b32_e32 v57, 1, v40
	v_and_or_b32 v39, v39, s12, 0x3020100
	v_and_b32_e32 v59, 0x7070707, v41
	v_perm_b32 v38, v43, v58, v38
	v_perm_b32 v43, s3, 0xbfad9881, v45
	;; [unrolled: 1-line block ×5, first 2 shown]
	v_and_or_b32 v57, v57, s12, 0x3020100
	v_dot4c_i32_i8 v50, v38, v19
	v_perm_b32 v39, v45, v43, v39
	v_and_b32_e32 v43, 0x7070707, v42
	v_lshrrev_b32_e32 v42, 1, v42
	v_perm_b32 v56, v56, v58, v57
	v_and_b32_e32 v45, 0x7070707, v44
	v_lshrrev_b32_e32 v44, 1, v44
	v_perm_b32 v57, s3, 0xbfad9881, v43
	v_perm_b32 v43, s11, 0x26190d01, v43
	v_and_or_b32 v42, v42, s12, 0x3020100
	v_perm_b32 v58, s3, 0xbfad9881, v45
	v_perm_b32 v45, s11, 0x26190d01, v45
	v_and_or_b32 v44, v44, s12, 0x3020100
	v_dot4c_i32_i8 v51, v38, v27
	v_perm_b32 v57, v43, v57, v42
	v_dot4c_i32_i8 v52, v38, v35
	v_perm_b32 v58, v45, v58, v44
	global_load_dwordx4 v[42:45], v[46:47], off offset:16
	v_dot4c_i32_i8 v50, v57, v23
	v_dot4c_i32_i8 v51, v57, v31
	v_cvt_f32_f16_e32 v23, v18
	v_cvt_f32_f16_e32 v31, v34
	v_dot4c_i32_i8 v50, v39, v20
	v_dot4c_i32_i8 v51, v39, v28
	;; [unrolled: 1-line block ×4, first 2 shown]
	v_ashrrev_i32_e32 v24, 4, v40
	v_ashrrev_i32_e32 v40, 4, v41
	v_lshrrev_b32_e32 v41, 1, v41
	v_dot4c_i32_i8 v50, v56, v21
	global_load_dwordx4 v[18:21], v[48:49], off
	v_dot4c_i32_i8 v51, v56, v29
	s_clause 0x1
	global_load_dwordx4 v[26:29], v[48:49], off offset:16
	global_load_dword v32, v[46:47], off offset:32
	global_load_dword v34, v[5:6], off offset:16
	;; [unrolled: 1-line block ×3, first 2 shown]
	v_and_or_b32 v41, v41, s12, 0x3020100
	v_add_co_u32 v5, vcc_lo, 0x480, v5
	v_add_co_ci_u32_e64 v6, null, 0, v6, vcc_lo
	v_cmp_le_u32_e32 vcc_lo, s10, v10
	s_or_b32 s1, vcc_lo, s1
	s_waitcnt vmcnt(5)
	v_dot4c_i32_i8 v52, v57, v43
	v_perm_b32 v43, s11, 0x26190d01, v59
	v_dot4c_i32_i8 v52, v39, v36
	v_mov_b32_e32 v36, 0
	v_dot4c_i32_i8 v52, v58, v44
	v_dot4c_i32_i8 v52, v56, v37
	v_perm_b32 v37, s3, 0xbfad9881, v59
	s_waitcnt vmcnt(4)
	v_dot4c_i32_i8 v36, v38, v19
	v_and_b32_e32 v19, 0x7070707, v24
	v_lshrrev_b32_e32 v24, 1, v24
	v_lshrrev_b32_e32 v38, 1, v40
	v_perm_b32 v37, v43, v37, v41
	s_waitcnt vmcnt(3)
	v_dot4c_i32_i8 v36, v57, v27
	v_lshrrev_b32_sdwa v43, v14, v55 dst_sel:DWORD dst_unused:UNUSED_PAD src0_sel:DWORD src1_sel:WORD_1
	v_and_or_b32 v24, v24, s12, 0x3020100
	v_and_b32_e32 v27, 0x7070707, v40
	v_bfe_u32 v41, v54, v13, 4
	v_dot4c_i32_i8 v36, v39, v20
	v_perm_b32 v20, s3, 0xbfad9881, v19
	v_perm_b32 v19, s11, 0x26190d01, v19
	v_lshlrev_b32_e32 v40, 4, v43
	v_and_or_b32 v38, v38, s12, 0x3020100
	v_dot4c_i32_i8 v36, v58, v28
	v_perm_b32 v28, s3, 0xbfad9881, v27
	v_perm_b32 v19, v19, v20, v24
	;; [unrolled: 1-line block ×3, first 2 shown]
	v_and_or_b32 v20, v40, 48, v41
	v_dot4c_i32_i8 v36, v56, v21
	v_cvt_f32_f16_e32 v18, v18
	v_dot4c_i32_i8 v50, v19, v25
	v_dot4c_i32_i8 v51, v19, v33
	;; [unrolled: 1-line block ×4, first 2 shown]
	v_perm_b32 v19, v27, v28, v38
	v_dot4c_i32_i8 v50, v37, v22
	v_dot4c_i32_i8 v51, v37, v30
	;; [unrolled: 1-line block ×4, first 2 shown]
	v_subrev_nc_u32_e32 v20, 32, v20
	s_waitcnt vmcnt(1)
	v_dot4c_i32_i8 v50, v19, v34
	v_dot4c_i32_i8 v51, v19, v53
	;; [unrolled: 1-line block ×3, first 2 shown]
	s_waitcnt vmcnt(0)
	v_dot4c_i32_i8 v36, v19, v35
	v_cvt_f32_f16_e32 v19, v55
	v_mul_lo_u32 v21, v20, v50
	v_mul_lo_u32 v22, v20, v51
	;; [unrolled: 1-line block ×4, first 2 shown]
	v_mul_f32_e32 v23, v19, v23
	v_mul_f32_e32 v25, v19, v60
	;; [unrolled: 1-line block ×4, first 2 shown]
	v_cvt_f32_i32_e32 v19, v21
	v_cvt_f32_i32_e32 v21, v22
	;; [unrolled: 1-line block ×4, first 2 shown]
	v_fmac_f32_e32 v11, v23, v19
	v_fmac_f32_e32 v9, v25, v21
	;; [unrolled: 1-line block ×4, first 2 shown]
	s_andn2_b32 exec_lo, exec_lo, s1
	s_cbranch_execnz .LBB247_2
; %bb.3:
	s_or_b32 exec_lo, exec_lo, s1
.LBB247_4:
	s_or_b32 exec_lo, exec_lo, s9
	s_mov_b32 s1, 0
	; wave barrier
	buffer_gl0_inv
	s_mov_b32 s0, exec_lo
	v_cmpx_eq_u32_e32 0, v1
	s_cbranch_execz .LBB247_13
; %bb.5:
	v_mbcnt_lo_u32_b32 v5, -1, 0
	s_load_dwordx2 s[4:5], s[4:5], 0x38
	s_mul_i32 s0, s14, s7
	s_mul_i32 s3, s18, s8
	s_add_i32 s0, s0, s6
	v_xor_b32_e32 v1, 16, v5
	v_xor_b32_e32 v2, 8, v5
	s_add_i32 s0, s0, s3
	s_lshl_b64 s[0:1], s[0:1], 2
	v_cmp_gt_i32_e32 vcc_lo, 32, v1
	v_cndmask_b32_e32 v1, v5, v1, vcc_lo
	v_cmp_gt_i32_e32 vcc_lo, 32, v2
	v_lshlrev_b32_e32 v1, 2, v1
	v_cndmask_b32_e32 v2, v5, v2, vcc_lo
	s_waitcnt lgkmcnt(0)
	s_add_u32 s0, s4, s0
	s_addc_u32 s1, s5, s1
	ds_bpermute_b32 v3, v1, v11
	v_lshlrev_b32_e32 v2, 2, v2
	s_waitcnt lgkmcnt(0)
	v_add_f32_e32 v4, v11, v3
	v_xor_b32_e32 v3, 4, v5
	v_xor_b32_e32 v11, 1, v5
	ds_bpermute_b32 v6, v2, v4
	v_cmp_gt_i32_e32 vcc_lo, 32, v3
	v_cndmask_b32_e32 v3, v5, v3, vcc_lo
	v_lshlrev_b32_e32 v3, 2, v3
	s_waitcnt lgkmcnt(0)
	v_add_f32_e32 v6, v4, v6
	v_xor_b32_e32 v4, 2, v5
	ds_bpermute_b32 v10, v3, v6
	v_cmp_gt_i32_e32 vcc_lo, 32, v4
	v_cndmask_b32_e32 v4, v5, v4, vcc_lo
	v_cmp_gt_i32_e32 vcc_lo, 32, v11
	v_lshlrev_b32_e32 v4, 2, v4
	v_cndmask_b32_e32 v5, v5, v11, vcc_lo
	v_cmp_eq_u32_e32 vcc_lo, 0, v0
	v_lshlrev_b32_e32 v5, 2, v5
	s_waitcnt lgkmcnt(0)
	v_add_f32_e32 v6, v6, v10
	ds_bpermute_b32 v10, v4, v6
	s_waitcnt lgkmcnt(0)
	v_add_f32_e32 v6, v6, v10
	ds_bpermute_b32 v10, v5, v6
	s_and_saveexec_b32 s3, vcc_lo
	s_cbranch_execz .LBB247_7
; %bb.6:
	s_waitcnt lgkmcnt(0)
	v_add_f32_e32 v0, v6, v10
	v_mov_b32_e32 v6, 0
	global_store_dword v6, v0, s[0:1]
.LBB247_7:
	s_or_b32 exec_lo, exec_lo, s3
	ds_bpermute_b32 v0, v1, v9
	s_waitcnt lgkmcnt(0)
	v_add_f32_e32 v0, v9, v0
	ds_bpermute_b32 v6, v2, v0
	s_waitcnt lgkmcnt(0)
	v_add_f32_e32 v0, v0, v6
	;; [unrolled: 3-line block ×4, first 2 shown]
	ds_bpermute_b32 v6, v5, v0
	s_and_saveexec_b32 s4, vcc_lo
	s_cbranch_execz .LBB247_9
; %bb.8:
	s_mov_b32 s3, 0
	s_waitcnt lgkmcnt(0)
	v_add_f32_e32 v0, v0, v6
	s_lshl_b64 s[6:7], s[2:3], 2
	v_mov_b32_e32 v6, 0
	s_add_u32 s6, s0, s6
	s_addc_u32 s7, s1, s7
	global_store_dword v6, v0, s[6:7]
.LBB247_9:
	s_or_b32 exec_lo, exec_lo, s4
	ds_bpermute_b32 v0, v1, v8
	s_waitcnt lgkmcnt(0)
	v_add_f32_e32 v0, v8, v0
	ds_bpermute_b32 v6, v2, v0
	s_waitcnt lgkmcnt(0)
	v_add_f32_e32 v0, v0, v6
	;; [unrolled: 3-line block ×4, first 2 shown]
	ds_bpermute_b32 v6, v5, v0
	s_and_saveexec_b32 s3, vcc_lo
	s_cbranch_execz .LBB247_11
; %bb.10:
	s_lshl_b32 s4, s2, 1
	s_mov_b32 s5, 0
	s_waitcnt lgkmcnt(0)
	v_add_f32_e32 v0, v0, v6
	s_lshl_b64 s[4:5], s[4:5], 2
	v_mov_b32_e32 v6, 0
	s_add_u32 s4, s0, s4
	s_addc_u32 s5, s1, s5
	global_store_dword v6, v0, s[4:5]
.LBB247_11:
	s_or_b32 exec_lo, exec_lo, s3
	ds_bpermute_b32 v0, v1, v7
	s_waitcnt lgkmcnt(0)
	v_add_f32_e32 v0, v7, v0
	ds_bpermute_b32 v1, v2, v0
	s_waitcnt lgkmcnt(0)
	v_add_f32_e32 v0, v0, v1
	;; [unrolled: 3-line block ×4, first 2 shown]
	ds_bpermute_b32 v1, v5, v0
	s_and_b32 exec_lo, exec_lo, vcc_lo
	s_cbranch_execz .LBB247_13
; %bb.12:
	s_mul_i32 s2, s2, 3
	s_mov_b32 s3, 0
	s_waitcnt lgkmcnt(0)
	v_add_f32_e32 v0, v0, v1
	s_lshl_b64 s[2:3], s[2:3], 2
	v_mov_b32_e32 v1, 0
	s_add_u32 s0, s0, s2
	s_addc_u32 s1, s1, s3
	global_store_dword v1, v0, s[0:1]
.LBB247_13:
	s_endpgm
	.section	.rodata,"a",@progbits
	.p2align	6, 0x0
	.amdhsa_kernel _ZL13mul_mat_vec_qIL9ggml_type23ELi4ELb0ELb0EEvPKvS2_PKi31ggml_cuda_mm_fusion_args_devicePfj15HIP_vector_typeIjLj3EEjjjS8_jjjS8_jjjj
		.amdhsa_group_segment_fixed_size 0
		.amdhsa_private_segment_fixed_size 0
		.amdhsa_kernarg_size 144
		.amdhsa_user_sgpr_count 6
		.amdhsa_user_sgpr_private_segment_buffer 1
		.amdhsa_user_sgpr_dispatch_ptr 0
		.amdhsa_user_sgpr_queue_ptr 0
		.amdhsa_user_sgpr_kernarg_segment_ptr 1
		.amdhsa_user_sgpr_dispatch_id 0
		.amdhsa_user_sgpr_flat_scratch_init 0
		.amdhsa_user_sgpr_private_segment_size 0
		.amdhsa_wavefront_size32 1
		.amdhsa_uses_dynamic_stack 0
		.amdhsa_system_sgpr_private_segment_wavefront_offset 0
		.amdhsa_system_sgpr_workgroup_id_x 1
		.amdhsa_system_sgpr_workgroup_id_y 1
		.amdhsa_system_sgpr_workgroup_id_z 1
		.amdhsa_system_sgpr_workgroup_info 0
		.amdhsa_system_vgpr_workitem_id 1
		.amdhsa_next_free_vgpr 61
		.amdhsa_next_free_sgpr 28
		.amdhsa_reserve_vcc 1
		.amdhsa_reserve_flat_scratch 0
		.amdhsa_float_round_mode_32 0
		.amdhsa_float_round_mode_16_64 0
		.amdhsa_float_denorm_mode_32 3
		.amdhsa_float_denorm_mode_16_64 3
		.amdhsa_dx10_clamp 1
		.amdhsa_ieee_mode 1
		.amdhsa_fp16_overflow 0
		.amdhsa_workgroup_processor_mode 1
		.amdhsa_memory_ordered 1
		.amdhsa_forward_progress 1
		.amdhsa_shared_vgpr_count 0
		.amdhsa_exception_fp_ieee_invalid_op 0
		.amdhsa_exception_fp_denorm_src 0
		.amdhsa_exception_fp_ieee_div_zero 0
		.amdhsa_exception_fp_ieee_overflow 0
		.amdhsa_exception_fp_ieee_underflow 0
		.amdhsa_exception_fp_ieee_inexact 0
		.amdhsa_exception_int_div_zero 0
	.end_amdhsa_kernel
	.section	.text._ZL13mul_mat_vec_qIL9ggml_type23ELi4ELb0ELb0EEvPKvS2_PKi31ggml_cuda_mm_fusion_args_devicePfj15HIP_vector_typeIjLj3EEjjjS8_jjjS8_jjjj,"axG",@progbits,_ZL13mul_mat_vec_qIL9ggml_type23ELi4ELb0ELb0EEvPKvS2_PKi31ggml_cuda_mm_fusion_args_devicePfj15HIP_vector_typeIjLj3EEjjjS8_jjjS8_jjjj,comdat
.Lfunc_end247:
	.size	_ZL13mul_mat_vec_qIL9ggml_type23ELi4ELb0ELb0EEvPKvS2_PKi31ggml_cuda_mm_fusion_args_devicePfj15HIP_vector_typeIjLj3EEjjjS8_jjjS8_jjjj, .Lfunc_end247-_ZL13mul_mat_vec_qIL9ggml_type23ELi4ELb0ELb0EEvPKvS2_PKi31ggml_cuda_mm_fusion_args_devicePfj15HIP_vector_typeIjLj3EEjjjS8_jjjS8_jjjj
                                        ; -- End function
	.set _ZL13mul_mat_vec_qIL9ggml_type23ELi4ELb0ELb0EEvPKvS2_PKi31ggml_cuda_mm_fusion_args_devicePfj15HIP_vector_typeIjLj3EEjjjS8_jjjS8_jjjj.num_vgpr, 61
	.set _ZL13mul_mat_vec_qIL9ggml_type23ELi4ELb0ELb0EEvPKvS2_PKi31ggml_cuda_mm_fusion_args_devicePfj15HIP_vector_typeIjLj3EEjjjS8_jjjS8_jjjj.num_agpr, 0
	.set _ZL13mul_mat_vec_qIL9ggml_type23ELi4ELb0ELb0EEvPKvS2_PKi31ggml_cuda_mm_fusion_args_devicePfj15HIP_vector_typeIjLj3EEjjjS8_jjjS8_jjjj.numbered_sgpr, 28
	.set _ZL13mul_mat_vec_qIL9ggml_type23ELi4ELb0ELb0EEvPKvS2_PKi31ggml_cuda_mm_fusion_args_devicePfj15HIP_vector_typeIjLj3EEjjjS8_jjjS8_jjjj.num_named_barrier, 0
	.set _ZL13mul_mat_vec_qIL9ggml_type23ELi4ELb0ELb0EEvPKvS2_PKi31ggml_cuda_mm_fusion_args_devicePfj15HIP_vector_typeIjLj3EEjjjS8_jjjS8_jjjj.private_seg_size, 0
	.set _ZL13mul_mat_vec_qIL9ggml_type23ELi4ELb0ELb0EEvPKvS2_PKi31ggml_cuda_mm_fusion_args_devicePfj15HIP_vector_typeIjLj3EEjjjS8_jjjS8_jjjj.uses_vcc, 1
	.set _ZL13mul_mat_vec_qIL9ggml_type23ELi4ELb0ELb0EEvPKvS2_PKi31ggml_cuda_mm_fusion_args_devicePfj15HIP_vector_typeIjLj3EEjjjS8_jjjS8_jjjj.uses_flat_scratch, 0
	.set _ZL13mul_mat_vec_qIL9ggml_type23ELi4ELb0ELb0EEvPKvS2_PKi31ggml_cuda_mm_fusion_args_devicePfj15HIP_vector_typeIjLj3EEjjjS8_jjjS8_jjjj.has_dyn_sized_stack, 0
	.set _ZL13mul_mat_vec_qIL9ggml_type23ELi4ELb0ELb0EEvPKvS2_PKi31ggml_cuda_mm_fusion_args_devicePfj15HIP_vector_typeIjLj3EEjjjS8_jjjS8_jjjj.has_recursion, 0
	.set _ZL13mul_mat_vec_qIL9ggml_type23ELi4ELb0ELb0EEvPKvS2_PKi31ggml_cuda_mm_fusion_args_devicePfj15HIP_vector_typeIjLj3EEjjjS8_jjjS8_jjjj.has_indirect_call, 0
	.section	.AMDGPU.csdata,"",@progbits
; Kernel info:
; codeLenInByte = 2032
; TotalNumSgprs: 30
; NumVgprs: 61
; ScratchSize: 0
; MemoryBound: 0
; FloatMode: 240
; IeeeMode: 1
; LDSByteSize: 0 bytes/workgroup (compile time only)
; SGPRBlocks: 0
; VGPRBlocks: 7
; NumSGPRsForWavesPerEU: 30
; NumVGPRsForWavesPerEU: 61
; Occupancy: 16
; WaveLimiterHint : 0
; COMPUTE_PGM_RSRC2:SCRATCH_EN: 0
; COMPUTE_PGM_RSRC2:USER_SGPR: 6
; COMPUTE_PGM_RSRC2:TRAP_HANDLER: 0
; COMPUTE_PGM_RSRC2:TGID_X_EN: 1
; COMPUTE_PGM_RSRC2:TGID_Y_EN: 1
; COMPUTE_PGM_RSRC2:TGID_Z_EN: 1
; COMPUTE_PGM_RSRC2:TIDIG_COMP_CNT: 1
	.section	.text._ZL13mul_mat_vec_qIL9ggml_type23ELi5ELb0ELb0EEvPKvS2_PKi31ggml_cuda_mm_fusion_args_devicePfj15HIP_vector_typeIjLj3EEjjjS8_jjjS8_jjjj,"axG",@progbits,_ZL13mul_mat_vec_qIL9ggml_type23ELi5ELb0ELb0EEvPKvS2_PKi31ggml_cuda_mm_fusion_args_devicePfj15HIP_vector_typeIjLj3EEjjjS8_jjjS8_jjjj,comdat
	.globl	_ZL13mul_mat_vec_qIL9ggml_type23ELi5ELb0ELb0EEvPKvS2_PKi31ggml_cuda_mm_fusion_args_devicePfj15HIP_vector_typeIjLj3EEjjjS8_jjjS8_jjjj ; -- Begin function _ZL13mul_mat_vec_qIL9ggml_type23ELi5ELb0ELb0EEvPKvS2_PKi31ggml_cuda_mm_fusion_args_devicePfj15HIP_vector_typeIjLj3EEjjjS8_jjjS8_jjjj
	.p2align	8
	.type	_ZL13mul_mat_vec_qIL9ggml_type23ELi5ELb0ELb0EEvPKvS2_PKi31ggml_cuda_mm_fusion_args_devicePfj15HIP_vector_typeIjLj3EEjjjS8_jjjS8_jjjj,@function
_ZL13mul_mat_vec_qIL9ggml_type23ELi5ELb0ELb0EEvPKvS2_PKi31ggml_cuda_mm_fusion_args_devicePfj15HIP_vector_typeIjLj3EEjjjS8_jjjS8_jjjj: ; @_ZL13mul_mat_vec_qIL9ggml_type23ELi5ELb0ELb0EEvPKvS2_PKi31ggml_cuda_mm_fusion_args_devicePfj15HIP_vector_typeIjLj3EEjjjS8_jjjS8_jjjj
; %bb.0:
	s_clause 0x5
	s_load_dword s9, s[4:5], 0x40
	s_load_dwordx4 s[0:3], s[4:5], 0x50
	s_load_dword s11, s[4:5], 0x60
	s_load_dwordx4 s[12:15], s[4:5], 0x68
	;; [unrolled: 2-line block ×3, first 2 shown]
	v_lshl_or_b32 v2, v1, 5, v0
	v_mov_b32_e32 v7, 0
	v_mov_b32_e32 v8, 0
	v_mov_b32_e32 v9, 0
	v_mov_b32_e32 v10, 0
	v_lshrrev_b32_e32 v11, 3, v2
	v_mov_b32_e32 v12, 0
	s_waitcnt lgkmcnt(0)
	s_lshr_b32 s10, s9, 8
	s_mov_b32 s9, exec_lo
	v_cmpx_gt_u32_e64 s10, v11
	s_cbranch_execz .LBB248_4
; %bb.1:
	s_load_dwordx4 s[20:23], s[4:5], 0x0
	s_mul_i32 s13, s13, s7
	s_mul_hi_u32 s3, s3, s7
	s_mul_hi_u32 s27, s13, 36
	s_mul_i32 s26, s13, 36
	s_mul_hi_u32 s15, s15, s8
	v_mad_u64_u32 v[2:3], null, 0x120, v11, s[26:27]
	s_mul_i32 s17, s17, s8
	s_add_i32 s3, s7, s3
	s_add_i32 s15, s8, s15
	s_mul_i32 s25, s17, 36
	s_lshr_b32 s3, s3, s11
	s_mul_hi_u32 s19, s17, 36
	v_mad_u64_u32 v[4:5], null, s17, 36, v[2:3]
	s_lshr_b32 s11, s15, s24
	s_mul_i32 s3, s3, s12
	v_and_b32_e32 v8, 7, v0
	v_mov_b32_e32 v7, 0
	s_waitcnt lgkmcnt(0)
	s_add_u32 s12, s22, s25
	s_addc_u32 s13, s23, s19
	s_add_u32 s12, s12, s26
	s_addc_u32 s13, s13, s27
	v_lshlrev_b32_e32 v6, 3, v11
	v_mad_u64_u32 v[2:3], null, v8, 36, s[12:13]
	v_mad_u64_u32 v[8:9], null, v8, 36, v[4:5]
	v_lshlrev_b32_e32 v10, 2, v0
	v_mad_u64_u32 v[4:5], null, s1, 3, v[6:7]
	s_mul_i32 s0, s0, s6
	v_add_nc_u32_e32 v16, s1, v6
	v_and_b32_e32 v12, 28, v10
	v_add_co_u32 v5, vcc_lo, s22, v8
	v_add_co_ci_u32_e64 v8, null, s23, v9, vcc_lo
	v_bfe_u32 v13, v10, 3, 2
	v_add_co_u32 v5, vcc_lo, v5, 16
	v_and_b32_e32 v14, 4, v10
	v_lshrrev_b32_e32 v15, 1, v12
	v_lshl_add_u32 v17, s1, 2, v6
	v_lshl_add_u32 v18, s1, 1, v6
	v_add_co_ci_u32_e64 v6, null, 0, v8, vcc_lo
	v_lshlrev_b32_e32 v19, 2, v12
	v_mov_b32_e32 v8, 0
	v_mov_b32_e32 v9, 0
	v_mov_b32_e32 v10, 0
	v_mov_b32_e32 v12, 0
	s_mul_i32 s11, s11, s16
	s_add_i32 s3, s3, s0
	s_mov_b32 s1, 0
	s_add_i32 s0, s11, s3
	s_mov_b32 s3, 0xf6eaddcf
	s_mov_b32 s11, 0x71594535
	;; [unrolled: 1-line block ×3, first 2 shown]
.LBB248_2:                              ; =>This Inner Loop Header: Depth=1
	v_add_nc_u32_e32 v28, s0, v11
	v_mad_u64_u32 v[48:49], null, v16, 36, v[2:3]
	s_clause 0x1
	global_load_dwordx4 v[20:23], v[5:6], off offset:-16
	global_load_dwordx4 v[24:27], v[5:6], off
	v_mov_b32_e32 v54, 0
	v_mad_i64_i32 v[40:41], null, 0x88, v28, s[20:21]
	v_mad_u64_u32 v[50:51], null, v18, 36, v[2:3]
	s_clause 0x1
	global_load_dwordx4 v[28:31], v[48:49], off
	global_load_dwordx4 v[32:35], v[48:49], off offset:16
	v_mov_b32_e32 v55, 0
	v_mov_b32_e32 v56, 0
	v_mad_u64_u32 v[52:53], null, v4, 36, v[2:3]
	v_add_co_u32 v36, vcc_lo, v40, v19
	v_add_co_ci_u32_e64 v37, null, 0, v41, vcc_lo
	v_add_co_u32 v42, vcc_lo, v40, v13
	v_add_co_ci_u32_e64 v43, null, 0, v41, vcc_lo
	s_clause 0x2
	global_load_dwordx4 v[36:39], v[36:37], off offset:8
	global_load_ubyte v58, v[42:43], off offset:4
	global_load_dword v59, v[40:41], off
	v_mov_b32_e32 v57, 0
	v_add_nc_u32_e32 v11, 4, v11
	v_add_nc_u32_e32 v16, 32, v16
	;; [unrolled: 1-line block ×4, first 2 shown]
	s_waitcnt vmcnt(2)
	v_ashrrev_i32_e32 v40, 4, v36
	v_and_b32_e32 v41, 0x7070707, v36
	v_lshrrev_b32_e32 v36, 1, v36
	v_ashrrev_i32_e32 v42, 4, v37
	v_and_b32_e32 v43, 0x7070707, v37
	v_lshrrev_b32_e32 v37, 1, v37
	v_perm_b32 v46, s3, 0xbfad9881, v41
	v_perm_b32 v41, s11, 0x26190d01, v41
	v_and_or_b32 v36, v36, s12, 0x3020100
	v_and_b32_e32 v44, 0x7070707, v38
	v_lshrrev_b32_e32 v45, 1, v38
	v_and_or_b32 v37, v37, s12, 0x3020100
	v_perm_b32 v36, v41, v46, v36
	v_perm_b32 v41, s3, 0xbfad9881, v43
	;; [unrolled: 1-line block ×5, first 2 shown]
	v_and_or_b32 v45, v45, s12, 0x3020100
	v_dot4c_i32_i8 v54, v36, v21
	v_perm_b32 v37, v43, v41, v37
	v_and_b32_e32 v41, 0x7070707, v40
	v_lshrrev_b32_e32 v40, 1, v40
	v_perm_b32 v60, v44, v46, v45
	v_and_b32_e32 v43, 0x7070707, v42
	v_lshrrev_b32_e32 v42, 1, v42
	v_perm_b32 v44, s3, 0xbfad9881, v41
	v_perm_b32 v41, s11, 0x26190d01, v41
	v_and_or_b32 v40, v40, s12, 0x3020100
	v_perm_b32 v45, s3, 0xbfad9881, v43
	v_perm_b32 v43, s11, 0x26190d01, v43
	v_and_or_b32 v42, v42, s12, 0x3020100
	v_dot4c_i32_i8 v55, v36, v29
	v_perm_b32 v61, v41, v44, v40
	v_perm_b32 v62, v43, v45, v42
	global_load_dwordx4 v[40:43], v[50:51], off
	v_dot4c_i32_i8 v54, v61, v25
	v_cvt_f32_f16_e32 v25, v20
	v_dot4c_i32_i8 v55, v61, v33
	v_dot4c_i32_i8 v54, v37, v22
	;; [unrolled: 1-line block ×4, first 2 shown]
	v_cvt_f32_f16_e32 v26, v28
	v_dot4c_i32_i8 v55, v62, v34
	v_dot4c_i32_i8 v54, v60, v23
	global_load_dwordx4 v[20:23], v[50:51], off offset:16
	v_dot4c_i32_i8 v55, v60, v31
	s_waitcnt vmcnt(1)
	v_dot4c_i32_i8 v56, v36, v41
	v_cvt_f32_f16_e32 v33, v40
	s_waitcnt vmcnt(0)
	v_dot4c_i32_i8 v56, v61, v21
	v_dot4c_i32_i8 v56, v37, v42
	;; [unrolled: 1-line block ×3, first 2 shown]
	v_mad_u64_u32 v[21:22], null, v17, 36, v[2:3]
	v_add_nc_u32_e32 v17, 32, v17
	v_dot4c_i32_i8 v56, v60, v43
	s_clause 0x2
	global_load_dwordx4 v[28:31], v[52:53], off
	global_load_dwordx4 v[40:43], v[52:53], off offset:16
	global_load_dwordx4 v[44:47], v[21:22], off offset:16
	s_waitcnt vmcnt(2)
	v_dot4c_i32_i8 v57, v36, v29
	v_cvt_f32_f16_e32 v34, v28
	s_waitcnt vmcnt(1)
	v_dot4c_i32_i8 v57, v61, v41
	v_mov_b32_e32 v41, 0
	v_dot4c_i32_i8 v57, v37, v30
	v_dot4c_i32_i8 v57, v62, v42
	v_cvt_f32_f16_e32 v42, v59
	v_dot4c_i32_i8 v57, v60, v31
	global_load_dwordx4 v[28:31], v[21:22], off
	v_mul_f32_e32 v25, v42, v25
	v_mul_f32_e32 v26, v42, v26
	s_waitcnt vmcnt(0)
	v_dot4c_i32_i8 v41, v36, v29
	v_lshrrev_b32_e32 v36, 1, v39
	v_ashrrev_i32_e32 v29, 4, v38
	v_cvt_f32_f16_e32 v28, v28
	v_dot4c_i32_i8 v41, v61, v45
	v_and_or_b32 v36, v36, s12, 0x3020100
	v_bfe_u32 v45, v58, v14, 4
	v_mul_f32_e32 v28, v42, v28
	v_dot4c_i32_i8 v41, v37, v30
	v_ashrrev_i32_e32 v30, 4, v39
	v_dot4c_i32_i8 v41, v62, v46
	v_dot4c_i32_i8 v41, v60, v31
	v_and_b32_e32 v31, 0x7070707, v39
	s_clause 0x3
	global_load_dword v37, v[48:49], off offset:32
	global_load_dword v38, v[50:51], off offset:32
	;; [unrolled: 1-line block ×4, first 2 shown]
	v_perm_b32 v22, s3, 0xbfad9881, v31
	v_perm_b32 v31, s11, 0x26190d01, v31
	;; [unrolled: 1-line block ×3, first 2 shown]
	v_and_b32_e32 v31, 0x7070707, v29
	v_lshrrev_b32_e32 v29, 1, v29
	v_perm_b32 v36, s3, 0xbfad9881, v31
	v_perm_b32 v31, s11, 0x26190d01, v31
	v_and_or_b32 v29, v29, s12, 0x3020100
	v_perm_b32 v29, v31, v36, v29
	v_and_b32_e32 v31, 0x7070707, v30
	v_lshrrev_b32_e32 v30, 1, v30
	v_dot4c_i32_i8 v54, v29, v27
	v_perm_b32 v36, s3, 0xbfad9881, v31
	v_perm_b32 v31, s11, 0x26190d01, v31
	v_and_or_b32 v30, v30, s12, 0x3020100
	v_dot4c_i32_i8 v55, v29, v35
	v_dot4c_i32_i8 v56, v29, v23
	v_dot4c_i32_i8 v57, v29, v43
	v_dot4c_i32_i8 v41, v29, v47
	v_perm_b32 v30, v31, v36, v30
	global_load_dword v31, v[5:6], off offset:16
	v_lshrrev_b32_sdwa v36, v15, v59 dst_sel:DWORD dst_unused:UNUSED_PAD src0_sel:DWORD src1_sel:WORD_1
	v_dot4c_i32_i8 v54, v22, v24
	v_dot4c_i32_i8 v55, v22, v32
	v_dot4c_i32_i8 v56, v22, v20
	v_dot4c_i32_i8 v57, v22, v40
	v_lshlrev_b32_e32 v36, 4, v36
	v_dot4c_i32_i8 v41, v22, v44
	v_mul_f32_e32 v27, v42, v33
	v_mul_f32_e32 v29, v42, v34
	v_add_co_u32 v5, vcc_lo, 0x480, v5
	v_and_or_b32 v36, v36, 48, v45
	v_add_co_ci_u32_e64 v6, null, 0, v6, vcc_lo
	v_cmp_le_u32_e32 vcc_lo, s10, v11
	v_subrev_nc_u32_e32 v36, 32, v36
	s_or_b32 s1, vcc_lo, s1
	s_waitcnt vmcnt(4)
	v_dot4c_i32_i8 v55, v30, v37
	s_waitcnt vmcnt(3)
	v_dot4c_i32_i8 v56, v30, v38
	;; [unrolled: 2-line block ×4, first 2 shown]
	v_mul_lo_u32 v21, v36, v55
	v_mul_lo_u32 v22, v36, v56
	;; [unrolled: 1-line block ×4, first 2 shown]
	v_cvt_f32_i32_e32 v21, v21
	v_cvt_f32_i32_e32 v22, v22
	;; [unrolled: 1-line block ×4, first 2 shown]
	v_fmac_f32_e32 v10, v26, v21
	v_fmac_f32_e32 v9, v27, v22
	v_fmac_f32_e32 v8, v29, v23
	v_fmac_f32_e32 v7, v28, v24
	s_waitcnt vmcnt(0)
	v_dot4c_i32_i8 v54, v30, v31
	v_mul_lo_u32 v20, v36, v54
	v_cvt_f32_i32_e32 v20, v20
	v_fmac_f32_e32 v12, v25, v20
	s_andn2_b32 exec_lo, exec_lo, s1
	s_cbranch_execnz .LBB248_2
; %bb.3:
	s_or_b32 exec_lo, exec_lo, s1
.LBB248_4:
	s_or_b32 exec_lo, exec_lo, s9
	s_mov_b32 s1, 0
	; wave barrier
	buffer_gl0_inv
	s_mov_b32 s0, exec_lo
	v_cmpx_eq_u32_e32 0, v1
	s_cbranch_execz .LBB248_15
; %bb.5:
	v_mbcnt_lo_u32_b32 v5, -1, 0
	s_load_dwordx2 s[4:5], s[4:5], 0x38
	s_mul_i32 s0, s14, s7
	s_mul_i32 s3, s18, s8
	s_add_i32 s0, s0, s6
	v_xor_b32_e32 v1, 16, v5
	v_xor_b32_e32 v2, 8, v5
	s_add_i32 s0, s0, s3
	s_lshl_b64 s[0:1], s[0:1], 2
	v_cmp_gt_i32_e32 vcc_lo, 32, v1
	v_cndmask_b32_e32 v1, v5, v1, vcc_lo
	v_cmp_gt_i32_e32 vcc_lo, 32, v2
	v_lshlrev_b32_e32 v1, 2, v1
	v_cndmask_b32_e32 v2, v5, v2, vcc_lo
	s_waitcnt lgkmcnt(0)
	s_add_u32 s0, s4, s0
	s_addc_u32 s1, s5, s1
	ds_bpermute_b32 v3, v1, v12
	v_lshlrev_b32_e32 v2, 2, v2
	s_waitcnt lgkmcnt(0)
	v_add_f32_e32 v4, v12, v3
	v_xor_b32_e32 v3, 4, v5
	v_xor_b32_e32 v12, 1, v5
	ds_bpermute_b32 v6, v2, v4
	v_cmp_gt_i32_e32 vcc_lo, 32, v3
	v_cndmask_b32_e32 v3, v5, v3, vcc_lo
	v_lshlrev_b32_e32 v3, 2, v3
	s_waitcnt lgkmcnt(0)
	v_add_f32_e32 v6, v4, v6
	v_xor_b32_e32 v4, 2, v5
	ds_bpermute_b32 v11, v3, v6
	v_cmp_gt_i32_e32 vcc_lo, 32, v4
	v_cndmask_b32_e32 v4, v5, v4, vcc_lo
	v_cmp_gt_i32_e32 vcc_lo, 32, v12
	v_lshlrev_b32_e32 v4, 2, v4
	v_cndmask_b32_e32 v5, v5, v12, vcc_lo
	v_cmp_eq_u32_e32 vcc_lo, 0, v0
	v_lshlrev_b32_e32 v5, 2, v5
	s_waitcnt lgkmcnt(0)
	v_add_f32_e32 v6, v6, v11
	ds_bpermute_b32 v11, v4, v6
	s_waitcnt lgkmcnt(0)
	v_add_f32_e32 v6, v6, v11
	ds_bpermute_b32 v11, v5, v6
	s_and_saveexec_b32 s3, vcc_lo
	s_cbranch_execz .LBB248_7
; %bb.6:
	s_waitcnt lgkmcnt(0)
	v_add_f32_e32 v0, v6, v11
	v_mov_b32_e32 v6, 0
	global_store_dword v6, v0, s[0:1]
.LBB248_7:
	s_or_b32 exec_lo, exec_lo, s3
	ds_bpermute_b32 v0, v1, v10
	s_waitcnt lgkmcnt(0)
	v_add_f32_e32 v0, v10, v0
	ds_bpermute_b32 v6, v2, v0
	s_waitcnt lgkmcnt(0)
	v_add_f32_e32 v0, v0, v6
	;; [unrolled: 3-line block ×4, first 2 shown]
	ds_bpermute_b32 v6, v5, v0
	s_and_saveexec_b32 s4, vcc_lo
	s_cbranch_execz .LBB248_9
; %bb.8:
	s_mov_b32 s3, 0
	s_waitcnt lgkmcnt(0)
	v_add_f32_e32 v0, v0, v6
	s_lshl_b64 s[6:7], s[2:3], 2
	v_mov_b32_e32 v6, 0
	s_add_u32 s6, s0, s6
	s_addc_u32 s7, s1, s7
	global_store_dword v6, v0, s[6:7]
.LBB248_9:
	s_or_b32 exec_lo, exec_lo, s4
	ds_bpermute_b32 v0, v1, v9
	s_waitcnt lgkmcnt(0)
	v_add_f32_e32 v0, v9, v0
	ds_bpermute_b32 v6, v2, v0
	s_waitcnt lgkmcnt(0)
	v_add_f32_e32 v0, v0, v6
	;; [unrolled: 3-line block ×4, first 2 shown]
	ds_bpermute_b32 v6, v5, v0
	s_and_saveexec_b32 s3, vcc_lo
	s_cbranch_execz .LBB248_11
; %bb.10:
	s_lshl_b32 s4, s2, 1
	s_mov_b32 s5, 0
	s_waitcnt lgkmcnt(0)
	v_add_f32_e32 v0, v0, v6
	s_lshl_b64 s[4:5], s[4:5], 2
	v_mov_b32_e32 v6, 0
	s_add_u32 s4, s0, s4
	s_addc_u32 s5, s1, s5
	global_store_dword v6, v0, s[4:5]
.LBB248_11:
	s_or_b32 exec_lo, exec_lo, s3
	ds_bpermute_b32 v0, v1, v8
	s_waitcnt lgkmcnt(0)
	v_add_f32_e32 v0, v8, v0
	ds_bpermute_b32 v6, v2, v0
	s_waitcnt lgkmcnt(0)
	v_add_f32_e32 v0, v0, v6
	;; [unrolled: 3-line block ×4, first 2 shown]
	ds_bpermute_b32 v6, v5, v0
	s_and_saveexec_b32 s3, vcc_lo
	s_cbranch_execz .LBB248_13
; %bb.12:
	s_mul_i32 s4, s2, 3
	s_mov_b32 s5, 0
	s_waitcnt lgkmcnt(0)
	v_add_f32_e32 v0, v0, v6
	s_lshl_b64 s[4:5], s[4:5], 2
	v_mov_b32_e32 v6, 0
	s_add_u32 s4, s0, s4
	s_addc_u32 s5, s1, s5
	global_store_dword v6, v0, s[4:5]
.LBB248_13:
	s_or_b32 exec_lo, exec_lo, s3
	ds_bpermute_b32 v0, v1, v7
	s_waitcnt lgkmcnt(0)
	v_add_f32_e32 v0, v7, v0
	ds_bpermute_b32 v1, v2, v0
	s_waitcnt lgkmcnt(0)
	v_add_f32_e32 v0, v0, v1
	ds_bpermute_b32 v1, v3, v0
	s_waitcnt lgkmcnt(0)
	v_add_f32_e32 v0, v0, v1
	ds_bpermute_b32 v1, v4, v0
	s_waitcnt lgkmcnt(0)
	v_add_f32_e32 v0, v0, v1
	ds_bpermute_b32 v1, v5, v0
	s_and_b32 exec_lo, exec_lo, vcc_lo
	s_cbranch_execz .LBB248_15
; %bb.14:
	s_lshl_b32 s2, s2, 2
	s_mov_b32 s3, 0
	s_waitcnt lgkmcnt(0)
	v_add_f32_e32 v0, v0, v1
	s_lshl_b64 s[2:3], s[2:3], 2
	v_mov_b32_e32 v1, 0
	s_add_u32 s0, s0, s2
	s_addc_u32 s1, s1, s3
	global_store_dword v1, v0, s[0:1]
.LBB248_15:
	s_endpgm
	.section	.rodata,"a",@progbits
	.p2align	6, 0x0
	.amdhsa_kernel _ZL13mul_mat_vec_qIL9ggml_type23ELi5ELb0ELb0EEvPKvS2_PKi31ggml_cuda_mm_fusion_args_devicePfj15HIP_vector_typeIjLj3EEjjjS8_jjjS8_jjjj
		.amdhsa_group_segment_fixed_size 0
		.amdhsa_private_segment_fixed_size 0
		.amdhsa_kernarg_size 144
		.amdhsa_user_sgpr_count 6
		.amdhsa_user_sgpr_private_segment_buffer 1
		.amdhsa_user_sgpr_dispatch_ptr 0
		.amdhsa_user_sgpr_queue_ptr 0
		.amdhsa_user_sgpr_kernarg_segment_ptr 1
		.amdhsa_user_sgpr_dispatch_id 0
		.amdhsa_user_sgpr_flat_scratch_init 0
		.amdhsa_user_sgpr_private_segment_size 0
		.amdhsa_wavefront_size32 1
		.amdhsa_uses_dynamic_stack 0
		.amdhsa_system_sgpr_private_segment_wavefront_offset 0
		.amdhsa_system_sgpr_workgroup_id_x 1
		.amdhsa_system_sgpr_workgroup_id_y 1
		.amdhsa_system_sgpr_workgroup_id_z 1
		.amdhsa_system_sgpr_workgroup_info 0
		.amdhsa_system_vgpr_workitem_id 1
		.amdhsa_next_free_vgpr 63
		.amdhsa_next_free_sgpr 28
		.amdhsa_reserve_vcc 1
		.amdhsa_reserve_flat_scratch 0
		.amdhsa_float_round_mode_32 0
		.amdhsa_float_round_mode_16_64 0
		.amdhsa_float_denorm_mode_32 3
		.amdhsa_float_denorm_mode_16_64 3
		.amdhsa_dx10_clamp 1
		.amdhsa_ieee_mode 1
		.amdhsa_fp16_overflow 0
		.amdhsa_workgroup_processor_mode 1
		.amdhsa_memory_ordered 1
		.amdhsa_forward_progress 1
		.amdhsa_shared_vgpr_count 0
		.amdhsa_exception_fp_ieee_invalid_op 0
		.amdhsa_exception_fp_denorm_src 0
		.amdhsa_exception_fp_ieee_div_zero 0
		.amdhsa_exception_fp_ieee_overflow 0
		.amdhsa_exception_fp_ieee_underflow 0
		.amdhsa_exception_fp_ieee_inexact 0
		.amdhsa_exception_int_div_zero 0
	.end_amdhsa_kernel
	.section	.text._ZL13mul_mat_vec_qIL9ggml_type23ELi5ELb0ELb0EEvPKvS2_PKi31ggml_cuda_mm_fusion_args_devicePfj15HIP_vector_typeIjLj3EEjjjS8_jjjS8_jjjj,"axG",@progbits,_ZL13mul_mat_vec_qIL9ggml_type23ELi5ELb0ELb0EEvPKvS2_PKi31ggml_cuda_mm_fusion_args_devicePfj15HIP_vector_typeIjLj3EEjjjS8_jjjS8_jjjj,comdat
.Lfunc_end248:
	.size	_ZL13mul_mat_vec_qIL9ggml_type23ELi5ELb0ELb0EEvPKvS2_PKi31ggml_cuda_mm_fusion_args_devicePfj15HIP_vector_typeIjLj3EEjjjS8_jjjS8_jjjj, .Lfunc_end248-_ZL13mul_mat_vec_qIL9ggml_type23ELi5ELb0ELb0EEvPKvS2_PKi31ggml_cuda_mm_fusion_args_devicePfj15HIP_vector_typeIjLj3EEjjjS8_jjjS8_jjjj
                                        ; -- End function
	.set _ZL13mul_mat_vec_qIL9ggml_type23ELi5ELb0ELb0EEvPKvS2_PKi31ggml_cuda_mm_fusion_args_devicePfj15HIP_vector_typeIjLj3EEjjjS8_jjjS8_jjjj.num_vgpr, 63
	.set _ZL13mul_mat_vec_qIL9ggml_type23ELi5ELb0ELb0EEvPKvS2_PKi31ggml_cuda_mm_fusion_args_devicePfj15HIP_vector_typeIjLj3EEjjjS8_jjjS8_jjjj.num_agpr, 0
	.set _ZL13mul_mat_vec_qIL9ggml_type23ELi5ELb0ELb0EEvPKvS2_PKi31ggml_cuda_mm_fusion_args_devicePfj15HIP_vector_typeIjLj3EEjjjS8_jjjS8_jjjj.numbered_sgpr, 28
	.set _ZL13mul_mat_vec_qIL9ggml_type23ELi5ELb0ELb0EEvPKvS2_PKi31ggml_cuda_mm_fusion_args_devicePfj15HIP_vector_typeIjLj3EEjjjS8_jjjS8_jjjj.num_named_barrier, 0
	.set _ZL13mul_mat_vec_qIL9ggml_type23ELi5ELb0ELb0EEvPKvS2_PKi31ggml_cuda_mm_fusion_args_devicePfj15HIP_vector_typeIjLj3EEjjjS8_jjjS8_jjjj.private_seg_size, 0
	.set _ZL13mul_mat_vec_qIL9ggml_type23ELi5ELb0ELb0EEvPKvS2_PKi31ggml_cuda_mm_fusion_args_devicePfj15HIP_vector_typeIjLj3EEjjjS8_jjjS8_jjjj.uses_vcc, 1
	.set _ZL13mul_mat_vec_qIL9ggml_type23ELi5ELb0ELb0EEvPKvS2_PKi31ggml_cuda_mm_fusion_args_devicePfj15HIP_vector_typeIjLj3EEjjjS8_jjjS8_jjjj.uses_flat_scratch, 0
	.set _ZL13mul_mat_vec_qIL9ggml_type23ELi5ELb0ELb0EEvPKvS2_PKi31ggml_cuda_mm_fusion_args_devicePfj15HIP_vector_typeIjLj3EEjjjS8_jjjS8_jjjj.has_dyn_sized_stack, 0
	.set _ZL13mul_mat_vec_qIL9ggml_type23ELi5ELb0ELb0EEvPKvS2_PKi31ggml_cuda_mm_fusion_args_devicePfj15HIP_vector_typeIjLj3EEjjjS8_jjjS8_jjjj.has_recursion, 0
	.set _ZL13mul_mat_vec_qIL9ggml_type23ELi5ELb0ELb0EEvPKvS2_PKi31ggml_cuda_mm_fusion_args_devicePfj15HIP_vector_typeIjLj3EEjjjS8_jjjS8_jjjj.has_indirect_call, 0
	.section	.AMDGPU.csdata,"",@progbits
; Kernel info:
; codeLenInByte = 2288
; TotalNumSgprs: 30
; NumVgprs: 63
; ScratchSize: 0
; MemoryBound: 0
; FloatMode: 240
; IeeeMode: 1
; LDSByteSize: 0 bytes/workgroup (compile time only)
; SGPRBlocks: 0
; VGPRBlocks: 7
; NumSGPRsForWavesPerEU: 30
; NumVGPRsForWavesPerEU: 63
; Occupancy: 16
; WaveLimiterHint : 0
; COMPUTE_PGM_RSRC2:SCRATCH_EN: 0
; COMPUTE_PGM_RSRC2:USER_SGPR: 6
; COMPUTE_PGM_RSRC2:TRAP_HANDLER: 0
; COMPUTE_PGM_RSRC2:TGID_X_EN: 1
; COMPUTE_PGM_RSRC2:TGID_Y_EN: 1
; COMPUTE_PGM_RSRC2:TGID_Z_EN: 1
; COMPUTE_PGM_RSRC2:TIDIG_COMP_CNT: 1
	.section	.text._ZL13mul_mat_vec_qIL9ggml_type23ELi6ELb0ELb0EEvPKvS2_PKi31ggml_cuda_mm_fusion_args_devicePfj15HIP_vector_typeIjLj3EEjjjS8_jjjS8_jjjj,"axG",@progbits,_ZL13mul_mat_vec_qIL9ggml_type23ELi6ELb0ELb0EEvPKvS2_PKi31ggml_cuda_mm_fusion_args_devicePfj15HIP_vector_typeIjLj3EEjjjS8_jjjS8_jjjj,comdat
	.globl	_ZL13mul_mat_vec_qIL9ggml_type23ELi6ELb0ELb0EEvPKvS2_PKi31ggml_cuda_mm_fusion_args_devicePfj15HIP_vector_typeIjLj3EEjjjS8_jjjS8_jjjj ; -- Begin function _ZL13mul_mat_vec_qIL9ggml_type23ELi6ELb0ELb0EEvPKvS2_PKi31ggml_cuda_mm_fusion_args_devicePfj15HIP_vector_typeIjLj3EEjjjS8_jjjS8_jjjj
	.p2align	8
	.type	_ZL13mul_mat_vec_qIL9ggml_type23ELi6ELb0ELb0EEvPKvS2_PKi31ggml_cuda_mm_fusion_args_devicePfj15HIP_vector_typeIjLj3EEjjjS8_jjjS8_jjjj,@function
_ZL13mul_mat_vec_qIL9ggml_type23ELi6ELb0ELb0EEvPKvS2_PKi31ggml_cuda_mm_fusion_args_devicePfj15HIP_vector_typeIjLj3EEjjjS8_jjjS8_jjjj: ; @_ZL13mul_mat_vec_qIL9ggml_type23ELi6ELb0ELb0EEvPKvS2_PKi31ggml_cuda_mm_fusion_args_devicePfj15HIP_vector_typeIjLj3EEjjjS8_jjjS8_jjjj
; %bb.0:
	s_clause 0x5
	s_load_dword s9, s[4:5], 0x40
	s_load_dwordx4 s[0:3], s[4:5], 0x50
	s_load_dword s11, s[4:5], 0x60
	s_load_dwordx4 s[12:15], s[4:5], 0x68
	;; [unrolled: 2-line block ×3, first 2 shown]
	v_lshl_or_b32 v2, v1, 5, v0
	v_mov_b32_e32 v8, 0
	v_mov_b32_e32 v9, 0
	;; [unrolled: 1-line block ×4, first 2 shown]
	v_lshrrev_b32_e32 v13, 3, v2
	v_mov_b32_e32 v12, 0
	v_mov_b32_e32 v14, 0
	s_waitcnt lgkmcnt(0)
	s_lshr_b32 s10, s9, 8
	s_mov_b32 s9, exec_lo
	v_cmpx_gt_u32_e64 s10, v13
	s_cbranch_execz .LBB249_4
; %bb.1:
	s_load_dwordx4 s[20:23], s[4:5], 0x0
	s_mul_i32 s13, s13, s7
	s_mul_hi_u32 s3, s3, s7
	s_mul_hi_u32 s27, s13, 36
	s_mul_i32 s26, s13, 36
	s_mul_hi_u32 s15, s15, s8
	v_mad_u64_u32 v[2:3], null, 0x120, v13, s[26:27]
	s_mul_i32 s17, s17, s8
	s_add_i32 s3, s7, s3
	s_add_i32 s15, s8, s15
	s_mul_i32 s25, s17, 36
	s_lshr_b32 s3, s3, s11
	s_mul_hi_u32 s19, s17, 36
	v_mad_u64_u32 v[4:5], null, s17, 36, v[2:3]
	s_lshr_b32 s11, s15, s24
	s_mul_i32 s3, s3, s12
	v_and_b32_e32 v9, 7, v0
	v_mov_b32_e32 v8, 0
	s_waitcnt lgkmcnt(0)
	s_add_u32 s12, s22, s25
	s_addc_u32 s13, s23, s19
	s_add_u32 s12, s12, s26
	s_addc_u32 s13, s13, s27
	v_lshlrev_b32_e32 v7, 3, v13
	v_mad_u64_u32 v[2:3], null, v9, 36, s[12:13]
	v_mad_u64_u32 v[9:10], null, v9, 36, v[4:5]
	v_lshlrev_b32_e32 v6, 2, v0
	v_mad_u64_u32 v[4:5], null, s1, 5, v[7:8]
	s_mul_i32 s0, s0, s6
	v_add_nc_u32_e32 v18, s1, v7
	v_and_b32_e32 v11, 28, v6
	v_bfe_u32 v15, v6, 3, 2
	v_and_b32_e32 v16, 4, v6
	v_mad_u64_u32 v[5:6], null, s1, 3, v[7:8]
	v_add_co_u32 v6, vcc_lo, s22, v9
	v_add_co_ci_u32_e64 v9, null, s23, v10, vcc_lo
	v_lshrrev_b32_e32 v17, 1, v11
	v_add_co_u32 v6, vcc_lo, v6, 16
	v_lshl_add_u32 v19, s1, 2, v7
	v_lshl_add_u32 v20, s1, 1, v7
	v_add_co_ci_u32_e64 v7, null, 0, v9, vcc_lo
	v_lshlrev_b32_e32 v21, 2, v11
	v_mov_b32_e32 v9, 0
	v_mov_b32_e32 v10, 0
	;; [unrolled: 1-line block ×5, first 2 shown]
	s_mul_i32 s11, s11, s16
	s_add_i32 s3, s3, s0
	s_mov_b32 s1, 0
	s_add_i32 s0, s11, s3
	s_mov_b32 s3, 0xf6eaddcf
	s_mov_b32 s11, 0x71594535
	;; [unrolled: 1-line block ×3, first 2 shown]
.LBB249_2:                              ; =>This Inner Loop Header: Depth=1
	v_add_nc_u32_e32 v22, s0, v13
	v_mov_b32_e32 v41, 0
	v_add_nc_u32_e32 v13, 4, v13
	v_mad_i64_i32 v[26:27], null, 0x88, v22, s[20:21]
	v_add_co_u32 v22, vcc_lo, v26, v21
	v_add_co_ci_u32_e64 v23, null, 0, v27, vcc_lo
	global_load_dwordx4 v[22:25], v[22:23], off offset:8
	s_waitcnt vmcnt(0)
	v_ashrrev_i32_e32 v28, 4, v22
	v_and_b32_e32 v29, 0x7070707, v22
	v_lshrrev_b32_e32 v22, 1, v22
	v_and_b32_e32 v31, 0x7070707, v28
	v_perm_b32 v30, s3, 0xbfad9881, v29
	v_perm_b32 v29, s11, 0x26190d01, v29
	v_and_or_b32 v22, v22, s12, 0x3020100
	v_perm_b32 v32, s3, 0xbfad9881, v31
	v_perm_b32 v31, s11, 0x26190d01, v31
	;; [unrolled: 1-line block ×3, first 2 shown]
	v_lshrrev_b32_e32 v22, 1, v28
	v_and_b32_e32 v28, 0x7070707, v23
	v_and_or_b32 v22, v22, s12, 0x3020100
	v_perm_b32 v29, s3, 0xbfad9881, v28
	v_perm_b32 v28, s11, 0x26190d01, v28
	;; [unrolled: 1-line block ×3, first 2 shown]
	v_ashrrev_i32_e32 v22, 4, v23
	v_lshrrev_b32_e32 v23, 1, v23
	v_and_b32_e32 v32, 0x7070707, v22
	v_lshrrev_b32_e32 v22, 1, v22
	v_and_or_b32 v23, v23, s12, 0x3020100
	v_perm_b32 v33, s3, 0xbfad9881, v32
	v_perm_b32 v32, s11, 0x26190d01, v32
	v_and_or_b32 v22, v22, s12, 0x3020100
	v_perm_b32 v34, v28, v29, v23
	v_and_b32_e32 v23, 0x7070707, v24
	v_perm_b32 v32, v32, v33, v22
	v_ashrrev_i32_e32 v22, 4, v24
	v_lshrrev_b32_e32 v24, 1, v24
	v_perm_b32 v28, s3, 0xbfad9881, v23
	v_perm_b32 v23, s11, 0x26190d01, v23
	v_and_b32_e32 v29, 0x7070707, v22
	v_lshrrev_b32_e32 v22, 1, v22
	v_and_or_b32 v24, v24, s12, 0x3020100
	v_perm_b32 v33, s3, 0xbfad9881, v29
	v_perm_b32 v29, s11, 0x26190d01, v29
	v_and_or_b32 v22, v22, s12, 0x3020100
	v_perm_b32 v35, v23, v28, v24
	v_and_b32_e32 v23, 0x7070707, v25
	v_perm_b32 v33, v29, v33, v22
	v_ashrrev_i32_e32 v22, 4, v25
	v_lshrrev_b32_e32 v25, 1, v25
	v_perm_b32 v24, s3, 0xbfad9881, v23
	v_perm_b32 v23, s11, 0x26190d01, v23
	v_and_b32_e32 v28, 0x7070707, v22
	v_lshrrev_b32_e32 v22, 1, v22
	v_and_or_b32 v25, v25, s12, 0x3020100
	v_perm_b32 v29, s3, 0xbfad9881, v28
	v_perm_b32 v28, s11, 0x26190d01, v28
	v_and_or_b32 v22, v22, s12, 0x3020100
	v_perm_b32 v36, v23, v24, v25
	v_perm_b32 v37, v28, v29, v22
	v_add_co_u32 v22, vcc_lo, v26, v15
	v_add_co_ci_u32_e64 v23, null, 0, v27, vcc_lo
	s_clause 0x1
	global_load_ubyte v22, v[22:23], off offset:4
	global_load_dword v23, v[26:27], off
	s_waitcnt vmcnt(1)
	v_bfe_u32 v22, v22, v16, 4
	s_waitcnt vmcnt(0)
	v_lshrrev_b32_sdwa v24, v17, v23 dst_sel:DWORD dst_unused:UNUSED_PAD src0_sel:DWORD src1_sel:WORD_1
	v_cvt_f32_f16_e32 v39, v23
	v_lshlrev_b32_e32 v24, 4, v24
	v_and_or_b32 v22, v24, 48, v22
	v_subrev_nc_u32_e32 v38, 32, v22
	s_clause 0x2
	global_load_dwordx4 v[22:25], v[6:7], off offset:-16
	global_load_dword v40, v[6:7], off offset:16
	global_load_dwordx4 v[26:29], v[6:7], off
	v_add_co_u32 v6, vcc_lo, 0x480, v6
	v_add_co_ci_u32_e64 v7, null, 0, v7, vcc_lo
	v_cmp_le_u32_e32 vcc_lo, s10, v13
	s_or_b32 s1, vcc_lo, s1
	s_waitcnt vmcnt(2)
	v_dot4c_i32_i8 v41, v30, v23
	v_cvt_f32_f16_e32 v22, v22
	s_waitcnt vmcnt(0)
	v_dot4c_i32_i8 v41, v31, v27
	v_mul_f32_e32 v22, v39, v22
	v_dot4c_i32_i8 v41, v34, v24
	v_dot4c_i32_i8 v41, v32, v28
	v_dot4c_i32_i8 v41, v35, v25
	v_dot4c_i32_i8 v41, v33, v29
	v_dot4c_i32_i8 v41, v36, v26
	v_mad_u64_u32 v[26:27], null, v18, 36, v[2:3]
	v_add_nc_u32_e32 v18, 32, v18
	v_dot4c_i32_i8 v41, v37, v40
	v_mul_lo_u32 v23, v38, v41
	v_mov_b32_e32 v41, 0
	v_cvt_f32_i32_e32 v23, v23
	v_fmac_f32_e32 v14, v22, v23
	s_clause 0x2
	global_load_dwordx4 v[22:25], v[26:27], off
	global_load_dword v40, v[26:27], off offset:32
	global_load_dwordx4 v[26:29], v[26:27], off offset:16
	s_waitcnt vmcnt(2)
	v_dot4c_i32_i8 v41, v30, v23
	v_cvt_f32_f16_e32 v22, v22
	s_waitcnt vmcnt(0)
	v_dot4c_i32_i8 v41, v31, v27
	v_mul_f32_e32 v22, v39, v22
	v_dot4c_i32_i8 v41, v34, v24
	v_dot4c_i32_i8 v41, v32, v28
	v_dot4c_i32_i8 v41, v35, v25
	v_dot4c_i32_i8 v41, v33, v29
	v_dot4c_i32_i8 v41, v36, v26
	v_mad_u64_u32 v[26:27], null, v20, 36, v[2:3]
	v_add_nc_u32_e32 v20, 32, v20
	v_dot4c_i32_i8 v41, v37, v40
	v_mul_lo_u32 v23, v38, v41
	v_mov_b32_e32 v41, 0
	v_cvt_f32_i32_e32 v23, v23
	v_fmac_f32_e32 v12, v22, v23
	s_clause 0x2
	global_load_dwordx4 v[22:25], v[26:27], off
	global_load_dword v40, v[26:27], off offset:32
	global_load_dwordx4 v[26:29], v[26:27], off offset:16
	;; [unrolled: 22-line block ×5, first 2 shown]
	s_waitcnt vmcnt(2)
	v_dot4c_i32_i8 v41, v30, v23
	v_cvt_f32_f16_e32 v22, v22
	s_waitcnt vmcnt(0)
	v_dot4c_i32_i8 v41, v31, v27
	v_mul_f32_e32 v22, v39, v22
	v_dot4c_i32_i8 v41, v34, v24
	v_dot4c_i32_i8 v41, v32, v28
	;; [unrolled: 1-line block ×6, first 2 shown]
	v_mul_lo_u32 v23, v38, v41
	v_cvt_f32_i32_e32 v23, v23
	v_fmac_f32_e32 v8, v22, v23
	s_andn2_b32 exec_lo, exec_lo, s1
	s_cbranch_execnz .LBB249_2
; %bb.3:
	s_or_b32 exec_lo, exec_lo, s1
.LBB249_4:
	s_or_b32 exec_lo, exec_lo, s9
	s_mov_b32 s1, 0
	; wave barrier
	buffer_gl0_inv
	s_mov_b32 s0, exec_lo
	v_cmpx_eq_u32_e32 0, v1
	s_cbranch_execz .LBB249_17
; %bb.5:
	v_mbcnt_lo_u32_b32 v5, -1, 0
	s_load_dwordx2 s[4:5], s[4:5], 0x38
	s_mul_i32 s0, s14, s7
	s_mul_i32 s3, s18, s8
	s_add_i32 s0, s0, s6
	v_xor_b32_e32 v1, 16, v5
	v_xor_b32_e32 v2, 8, v5
	;; [unrolled: 1-line block ×3, first 2 shown]
	s_add_i32 s0, s0, s3
	s_lshl_b64 s[0:1], s[0:1], 2
	v_cmp_gt_i32_e32 vcc_lo, 32, v1
	v_cndmask_b32_e32 v1, v5, v1, vcc_lo
	v_cmp_gt_i32_e32 vcc_lo, 32, v2
	v_lshlrev_b32_e32 v1, 2, v1
	v_cndmask_b32_e32 v2, v5, v2, vcc_lo
	s_waitcnt lgkmcnt(0)
	s_add_u32 s0, s4, s0
	s_addc_u32 s1, s5, s1
	ds_bpermute_b32 v3, v1, v14
	v_lshlrev_b32_e32 v2, 2, v2
	s_waitcnt lgkmcnt(0)
	v_add_f32_e32 v4, v14, v3
	v_xor_b32_e32 v3, 4, v5
	ds_bpermute_b32 v6, v2, v4
	v_cmp_gt_i32_e32 vcc_lo, 32, v3
	v_cndmask_b32_e32 v3, v5, v3, vcc_lo
	v_lshlrev_b32_e32 v3, 2, v3
	s_waitcnt lgkmcnt(0)
	v_add_f32_e32 v6, v4, v6
	v_xor_b32_e32 v4, 2, v5
	ds_bpermute_b32 v7, v3, v6
	v_cmp_gt_i32_e32 vcc_lo, 32, v4
	v_cndmask_b32_e32 v4, v5, v4, vcc_lo
	v_cmp_gt_i32_e32 vcc_lo, 32, v13
	v_lshlrev_b32_e32 v4, 2, v4
	v_cndmask_b32_e32 v5, v5, v13, vcc_lo
	v_cmp_eq_u32_e32 vcc_lo, 0, v0
	v_lshlrev_b32_e32 v5, 2, v5
	s_waitcnt lgkmcnt(0)
	v_add_f32_e32 v6, v6, v7
	ds_bpermute_b32 v7, v4, v6
	s_waitcnt lgkmcnt(0)
	v_add_f32_e32 v6, v6, v7
	ds_bpermute_b32 v7, v5, v6
	s_and_saveexec_b32 s3, vcc_lo
	s_cbranch_execz .LBB249_7
; %bb.6:
	s_waitcnt lgkmcnt(0)
	v_add_f32_e32 v0, v6, v7
	v_mov_b32_e32 v6, 0
	global_store_dword v6, v0, s[0:1]
.LBB249_7:
	s_or_b32 exec_lo, exec_lo, s3
	ds_bpermute_b32 v0, v1, v12
	s_waitcnt lgkmcnt(0)
	v_add_f32_e32 v0, v12, v0
	ds_bpermute_b32 v6, v2, v0
	s_waitcnt lgkmcnt(0)
	v_add_f32_e32 v0, v0, v6
	;; [unrolled: 3-line block ×4, first 2 shown]
	ds_bpermute_b32 v6, v5, v0
	s_and_saveexec_b32 s4, vcc_lo
	s_cbranch_execz .LBB249_9
; %bb.8:
	s_mov_b32 s3, 0
	s_waitcnt lgkmcnt(0)
	v_add_f32_e32 v0, v0, v6
	s_lshl_b64 s[6:7], s[2:3], 2
	v_mov_b32_e32 v6, 0
	s_add_u32 s6, s0, s6
	s_addc_u32 s7, s1, s7
	global_store_dword v6, v0, s[6:7]
.LBB249_9:
	s_or_b32 exec_lo, exec_lo, s4
	ds_bpermute_b32 v0, v1, v11
	s_waitcnt lgkmcnt(0)
	v_add_f32_e32 v0, v11, v0
	ds_bpermute_b32 v6, v2, v0
	s_waitcnt lgkmcnt(0)
	v_add_f32_e32 v0, v0, v6
	ds_bpermute_b32 v6, v3, v0
	s_waitcnt lgkmcnt(0)
	v_add_f32_e32 v0, v0, v6
	ds_bpermute_b32 v6, v4, v0
	s_waitcnt lgkmcnt(0)
	v_add_f32_e32 v0, v0, v6
	ds_bpermute_b32 v6, v5, v0
	s_and_saveexec_b32 s3, vcc_lo
	s_cbranch_execz .LBB249_11
; %bb.10:
	s_lshl_b32 s4, s2, 1
	s_mov_b32 s5, 0
	s_waitcnt lgkmcnt(0)
	v_add_f32_e32 v0, v0, v6
	s_lshl_b64 s[4:5], s[4:5], 2
	v_mov_b32_e32 v6, 0
	s_add_u32 s4, s0, s4
	s_addc_u32 s5, s1, s5
	global_store_dword v6, v0, s[4:5]
.LBB249_11:
	s_or_b32 exec_lo, exec_lo, s3
	ds_bpermute_b32 v0, v1, v10
	s_waitcnt lgkmcnt(0)
	v_add_f32_e32 v0, v10, v0
	ds_bpermute_b32 v6, v2, v0
	s_waitcnt lgkmcnt(0)
	v_add_f32_e32 v0, v0, v6
	;; [unrolled: 3-line block ×4, first 2 shown]
	ds_bpermute_b32 v6, v5, v0
	s_and_saveexec_b32 s3, vcc_lo
	s_cbranch_execz .LBB249_13
; %bb.12:
	s_mul_i32 s4, s2, 3
	s_mov_b32 s5, 0
	s_waitcnt lgkmcnt(0)
	v_add_f32_e32 v0, v0, v6
	s_lshl_b64 s[4:5], s[4:5], 2
	v_mov_b32_e32 v6, 0
	s_add_u32 s4, s0, s4
	s_addc_u32 s5, s1, s5
	global_store_dword v6, v0, s[4:5]
.LBB249_13:
	s_or_b32 exec_lo, exec_lo, s3
	ds_bpermute_b32 v0, v1, v9
	s_waitcnt lgkmcnt(0)
	v_add_f32_e32 v0, v9, v0
	ds_bpermute_b32 v6, v2, v0
	s_waitcnt lgkmcnt(0)
	v_add_f32_e32 v0, v0, v6
	;; [unrolled: 3-line block ×4, first 2 shown]
	ds_bpermute_b32 v6, v5, v0
	s_and_saveexec_b32 s3, vcc_lo
	s_cbranch_execz .LBB249_15
; %bb.14:
	s_lshl_b32 s4, s2, 2
	s_mov_b32 s5, 0
	s_waitcnt lgkmcnt(0)
	v_add_f32_e32 v0, v0, v6
	s_lshl_b64 s[4:5], s[4:5], 2
	v_mov_b32_e32 v6, 0
	s_add_u32 s4, s0, s4
	s_addc_u32 s5, s1, s5
	global_store_dword v6, v0, s[4:5]
.LBB249_15:
	s_or_b32 exec_lo, exec_lo, s3
	ds_bpermute_b32 v0, v1, v8
	s_waitcnt lgkmcnt(0)
	v_add_f32_e32 v0, v8, v0
	ds_bpermute_b32 v1, v2, v0
	s_waitcnt lgkmcnt(0)
	v_add_f32_e32 v0, v0, v1
	;; [unrolled: 3-line block ×4, first 2 shown]
	ds_bpermute_b32 v1, v5, v0
	s_and_b32 exec_lo, exec_lo, vcc_lo
	s_cbranch_execz .LBB249_17
; %bb.16:
	s_mul_i32 s2, s2, 5
	s_mov_b32 s3, 0
	s_waitcnt lgkmcnt(0)
	v_add_f32_e32 v0, v0, v1
	s_lshl_b64 s[2:3], s[2:3], 2
	v_mov_b32_e32 v1, 0
	s_add_u32 s0, s0, s2
	s_addc_u32 s1, s1, s3
	global_store_dword v1, v0, s[0:1]
.LBB249_17:
	s_endpgm
	.section	.rodata,"a",@progbits
	.p2align	6, 0x0
	.amdhsa_kernel _ZL13mul_mat_vec_qIL9ggml_type23ELi6ELb0ELb0EEvPKvS2_PKi31ggml_cuda_mm_fusion_args_devicePfj15HIP_vector_typeIjLj3EEjjjS8_jjjS8_jjjj
		.amdhsa_group_segment_fixed_size 0
		.amdhsa_private_segment_fixed_size 0
		.amdhsa_kernarg_size 144
		.amdhsa_user_sgpr_count 6
		.amdhsa_user_sgpr_private_segment_buffer 1
		.amdhsa_user_sgpr_dispatch_ptr 0
		.amdhsa_user_sgpr_queue_ptr 0
		.amdhsa_user_sgpr_kernarg_segment_ptr 1
		.amdhsa_user_sgpr_dispatch_id 0
		.amdhsa_user_sgpr_flat_scratch_init 0
		.amdhsa_user_sgpr_private_segment_size 0
		.amdhsa_wavefront_size32 1
		.amdhsa_uses_dynamic_stack 0
		.amdhsa_system_sgpr_private_segment_wavefront_offset 0
		.amdhsa_system_sgpr_workgroup_id_x 1
		.amdhsa_system_sgpr_workgroup_id_y 1
		.amdhsa_system_sgpr_workgroup_id_z 1
		.amdhsa_system_sgpr_workgroup_info 0
		.amdhsa_system_vgpr_workitem_id 1
		.amdhsa_next_free_vgpr 42
		.amdhsa_next_free_sgpr 28
		.amdhsa_reserve_vcc 1
		.amdhsa_reserve_flat_scratch 0
		.amdhsa_float_round_mode_32 0
		.amdhsa_float_round_mode_16_64 0
		.amdhsa_float_denorm_mode_32 3
		.amdhsa_float_denorm_mode_16_64 3
		.amdhsa_dx10_clamp 1
		.amdhsa_ieee_mode 1
		.amdhsa_fp16_overflow 0
		.amdhsa_workgroup_processor_mode 1
		.amdhsa_memory_ordered 1
		.amdhsa_forward_progress 1
		.amdhsa_shared_vgpr_count 0
		.amdhsa_exception_fp_ieee_invalid_op 0
		.amdhsa_exception_fp_denorm_src 0
		.amdhsa_exception_fp_ieee_div_zero 0
		.amdhsa_exception_fp_ieee_overflow 0
		.amdhsa_exception_fp_ieee_underflow 0
		.amdhsa_exception_fp_ieee_inexact 0
		.amdhsa_exception_int_div_zero 0
	.end_amdhsa_kernel
	.section	.text._ZL13mul_mat_vec_qIL9ggml_type23ELi6ELb0ELb0EEvPKvS2_PKi31ggml_cuda_mm_fusion_args_devicePfj15HIP_vector_typeIjLj3EEjjjS8_jjjS8_jjjj,"axG",@progbits,_ZL13mul_mat_vec_qIL9ggml_type23ELi6ELb0ELb0EEvPKvS2_PKi31ggml_cuda_mm_fusion_args_devicePfj15HIP_vector_typeIjLj3EEjjjS8_jjjS8_jjjj,comdat
.Lfunc_end249:
	.size	_ZL13mul_mat_vec_qIL9ggml_type23ELi6ELb0ELb0EEvPKvS2_PKi31ggml_cuda_mm_fusion_args_devicePfj15HIP_vector_typeIjLj3EEjjjS8_jjjS8_jjjj, .Lfunc_end249-_ZL13mul_mat_vec_qIL9ggml_type23ELi6ELb0ELb0EEvPKvS2_PKi31ggml_cuda_mm_fusion_args_devicePfj15HIP_vector_typeIjLj3EEjjjS8_jjjS8_jjjj
                                        ; -- End function
	.set _ZL13mul_mat_vec_qIL9ggml_type23ELi6ELb0ELb0EEvPKvS2_PKi31ggml_cuda_mm_fusion_args_devicePfj15HIP_vector_typeIjLj3EEjjjS8_jjjS8_jjjj.num_vgpr, 42
	.set _ZL13mul_mat_vec_qIL9ggml_type23ELi6ELb0ELb0EEvPKvS2_PKi31ggml_cuda_mm_fusion_args_devicePfj15HIP_vector_typeIjLj3EEjjjS8_jjjS8_jjjj.num_agpr, 0
	.set _ZL13mul_mat_vec_qIL9ggml_type23ELi6ELb0ELb0EEvPKvS2_PKi31ggml_cuda_mm_fusion_args_devicePfj15HIP_vector_typeIjLj3EEjjjS8_jjjS8_jjjj.numbered_sgpr, 28
	.set _ZL13mul_mat_vec_qIL9ggml_type23ELi6ELb0ELb0EEvPKvS2_PKi31ggml_cuda_mm_fusion_args_devicePfj15HIP_vector_typeIjLj3EEjjjS8_jjjS8_jjjj.num_named_barrier, 0
	.set _ZL13mul_mat_vec_qIL9ggml_type23ELi6ELb0ELb0EEvPKvS2_PKi31ggml_cuda_mm_fusion_args_devicePfj15HIP_vector_typeIjLj3EEjjjS8_jjjS8_jjjj.private_seg_size, 0
	.set _ZL13mul_mat_vec_qIL9ggml_type23ELi6ELb0ELb0EEvPKvS2_PKi31ggml_cuda_mm_fusion_args_devicePfj15HIP_vector_typeIjLj3EEjjjS8_jjjS8_jjjj.uses_vcc, 1
	.set _ZL13mul_mat_vec_qIL9ggml_type23ELi6ELb0ELb0EEvPKvS2_PKi31ggml_cuda_mm_fusion_args_devicePfj15HIP_vector_typeIjLj3EEjjjS8_jjjS8_jjjj.uses_flat_scratch, 0
	.set _ZL13mul_mat_vec_qIL9ggml_type23ELi6ELb0ELb0EEvPKvS2_PKi31ggml_cuda_mm_fusion_args_devicePfj15HIP_vector_typeIjLj3EEjjjS8_jjjS8_jjjj.has_dyn_sized_stack, 0
	.set _ZL13mul_mat_vec_qIL9ggml_type23ELi6ELb0ELb0EEvPKvS2_PKi31ggml_cuda_mm_fusion_args_devicePfj15HIP_vector_typeIjLj3EEjjjS8_jjjS8_jjjj.has_recursion, 0
	.set _ZL13mul_mat_vec_qIL9ggml_type23ELi6ELb0ELb0EEvPKvS2_PKi31ggml_cuda_mm_fusion_args_devicePfj15HIP_vector_typeIjLj3EEjjjS8_jjjS8_jjjj.has_indirect_call, 0
	.section	.AMDGPU.csdata,"",@progbits
; Kernel info:
; codeLenInByte = 2548
; TotalNumSgprs: 30
; NumVgprs: 42
; ScratchSize: 0
; MemoryBound: 0
; FloatMode: 240
; IeeeMode: 1
; LDSByteSize: 0 bytes/workgroup (compile time only)
; SGPRBlocks: 0
; VGPRBlocks: 5
; NumSGPRsForWavesPerEU: 30
; NumVGPRsForWavesPerEU: 42
; Occupancy: 16
; WaveLimiterHint : 0
; COMPUTE_PGM_RSRC2:SCRATCH_EN: 0
; COMPUTE_PGM_RSRC2:USER_SGPR: 6
; COMPUTE_PGM_RSRC2:TRAP_HANDLER: 0
; COMPUTE_PGM_RSRC2:TGID_X_EN: 1
; COMPUTE_PGM_RSRC2:TGID_Y_EN: 1
; COMPUTE_PGM_RSRC2:TGID_Z_EN: 1
; COMPUTE_PGM_RSRC2:TIDIG_COMP_CNT: 1
	.section	.text._ZL13mul_mat_vec_qIL9ggml_type23ELi7ELb0ELb0EEvPKvS2_PKi31ggml_cuda_mm_fusion_args_devicePfj15HIP_vector_typeIjLj3EEjjjS8_jjjS8_jjjj,"axG",@progbits,_ZL13mul_mat_vec_qIL9ggml_type23ELi7ELb0ELb0EEvPKvS2_PKi31ggml_cuda_mm_fusion_args_devicePfj15HIP_vector_typeIjLj3EEjjjS8_jjjS8_jjjj,comdat
	.globl	_ZL13mul_mat_vec_qIL9ggml_type23ELi7ELb0ELb0EEvPKvS2_PKi31ggml_cuda_mm_fusion_args_devicePfj15HIP_vector_typeIjLj3EEjjjS8_jjjS8_jjjj ; -- Begin function _ZL13mul_mat_vec_qIL9ggml_type23ELi7ELb0ELb0EEvPKvS2_PKi31ggml_cuda_mm_fusion_args_devicePfj15HIP_vector_typeIjLj3EEjjjS8_jjjS8_jjjj
	.p2align	8
	.type	_ZL13mul_mat_vec_qIL9ggml_type23ELi7ELb0ELb0EEvPKvS2_PKi31ggml_cuda_mm_fusion_args_devicePfj15HIP_vector_typeIjLj3EEjjjS8_jjjS8_jjjj,@function
_ZL13mul_mat_vec_qIL9ggml_type23ELi7ELb0ELb0EEvPKvS2_PKi31ggml_cuda_mm_fusion_args_devicePfj15HIP_vector_typeIjLj3EEjjjS8_jjjS8_jjjj: ; @_ZL13mul_mat_vec_qIL9ggml_type23ELi7ELb0ELb0EEvPKvS2_PKi31ggml_cuda_mm_fusion_args_devicePfj15HIP_vector_typeIjLj3EEjjjS8_jjjS8_jjjj
; %bb.0:
	s_clause 0x5
	s_load_dword s9, s[4:5], 0x40
	s_load_dwordx4 s[0:3], s[4:5], 0x50
	s_load_dword s11, s[4:5], 0x60
	s_load_dwordx4 s[12:15], s[4:5], 0x68
	;; [unrolled: 2-line block ×3, first 2 shown]
	v_lshl_or_b32 v2, v1, 5, v0
	v_mov_b32_e32 v9, 0
	v_mov_b32_e32 v10, 0
	;; [unrolled: 1-line block ×4, first 2 shown]
	v_lshrrev_b32_e32 v15, 3, v2
	v_mov_b32_e32 v13, 0
	v_mov_b32_e32 v14, 0
	v_mov_b32_e32 v16, 0
	s_waitcnt lgkmcnt(0)
	s_lshr_b32 s10, s9, 8
	s_mov_b32 s9, exec_lo
	v_cmpx_gt_u32_e64 s10, v15
	s_cbranch_execz .LBB250_4
; %bb.1:
	s_mul_i32 s13, s13, s7
	s_load_dwordx4 s[20:23], s[4:5], 0x0
	s_mul_hi_u32 s27, s13, 36
	s_mul_i32 s26, s13, 36
	s_mul_i32 s17, s17, s8
	v_mad_u64_u32 v[4:5], null, 0x120, v15, s[26:27]
	v_and_b32_e32 v7, 7, v0
	s_mul_hi_u32 s3, s3, s7
	s_mul_hi_u32 s15, s15, s8
	s_add_i32 s3, s7, s3
	s_add_i32 s15, s8, s15
	s_mul_i32 s25, s17, 36
	v_mad_u64_u32 v[4:5], null, s17, 36, v[4:5]
	s_lshr_b32 s3, s3, s11
	v_lshlrev_b32_e32 v8, 3, v15
	v_mov_b32_e32 v9, 0
	v_lshlrev_b32_e32 v6, 2, v0
	s_mul_hi_u32 s19, s17, 36
	s_lshr_b32 s11, s15, s24
	v_mad_u64_u32 v[10:11], null, v7, 36, v[4:5]
	s_mul_i32 s3, s3, s12
	s_waitcnt lgkmcnt(0)
	s_add_u32 s12, s22, s25
	s_addc_u32 s13, s23, s19
	s_add_u32 s12, s12, s26
	s_addc_u32 s13, s13, s27
	v_mad_u64_u32 v[4:5], null, s1, 6, v[8:9]
	v_and_b32_e32 v12, 28, v6
	v_bfe_u32 v17, v6, 3, 2
	v_and_b32_e32 v18, 4, v6
	v_mad_u64_u32 v[5:6], null, s1, 5, v[8:9]
	v_mad_u64_u32 v[2:3], null, v7, 36, s[12:13]
	;; [unrolled: 1-line block ×3, first 2 shown]
	v_add_co_u32 v7, vcc_lo, s22, v10
	v_add_co_ci_u32_e64 v10, null, s23, v11, vcc_lo
	s_mul_i32 s0, s0, s6
	v_add_co_u32 v7, vcc_lo, v7, 16
	v_lshrrev_b32_e32 v19, 1, v12
	v_add_nc_u32_e32 v20, s1, v8
	v_lshl_add_u32 v21, s1, 2, v8
	v_lshl_add_u32 v22, s1, 1, v8
	v_add_co_ci_u32_e64 v8, null, 0, v10, vcc_lo
	v_lshlrev_b32_e32 v23, 2, v12
	v_mov_b32_e32 v10, 0
	v_mov_b32_e32 v11, 0
	;; [unrolled: 1-line block ×6, first 2 shown]
	s_mul_i32 s11, s11, s16
	s_add_i32 s3, s3, s0
	s_mov_b32 s1, 0
	s_add_i32 s0, s11, s3
	s_mov_b32 s3, 0xf6eaddcf
	s_mov_b32 s11, 0x71594535
	;; [unrolled: 1-line block ×3, first 2 shown]
.LBB250_2:                              ; =>This Inner Loop Header: Depth=1
	v_add_nc_u32_e32 v24, s0, v15
	v_mov_b32_e32 v43, 0
	v_add_nc_u32_e32 v15, 4, v15
	v_mad_i64_i32 v[28:29], null, 0x88, v24, s[20:21]
	v_add_co_u32 v24, vcc_lo, v28, v23
	v_add_co_ci_u32_e64 v25, null, 0, v29, vcc_lo
	global_load_dwordx4 v[24:27], v[24:25], off offset:8
	s_waitcnt vmcnt(0)
	v_ashrrev_i32_e32 v30, 4, v24
	v_and_b32_e32 v31, 0x7070707, v24
	v_lshrrev_b32_e32 v24, 1, v24
	v_and_b32_e32 v33, 0x7070707, v30
	v_perm_b32 v32, s3, 0xbfad9881, v31
	v_perm_b32 v31, s11, 0x26190d01, v31
	v_and_or_b32 v24, v24, s12, 0x3020100
	v_perm_b32 v34, s3, 0xbfad9881, v33
	v_perm_b32 v33, s11, 0x26190d01, v33
	;; [unrolled: 1-line block ×3, first 2 shown]
	v_lshrrev_b32_e32 v24, 1, v30
	v_and_b32_e32 v30, 0x7070707, v25
	v_and_or_b32 v24, v24, s12, 0x3020100
	v_perm_b32 v31, s3, 0xbfad9881, v30
	v_perm_b32 v30, s11, 0x26190d01, v30
	;; [unrolled: 1-line block ×3, first 2 shown]
	v_ashrrev_i32_e32 v24, 4, v25
	v_lshrrev_b32_e32 v25, 1, v25
	v_and_b32_e32 v34, 0x7070707, v24
	v_lshrrev_b32_e32 v24, 1, v24
	v_and_or_b32 v25, v25, s12, 0x3020100
	v_perm_b32 v35, s3, 0xbfad9881, v34
	v_perm_b32 v34, s11, 0x26190d01, v34
	v_and_or_b32 v24, v24, s12, 0x3020100
	v_perm_b32 v36, v30, v31, v25
	v_and_b32_e32 v25, 0x7070707, v26
	v_perm_b32 v34, v34, v35, v24
	v_ashrrev_i32_e32 v24, 4, v26
	v_lshrrev_b32_e32 v26, 1, v26
	v_perm_b32 v30, s3, 0xbfad9881, v25
	v_perm_b32 v25, s11, 0x26190d01, v25
	v_and_b32_e32 v31, 0x7070707, v24
	v_lshrrev_b32_e32 v24, 1, v24
	v_and_or_b32 v26, v26, s12, 0x3020100
	v_perm_b32 v35, s3, 0xbfad9881, v31
	v_perm_b32 v31, s11, 0x26190d01, v31
	v_and_or_b32 v24, v24, s12, 0x3020100
	v_perm_b32 v37, v25, v30, v26
	v_and_b32_e32 v25, 0x7070707, v27
	v_perm_b32 v35, v31, v35, v24
	v_ashrrev_i32_e32 v24, 4, v27
	v_lshrrev_b32_e32 v27, 1, v27
	v_perm_b32 v26, s3, 0xbfad9881, v25
	v_perm_b32 v25, s11, 0x26190d01, v25
	v_and_b32_e32 v30, 0x7070707, v24
	v_lshrrev_b32_e32 v24, 1, v24
	v_and_or_b32 v27, v27, s12, 0x3020100
	v_perm_b32 v31, s3, 0xbfad9881, v30
	v_perm_b32 v30, s11, 0x26190d01, v30
	v_and_or_b32 v24, v24, s12, 0x3020100
	v_perm_b32 v38, v25, v26, v27
	v_perm_b32 v39, v30, v31, v24
	v_add_co_u32 v24, vcc_lo, v28, v17
	v_add_co_ci_u32_e64 v25, null, 0, v29, vcc_lo
	s_clause 0x1
	global_load_ubyte v24, v[24:25], off offset:4
	global_load_dword v25, v[28:29], off
	s_waitcnt vmcnt(1)
	v_bfe_u32 v24, v24, v18, 4
	s_waitcnt vmcnt(0)
	v_lshrrev_b32_sdwa v26, v19, v25 dst_sel:DWORD dst_unused:UNUSED_PAD src0_sel:DWORD src1_sel:WORD_1
	v_cvt_f32_f16_e32 v41, v25
	v_lshlrev_b32_e32 v26, 4, v26
	v_and_or_b32 v24, v26, 48, v24
	v_subrev_nc_u32_e32 v40, 32, v24
	s_clause 0x2
	global_load_dwordx4 v[24:27], v[7:8], off offset:-16
	global_load_dword v42, v[7:8], off offset:16
	global_load_dwordx4 v[28:31], v[7:8], off
	v_add_co_u32 v7, vcc_lo, 0x480, v7
	v_add_co_ci_u32_e64 v8, null, 0, v8, vcc_lo
	v_cmp_le_u32_e32 vcc_lo, s10, v15
	s_or_b32 s1, vcc_lo, s1
	s_waitcnt vmcnt(2)
	v_dot4c_i32_i8 v43, v32, v25
	v_cvt_f32_f16_e32 v24, v24
	s_waitcnt vmcnt(0)
	v_dot4c_i32_i8 v43, v33, v29
	v_mul_f32_e32 v24, v41, v24
	v_dot4c_i32_i8 v43, v36, v26
	v_dot4c_i32_i8 v43, v34, v30
	v_dot4c_i32_i8 v43, v37, v27
	v_dot4c_i32_i8 v43, v35, v31
	v_dot4c_i32_i8 v43, v38, v28
	v_mad_u64_u32 v[28:29], null, v20, 36, v[2:3]
	v_add_nc_u32_e32 v20, 32, v20
	v_dot4c_i32_i8 v43, v39, v42
	v_mul_lo_u32 v25, v40, v43
	v_mov_b32_e32 v43, 0
	v_cvt_f32_i32_e32 v25, v25
	v_fmac_f32_e32 v16, v24, v25
	s_clause 0x2
	global_load_dwordx4 v[24:27], v[28:29], off
	global_load_dword v42, v[28:29], off offset:32
	global_load_dwordx4 v[28:31], v[28:29], off offset:16
	s_waitcnt vmcnt(2)
	v_dot4c_i32_i8 v43, v32, v25
	v_cvt_f32_f16_e32 v24, v24
	s_waitcnt vmcnt(0)
	v_dot4c_i32_i8 v43, v33, v29
	v_mul_f32_e32 v24, v41, v24
	v_dot4c_i32_i8 v43, v36, v26
	v_dot4c_i32_i8 v43, v34, v30
	v_dot4c_i32_i8 v43, v37, v27
	v_dot4c_i32_i8 v43, v35, v31
	v_dot4c_i32_i8 v43, v38, v28
	v_mad_u64_u32 v[28:29], null, v22, 36, v[2:3]
	v_add_nc_u32_e32 v22, 32, v22
	v_dot4c_i32_i8 v43, v39, v42
	v_mul_lo_u32 v25, v40, v43
	v_mov_b32_e32 v43, 0
	v_cvt_f32_i32_e32 v25, v25
	v_fmac_f32_e32 v14, v24, v25
	s_clause 0x2
	global_load_dwordx4 v[24:27], v[28:29], off
	global_load_dword v42, v[28:29], off offset:32
	global_load_dwordx4 v[28:31], v[28:29], off offset:16
	;; [unrolled: 22-line block ×6, first 2 shown]
	s_waitcnt vmcnt(2)
	v_dot4c_i32_i8 v43, v32, v25
	v_cvt_f32_f16_e32 v24, v24
	s_waitcnt vmcnt(0)
	v_dot4c_i32_i8 v43, v33, v29
	v_mul_f32_e32 v24, v41, v24
	v_dot4c_i32_i8 v43, v36, v26
	v_dot4c_i32_i8 v43, v34, v30
	;; [unrolled: 1-line block ×6, first 2 shown]
	v_mul_lo_u32 v25, v40, v43
	v_cvt_f32_i32_e32 v25, v25
	v_fmac_f32_e32 v9, v24, v25
	s_andn2_b32 exec_lo, exec_lo, s1
	s_cbranch_execnz .LBB250_2
; %bb.3:
	s_or_b32 exec_lo, exec_lo, s1
.LBB250_4:
	s_or_b32 exec_lo, exec_lo, s9
	s_mov_b32 s1, 0
	; wave barrier
	buffer_gl0_inv
	s_mov_b32 s0, exec_lo
	v_cmpx_eq_u32_e32 0, v1
	s_cbranch_execz .LBB250_19
; %bb.5:
	v_mbcnt_lo_u32_b32 v5, -1, 0
	s_load_dwordx2 s[4:5], s[4:5], 0x38
	s_mul_i32 s0, s14, s7
	s_mul_i32 s3, s18, s8
	s_add_i32 s0, s0, s6
	v_xor_b32_e32 v1, 16, v5
	v_xor_b32_e32 v2, 8, v5
	;; [unrolled: 1-line block ×3, first 2 shown]
	s_add_i32 s0, s0, s3
	s_lshl_b64 s[0:1], s[0:1], 2
	v_cmp_gt_i32_e32 vcc_lo, 32, v1
	v_cndmask_b32_e32 v1, v5, v1, vcc_lo
	v_cmp_gt_i32_e32 vcc_lo, 32, v2
	v_lshlrev_b32_e32 v1, 2, v1
	v_cndmask_b32_e32 v2, v5, v2, vcc_lo
	s_waitcnt lgkmcnt(0)
	s_add_u32 s0, s4, s0
	s_addc_u32 s1, s5, s1
	ds_bpermute_b32 v3, v1, v16
	v_lshlrev_b32_e32 v2, 2, v2
	s_waitcnt lgkmcnt(0)
	v_add_f32_e32 v4, v16, v3
	v_xor_b32_e32 v3, 4, v5
	ds_bpermute_b32 v6, v2, v4
	v_cmp_gt_i32_e32 vcc_lo, 32, v3
	v_cndmask_b32_e32 v3, v5, v3, vcc_lo
	v_lshlrev_b32_e32 v3, 2, v3
	s_waitcnt lgkmcnt(0)
	v_add_f32_e32 v6, v4, v6
	v_xor_b32_e32 v4, 2, v5
	ds_bpermute_b32 v7, v3, v6
	v_cmp_gt_i32_e32 vcc_lo, 32, v4
	v_cndmask_b32_e32 v4, v5, v4, vcc_lo
	v_cmp_gt_i32_e32 vcc_lo, 32, v8
	v_lshlrev_b32_e32 v4, 2, v4
	v_cndmask_b32_e32 v5, v5, v8, vcc_lo
	v_cmp_eq_u32_e32 vcc_lo, 0, v0
	v_lshlrev_b32_e32 v5, 2, v5
	s_waitcnt lgkmcnt(0)
	v_add_f32_e32 v6, v6, v7
	ds_bpermute_b32 v7, v4, v6
	s_waitcnt lgkmcnt(0)
	v_add_f32_e32 v6, v6, v7
	ds_bpermute_b32 v7, v5, v6
	s_and_saveexec_b32 s3, vcc_lo
	s_cbranch_execz .LBB250_7
; %bb.6:
	s_waitcnt lgkmcnt(0)
	v_add_f32_e32 v0, v6, v7
	v_mov_b32_e32 v6, 0
	global_store_dword v6, v0, s[0:1]
.LBB250_7:
	s_or_b32 exec_lo, exec_lo, s3
	ds_bpermute_b32 v0, v1, v14
	s_waitcnt lgkmcnt(0)
	v_add_f32_e32 v0, v14, v0
	ds_bpermute_b32 v6, v2, v0
	s_waitcnt lgkmcnt(0)
	v_add_f32_e32 v0, v0, v6
	;; [unrolled: 3-line block ×4, first 2 shown]
	ds_bpermute_b32 v6, v5, v0
	s_and_saveexec_b32 s4, vcc_lo
	s_cbranch_execz .LBB250_9
; %bb.8:
	s_mov_b32 s3, 0
	s_waitcnt lgkmcnt(0)
	v_add_f32_e32 v0, v0, v6
	s_lshl_b64 s[6:7], s[2:3], 2
	v_mov_b32_e32 v6, 0
	s_add_u32 s6, s0, s6
	s_addc_u32 s7, s1, s7
	global_store_dword v6, v0, s[6:7]
.LBB250_9:
	s_or_b32 exec_lo, exec_lo, s4
	ds_bpermute_b32 v0, v1, v13
	s_waitcnt lgkmcnt(0)
	v_add_f32_e32 v0, v13, v0
	ds_bpermute_b32 v6, v2, v0
	s_waitcnt lgkmcnt(0)
	v_add_f32_e32 v0, v0, v6
	;; [unrolled: 3-line block ×4, first 2 shown]
	ds_bpermute_b32 v6, v5, v0
	s_and_saveexec_b32 s3, vcc_lo
	s_cbranch_execz .LBB250_11
; %bb.10:
	s_lshl_b32 s4, s2, 1
	s_mov_b32 s5, 0
	s_waitcnt lgkmcnt(0)
	v_add_f32_e32 v0, v0, v6
	s_lshl_b64 s[4:5], s[4:5], 2
	v_mov_b32_e32 v6, 0
	s_add_u32 s4, s0, s4
	s_addc_u32 s5, s1, s5
	global_store_dword v6, v0, s[4:5]
.LBB250_11:
	s_or_b32 exec_lo, exec_lo, s3
	ds_bpermute_b32 v0, v1, v12
	s_waitcnt lgkmcnt(0)
	v_add_f32_e32 v0, v12, v0
	ds_bpermute_b32 v6, v2, v0
	s_waitcnt lgkmcnt(0)
	v_add_f32_e32 v0, v0, v6
	;; [unrolled: 3-line block ×4, first 2 shown]
	ds_bpermute_b32 v6, v5, v0
	s_and_saveexec_b32 s3, vcc_lo
	s_cbranch_execz .LBB250_13
; %bb.12:
	s_mul_i32 s4, s2, 3
	s_mov_b32 s5, 0
	s_waitcnt lgkmcnt(0)
	v_add_f32_e32 v0, v0, v6
	s_lshl_b64 s[4:5], s[4:5], 2
	v_mov_b32_e32 v6, 0
	s_add_u32 s4, s0, s4
	s_addc_u32 s5, s1, s5
	global_store_dword v6, v0, s[4:5]
.LBB250_13:
	s_or_b32 exec_lo, exec_lo, s3
	ds_bpermute_b32 v0, v1, v11
	s_waitcnt lgkmcnt(0)
	v_add_f32_e32 v0, v11, v0
	ds_bpermute_b32 v6, v2, v0
	s_waitcnt lgkmcnt(0)
	v_add_f32_e32 v0, v0, v6
	;; [unrolled: 3-line block ×4, first 2 shown]
	ds_bpermute_b32 v6, v5, v0
	s_and_saveexec_b32 s3, vcc_lo
	s_cbranch_execz .LBB250_15
; %bb.14:
	s_lshl_b32 s4, s2, 2
	s_mov_b32 s5, 0
	s_waitcnt lgkmcnt(0)
	v_add_f32_e32 v0, v0, v6
	s_lshl_b64 s[4:5], s[4:5], 2
	v_mov_b32_e32 v6, 0
	s_add_u32 s4, s0, s4
	s_addc_u32 s5, s1, s5
	global_store_dword v6, v0, s[4:5]
.LBB250_15:
	s_or_b32 exec_lo, exec_lo, s3
	ds_bpermute_b32 v0, v1, v10
	s_waitcnt lgkmcnt(0)
	v_add_f32_e32 v0, v10, v0
	ds_bpermute_b32 v6, v2, v0
	s_waitcnt lgkmcnt(0)
	v_add_f32_e32 v0, v0, v6
	;; [unrolled: 3-line block ×4, first 2 shown]
	ds_bpermute_b32 v6, v5, v0
	s_and_saveexec_b32 s3, vcc_lo
	s_cbranch_execz .LBB250_17
; %bb.16:
	s_mul_i32 s4, s2, 5
	s_mov_b32 s5, 0
	s_waitcnt lgkmcnt(0)
	v_add_f32_e32 v0, v0, v6
	s_lshl_b64 s[4:5], s[4:5], 2
	v_mov_b32_e32 v6, 0
	s_add_u32 s4, s0, s4
	s_addc_u32 s5, s1, s5
	global_store_dword v6, v0, s[4:5]
.LBB250_17:
	s_or_b32 exec_lo, exec_lo, s3
	ds_bpermute_b32 v0, v1, v9
	s_waitcnt lgkmcnt(0)
	v_add_f32_e32 v0, v9, v0
	ds_bpermute_b32 v1, v2, v0
	s_waitcnt lgkmcnt(0)
	v_add_f32_e32 v0, v0, v1
	;; [unrolled: 3-line block ×4, first 2 shown]
	ds_bpermute_b32 v1, v5, v0
	s_and_b32 exec_lo, exec_lo, vcc_lo
	s_cbranch_execz .LBB250_19
; %bb.18:
	s_mul_i32 s2, s2, 6
	s_mov_b32 s3, 0
	s_waitcnt lgkmcnt(0)
	v_add_f32_e32 v0, v0, v1
	s_lshl_b64 s[2:3], s[2:3], 2
	v_mov_b32_e32 v1, 0
	s_add_u32 s0, s0, s2
	s_addc_u32 s1, s1, s3
	global_store_dword v1, v0, s[0:1]
.LBB250_19:
	s_endpgm
	.section	.rodata,"a",@progbits
	.p2align	6, 0x0
	.amdhsa_kernel _ZL13mul_mat_vec_qIL9ggml_type23ELi7ELb0ELb0EEvPKvS2_PKi31ggml_cuda_mm_fusion_args_devicePfj15HIP_vector_typeIjLj3EEjjjS8_jjjS8_jjjj
		.amdhsa_group_segment_fixed_size 0
		.amdhsa_private_segment_fixed_size 0
		.amdhsa_kernarg_size 144
		.amdhsa_user_sgpr_count 6
		.amdhsa_user_sgpr_private_segment_buffer 1
		.amdhsa_user_sgpr_dispatch_ptr 0
		.amdhsa_user_sgpr_queue_ptr 0
		.amdhsa_user_sgpr_kernarg_segment_ptr 1
		.amdhsa_user_sgpr_dispatch_id 0
		.amdhsa_user_sgpr_flat_scratch_init 0
		.amdhsa_user_sgpr_private_segment_size 0
		.amdhsa_wavefront_size32 1
		.amdhsa_uses_dynamic_stack 0
		.amdhsa_system_sgpr_private_segment_wavefront_offset 0
		.amdhsa_system_sgpr_workgroup_id_x 1
		.amdhsa_system_sgpr_workgroup_id_y 1
		.amdhsa_system_sgpr_workgroup_id_z 1
		.amdhsa_system_sgpr_workgroup_info 0
		.amdhsa_system_vgpr_workitem_id 1
		.amdhsa_next_free_vgpr 44
		.amdhsa_next_free_sgpr 28
		.amdhsa_reserve_vcc 1
		.amdhsa_reserve_flat_scratch 0
		.amdhsa_float_round_mode_32 0
		.amdhsa_float_round_mode_16_64 0
		.amdhsa_float_denorm_mode_32 3
		.amdhsa_float_denorm_mode_16_64 3
		.amdhsa_dx10_clamp 1
		.amdhsa_ieee_mode 1
		.amdhsa_fp16_overflow 0
		.amdhsa_workgroup_processor_mode 1
		.amdhsa_memory_ordered 1
		.amdhsa_forward_progress 1
		.amdhsa_shared_vgpr_count 0
		.amdhsa_exception_fp_ieee_invalid_op 0
		.amdhsa_exception_fp_denorm_src 0
		.amdhsa_exception_fp_ieee_div_zero 0
		.amdhsa_exception_fp_ieee_overflow 0
		.amdhsa_exception_fp_ieee_underflow 0
		.amdhsa_exception_fp_ieee_inexact 0
		.amdhsa_exception_int_div_zero 0
	.end_amdhsa_kernel
	.section	.text._ZL13mul_mat_vec_qIL9ggml_type23ELi7ELb0ELb0EEvPKvS2_PKi31ggml_cuda_mm_fusion_args_devicePfj15HIP_vector_typeIjLj3EEjjjS8_jjjS8_jjjj,"axG",@progbits,_ZL13mul_mat_vec_qIL9ggml_type23ELi7ELb0ELb0EEvPKvS2_PKi31ggml_cuda_mm_fusion_args_devicePfj15HIP_vector_typeIjLj3EEjjjS8_jjjS8_jjjj,comdat
.Lfunc_end250:
	.size	_ZL13mul_mat_vec_qIL9ggml_type23ELi7ELb0ELb0EEvPKvS2_PKi31ggml_cuda_mm_fusion_args_devicePfj15HIP_vector_typeIjLj3EEjjjS8_jjjS8_jjjj, .Lfunc_end250-_ZL13mul_mat_vec_qIL9ggml_type23ELi7ELb0ELb0EEvPKvS2_PKi31ggml_cuda_mm_fusion_args_devicePfj15HIP_vector_typeIjLj3EEjjjS8_jjjS8_jjjj
                                        ; -- End function
	.set _ZL13mul_mat_vec_qIL9ggml_type23ELi7ELb0ELb0EEvPKvS2_PKi31ggml_cuda_mm_fusion_args_devicePfj15HIP_vector_typeIjLj3EEjjjS8_jjjS8_jjjj.num_vgpr, 44
	.set _ZL13mul_mat_vec_qIL9ggml_type23ELi7ELb0ELb0EEvPKvS2_PKi31ggml_cuda_mm_fusion_args_devicePfj15HIP_vector_typeIjLj3EEjjjS8_jjjS8_jjjj.num_agpr, 0
	.set _ZL13mul_mat_vec_qIL9ggml_type23ELi7ELb0ELb0EEvPKvS2_PKi31ggml_cuda_mm_fusion_args_devicePfj15HIP_vector_typeIjLj3EEjjjS8_jjjS8_jjjj.numbered_sgpr, 28
	.set _ZL13mul_mat_vec_qIL9ggml_type23ELi7ELb0ELb0EEvPKvS2_PKi31ggml_cuda_mm_fusion_args_devicePfj15HIP_vector_typeIjLj3EEjjjS8_jjjS8_jjjj.num_named_barrier, 0
	.set _ZL13mul_mat_vec_qIL9ggml_type23ELi7ELb0ELb0EEvPKvS2_PKi31ggml_cuda_mm_fusion_args_devicePfj15HIP_vector_typeIjLj3EEjjjS8_jjjS8_jjjj.private_seg_size, 0
	.set _ZL13mul_mat_vec_qIL9ggml_type23ELi7ELb0ELb0EEvPKvS2_PKi31ggml_cuda_mm_fusion_args_devicePfj15HIP_vector_typeIjLj3EEjjjS8_jjjS8_jjjj.uses_vcc, 1
	.set _ZL13mul_mat_vec_qIL9ggml_type23ELi7ELb0ELb0EEvPKvS2_PKi31ggml_cuda_mm_fusion_args_devicePfj15HIP_vector_typeIjLj3EEjjjS8_jjjS8_jjjj.uses_flat_scratch, 0
	.set _ZL13mul_mat_vec_qIL9ggml_type23ELi7ELb0ELb0EEvPKvS2_PKi31ggml_cuda_mm_fusion_args_devicePfj15HIP_vector_typeIjLj3EEjjjS8_jjjS8_jjjj.has_dyn_sized_stack, 0
	.set _ZL13mul_mat_vec_qIL9ggml_type23ELi7ELb0ELb0EEvPKvS2_PKi31ggml_cuda_mm_fusion_args_devicePfj15HIP_vector_typeIjLj3EEjjjS8_jjjS8_jjjj.has_recursion, 0
	.set _ZL13mul_mat_vec_qIL9ggml_type23ELi7ELb0ELb0EEvPKvS2_PKi31ggml_cuda_mm_fusion_args_devicePfj15HIP_vector_typeIjLj3EEjjjS8_jjjS8_jjjj.has_indirect_call, 0
	.section	.AMDGPU.csdata,"",@progbits
; Kernel info:
; codeLenInByte = 2796
; TotalNumSgprs: 30
; NumVgprs: 44
; ScratchSize: 0
; MemoryBound: 0
; FloatMode: 240
; IeeeMode: 1
; LDSByteSize: 0 bytes/workgroup (compile time only)
; SGPRBlocks: 0
; VGPRBlocks: 5
; NumSGPRsForWavesPerEU: 30
; NumVGPRsForWavesPerEU: 44
; Occupancy: 16
; WaveLimiterHint : 0
; COMPUTE_PGM_RSRC2:SCRATCH_EN: 0
; COMPUTE_PGM_RSRC2:USER_SGPR: 6
; COMPUTE_PGM_RSRC2:TRAP_HANDLER: 0
; COMPUTE_PGM_RSRC2:TGID_X_EN: 1
; COMPUTE_PGM_RSRC2:TGID_Y_EN: 1
; COMPUTE_PGM_RSRC2:TGID_Z_EN: 1
; COMPUTE_PGM_RSRC2:TIDIG_COMP_CNT: 1
	.section	.text._ZL13mul_mat_vec_qIL9ggml_type23ELi8ELb0ELb0EEvPKvS2_PKi31ggml_cuda_mm_fusion_args_devicePfj15HIP_vector_typeIjLj3EEjjjS8_jjjS8_jjjj,"axG",@progbits,_ZL13mul_mat_vec_qIL9ggml_type23ELi8ELb0ELb0EEvPKvS2_PKi31ggml_cuda_mm_fusion_args_devicePfj15HIP_vector_typeIjLj3EEjjjS8_jjjS8_jjjj,comdat
	.globl	_ZL13mul_mat_vec_qIL9ggml_type23ELi8ELb0ELb0EEvPKvS2_PKi31ggml_cuda_mm_fusion_args_devicePfj15HIP_vector_typeIjLj3EEjjjS8_jjjS8_jjjj ; -- Begin function _ZL13mul_mat_vec_qIL9ggml_type23ELi8ELb0ELb0EEvPKvS2_PKi31ggml_cuda_mm_fusion_args_devicePfj15HIP_vector_typeIjLj3EEjjjS8_jjjS8_jjjj
	.p2align	8
	.type	_ZL13mul_mat_vec_qIL9ggml_type23ELi8ELb0ELb0EEvPKvS2_PKi31ggml_cuda_mm_fusion_args_devicePfj15HIP_vector_typeIjLj3EEjjjS8_jjjS8_jjjj,@function
_ZL13mul_mat_vec_qIL9ggml_type23ELi8ELb0ELb0EEvPKvS2_PKi31ggml_cuda_mm_fusion_args_devicePfj15HIP_vector_typeIjLj3EEjjjS8_jjjS8_jjjj: ; @_ZL13mul_mat_vec_qIL9ggml_type23ELi8ELb0ELb0EEvPKvS2_PKi31ggml_cuda_mm_fusion_args_devicePfj15HIP_vector_typeIjLj3EEjjjS8_jjjS8_jjjj
; %bb.0:
	s_clause 0x5
	s_load_dword s9, s[4:5], 0x40
	s_load_dwordx4 s[0:3], s[4:5], 0x50
	s_load_dword s11, s[4:5], 0x60
	s_load_dwordx4 s[12:15], s[4:5], 0x68
	;; [unrolled: 2-line block ×3, first 2 shown]
	v_lshl_or_b32 v2, v1, 5, v0
	v_mov_b32_e32 v6, 0
	v_mov_b32_e32 v7, 0
	;; [unrolled: 1-line block ×4, first 2 shown]
	v_lshrrev_b32_e32 v13, 3, v2
	v_mov_b32_e32 v10, 0
	v_mov_b32_e32 v11, 0
	;; [unrolled: 1-line block ×4, first 2 shown]
	s_waitcnt lgkmcnt(0)
	s_lshr_b32 s10, s9, 8
	s_mov_b32 s9, exec_lo
	v_cmpx_gt_u32_e64 s10, v13
	s_cbranch_execz .LBB251_4
; %bb.1:
	s_mul_i32 s13, s13, s7
	s_load_dwordx4 s[20:23], s[4:5], 0x0
	s_mul_hi_u32 s27, s13, 36
	s_mul_i32 s26, s13, 36
	s_mul_i32 s17, s17, s8
	v_mad_u64_u32 v[2:3], null, 0x120, v13, s[26:27]
	v_and_b32_e32 v9, 7, v0
	s_mul_hi_u32 s3, s3, s7
	s_mul_hi_u32 s15, s15, s8
	s_add_i32 s3, s7, s3
	s_add_i32 s15, s8, s15
	v_lshlrev_b32_e32 v7, 2, v0
	v_mad_u64_u32 v[4:5], null, s17, 36, v[2:3]
	s_mul_i32 s25, s17, 36
	s_lshr_b32 s3, s3, s11
	s_mul_hi_u32 s19, s17, 36
	s_lshr_b32 s11, s15, s24
	s_mul_i32 s3, s3, s12
	v_and_b32_e32 v8, 28, v7
	v_mad_u64_u32 v[4:5], null, v9, 36, v[4:5]
	s_waitcnt lgkmcnt(0)
	s_add_u32 s12, s22, s25
	s_addc_u32 s13, s23, s19
	s_add_u32 s12, s12, s26
	s_addc_u32 s13, s13, s27
	s_mul_i32 s0, s0, s6
	v_mad_u64_u32 v[2:3], null, v9, 36, s[12:13]
	v_add_co_u32 v4, vcc_lo, s22, v4
	v_add_co_ci_u32_e64 v5, null, s23, v5, vcc_lo
	v_mov_b32_e32 v6, 0
	v_add_co_u32 v4, vcc_lo, v4, 16
	v_bfe_u32 v15, v7, 3, 2
	v_and_b32_e32 v16, 4, v7
	v_lshrrev_b32_e32 v17, 1, v8
	v_lshlrev_b32_e32 v18, 3, v13
	v_add_co_ci_u32_e64 v5, null, 0, v5, vcc_lo
	v_lshlrev_b32_e32 v19, 2, v8
	v_mov_b32_e32 v7, 0
	v_mov_b32_e32 v8, 0
	;; [unrolled: 1-line block ×7, first 2 shown]
	s_mul_i32 s11, s11, s16
	s_add_i32 s3, s3, s0
	s_mul_i32 s12, s1, 5
	s_add_i32 s0, s11, s3
	s_mul_i32 s3, s1, 7
	s_mul_i32 s11, s1, 6
	s_lshl_b32 s13, s1, 2
	s_mul_i32 s15, s1, 3
	s_lshl_b32 s17, s1, 1
	s_mov_b32 s16, 0
	s_mov_b32 s19, 0xf6eaddcf
	s_mov_b32 s22, 0x71594535
	s_mov_b32 s23, 0x4040404
.LBB251_2:                              ; =>This Inner Loop Header: Depth=1
	v_add_nc_u32_e32 v20, s0, v13
	v_mov_b32_e32 v39, 0
	v_add_nc_u32_e32 v13, 4, v13
	v_mad_i64_i32 v[25:26], null, 0x88, v20, s[20:21]
	v_add_co_u32 v20, vcc_lo, v25, v19
	v_add_co_ci_u32_e64 v21, null, 0, v26, vcc_lo
	global_load_dwordx4 v[21:24], v[20:21], off offset:8
	s_waitcnt vmcnt(0)
	v_ashrrev_i32_e32 v27, 4, v21
	v_and_b32_e32 v20, 0x7070707, v21
	v_lshrrev_b32_e32 v21, 1, v21
	v_and_b32_e32 v29, 0x7070707, v27
	v_perm_b32 v28, s19, 0xbfad9881, v20
	v_perm_b32 v20, s22, 0x26190d01, v20
	v_and_or_b32 v21, v21, s23, 0x3020100
	v_perm_b32 v30, s19, 0xbfad9881, v29
	v_perm_b32 v29, s22, 0x26190d01, v29
	;; [unrolled: 1-line block ×3, first 2 shown]
	v_lshrrev_b32_e32 v21, 1, v27
	v_ashrrev_i32_e32 v27, 4, v22
	v_and_b32_e32 v28, 0x7070707, v22
	v_lshrrev_b32_e32 v22, 1, v22
	v_and_or_b32 v21, v21, s23, 0x3020100
	v_and_or_b32 v22, v22, s23, 0x3020100
	v_perm_b32 v21, v29, v30, v21
	v_perm_b32 v29, s19, 0xbfad9881, v28
	;; [unrolled: 1-line block ×3, first 2 shown]
	v_and_b32_e32 v30, 0x7070707, v27
	v_perm_b32 v32, v28, v29, v22
	v_lshrrev_b32_e32 v22, 1, v27
	v_perm_b32 v31, s19, 0xbfad9881, v30
	v_perm_b32 v30, s22, 0x26190d01, v30
	v_and_b32_e32 v27, 0x7070707, v23
	v_and_or_b32 v22, v22, s23, 0x3020100
	v_perm_b32 v28, s19, 0xbfad9881, v27
	v_perm_b32 v27, s22, 0x26190d01, v27
	;; [unrolled: 1-line block ×3, first 2 shown]
	v_ashrrev_i32_e32 v22, 4, v23
	v_lshrrev_b32_e32 v23, 1, v23
	v_and_b32_e32 v29, 0x7070707, v22
	v_lshrrev_b32_e32 v22, 1, v22
	v_and_or_b32 v23, v23, s23, 0x3020100
	v_perm_b32 v31, s19, 0xbfad9881, v29
	v_perm_b32 v29, s22, 0x26190d01, v29
	v_and_or_b32 v22, v22, s23, 0x3020100
	v_perm_b32 v33, v27, v28, v23
	v_and_b32_e32 v23, 0x7070707, v24
	v_perm_b32 v31, v29, v31, v22
	v_ashrrev_i32_e32 v22, 4, v24
	v_lshrrev_b32_e32 v24, 1, v24
	v_perm_b32 v27, s19, 0xbfad9881, v23
	v_perm_b32 v23, s22, 0x26190d01, v23
	v_and_b32_e32 v28, 0x7070707, v22
	v_lshrrev_b32_e32 v22, 1, v22
	v_and_or_b32 v24, v24, s23, 0x3020100
	v_perm_b32 v29, s19, 0xbfad9881, v28
	v_perm_b32 v28, s22, 0x26190d01, v28
	v_and_or_b32 v22, v22, s23, 0x3020100
	v_perm_b32 v34, v23, v27, v24
	v_perm_b32 v35, v28, v29, v22
	v_add_co_u32 v22, vcc_lo, v25, v15
	v_add_co_ci_u32_e64 v23, null, 0, v26, vcc_lo
	s_clause 0x1
	global_load_ubyte v22, v[22:23], off offset:4
	global_load_dword v23, v[25:26], off
	s_waitcnt vmcnt(1)
	v_bfe_u32 v22, v22, v16, 4
	s_waitcnt vmcnt(0)
	v_lshrrev_b32_sdwa v24, v17, v23 dst_sel:DWORD dst_unused:UNUSED_PAD src0_sel:DWORD src1_sel:WORD_1
	v_cvt_f32_f16_e32 v37, v23
	v_lshlrev_b32_e32 v24, 4, v24
	v_and_or_b32 v22, v24, 48, v22
	v_subrev_nc_u32_e32 v36, 32, v22
	s_clause 0x2
	global_load_dwordx4 v[22:25], v[4:5], off offset:-16
	global_load_dword v38, v[4:5], off offset:16
	global_load_dwordx4 v[26:29], v[4:5], off
	v_add_co_u32 v4, vcc_lo, 0x480, v4
	v_add_co_ci_u32_e64 v5, null, 0, v5, vcc_lo
	v_cmp_le_u32_e32 vcc_lo, s10, v13
	s_or_b32 s16, vcc_lo, s16
	s_waitcnt vmcnt(2)
	v_dot4c_i32_i8 v39, v20, v23
	v_cvt_f32_f16_e32 v22, v22
	s_waitcnt vmcnt(0)
	v_dot4c_i32_i8 v39, v21, v27
	v_mul_f32_e32 v22, v37, v22
	v_dot4c_i32_i8 v39, v32, v24
	v_dot4c_i32_i8 v39, v30, v28
	v_dot4c_i32_i8 v39, v33, v25
	v_dot4c_i32_i8 v39, v31, v29
	v_dot4c_i32_i8 v39, v34, v26
	v_dot4c_i32_i8 v39, v35, v38
	v_mul_lo_u32 v23, v36, v39
	v_mov_b32_e32 v39, 0
	v_cvt_f32_i32_e32 v23, v23
	v_fmac_f32_e32 v14, v22, v23
	v_add_nc_u32_e32 v22, s1, v18
	v_mad_u64_u32 v[26:27], null, v22, 36, v[2:3]
	s_clause 0x2
	global_load_dwordx4 v[22:25], v[26:27], off
	global_load_dword v38, v[26:27], off offset:32
	global_load_dwordx4 v[26:29], v[26:27], off offset:16
	s_waitcnt vmcnt(2)
	v_dot4c_i32_i8 v39, v20, v23
	v_cvt_f32_f16_e32 v22, v22
	s_waitcnt vmcnt(0)
	v_dot4c_i32_i8 v39, v21, v27
	v_mul_f32_e32 v22, v37, v22
	v_dot4c_i32_i8 v39, v32, v24
	v_dot4c_i32_i8 v39, v30, v28
	v_dot4c_i32_i8 v39, v33, v25
	v_dot4c_i32_i8 v39, v31, v29
	v_dot4c_i32_i8 v39, v34, v26
	v_dot4c_i32_i8 v39, v35, v38
	v_mul_lo_u32 v23, v36, v39
	v_mov_b32_e32 v39, 0
	v_cvt_f32_i32_e32 v23, v23
	v_fmac_f32_e32 v12, v22, v23
	v_add_nc_u32_e32 v22, s17, v18
	v_mad_u64_u32 v[26:27], null, v22, 36, v[2:3]
	s_clause 0x2
	global_load_dwordx4 v[22:25], v[26:27], off
	global_load_dword v38, v[26:27], off offset:32
	global_load_dwordx4 v[26:29], v[26:27], off offset:16
	;; [unrolled: 22-line block ×6, first 2 shown]
	s_waitcnt vmcnt(2)
	v_dot4c_i32_i8 v39, v20, v23
	v_cvt_f32_f16_e32 v22, v22
	s_waitcnt vmcnt(0)
	v_dot4c_i32_i8 v39, v21, v27
	v_mul_f32_e32 v22, v37, v22
	v_dot4c_i32_i8 v39, v32, v24
	v_dot4c_i32_i8 v39, v30, v28
	;; [unrolled: 1-line block ×6, first 2 shown]
	v_mul_lo_u32 v23, v36, v39
	v_mov_b32_e32 v39, 0
	v_cvt_f32_i32_e32 v23, v23
	v_fmac_f32_e32 v7, v22, v23
	v_add_nc_u32_e32 v22, s3, v18
	v_add_nc_u32_e32 v18, 32, v18
	v_mad_u64_u32 v[26:27], null, v22, 36, v[2:3]
	s_clause 0x2
	global_load_dwordx4 v[22:25], v[26:27], off
	global_load_dword v38, v[26:27], off offset:32
	global_load_dwordx4 v[26:29], v[26:27], off offset:16
	s_waitcnt vmcnt(2)
	v_dot4c_i32_i8 v39, v20, v23
	s_waitcnt vmcnt(0)
	v_dot4c_i32_i8 v39, v21, v27
	v_cvt_f32_f16_e32 v21, v22
	v_dot4c_i32_i8 v39, v32, v24
	v_mul_f32_e32 v21, v37, v21
	v_dot4c_i32_i8 v39, v30, v28
	v_dot4c_i32_i8 v39, v33, v25
	;; [unrolled: 1-line block ×5, first 2 shown]
	v_mul_lo_u32 v20, v36, v39
	v_cvt_f32_i32_e32 v20, v20
	v_fmac_f32_e32 v6, v21, v20
	s_andn2_b32 exec_lo, exec_lo, s16
	s_cbranch_execnz .LBB251_2
; %bb.3:
	s_or_b32 exec_lo, exec_lo, s16
.LBB251_4:
	s_or_b32 exec_lo, exec_lo, s9
	s_mov_b32 s1, 0
	; wave barrier
	buffer_gl0_inv
	s_mov_b32 s0, exec_lo
	v_cmpx_eq_u32_e32 0, v1
	s_cbranch_execz .LBB251_21
; %bb.5:
	v_mbcnt_lo_u32_b32 v5, -1, 0
	s_load_dwordx2 s[4:5], s[4:5], 0x38
	s_mul_i32 s0, s14, s7
	s_mul_i32 s3, s18, s8
	s_add_i32 s0, s0, s6
	v_xor_b32_e32 v1, 16, v5
	v_xor_b32_e32 v2, 8, v5
	;; [unrolled: 1-line block ×3, first 2 shown]
	s_add_i32 s0, s0, s3
	s_lshl_b64 s[0:1], s[0:1], 2
	v_cmp_gt_i32_e32 vcc_lo, 32, v1
	v_cndmask_b32_e32 v1, v5, v1, vcc_lo
	v_cmp_gt_i32_e32 vcc_lo, 32, v2
	v_lshlrev_b32_e32 v1, 2, v1
	v_cndmask_b32_e32 v2, v5, v2, vcc_lo
	s_waitcnt lgkmcnt(0)
	s_add_u32 s0, s4, s0
	s_addc_u32 s1, s5, s1
	ds_bpermute_b32 v3, v1, v14
	v_lshlrev_b32_e32 v2, 2, v2
	s_waitcnt lgkmcnt(0)
	v_add_f32_e32 v4, v14, v3
	v_xor_b32_e32 v3, 4, v5
	ds_bpermute_b32 v13, v2, v4
	v_cmp_gt_i32_e32 vcc_lo, 32, v3
	v_cndmask_b32_e32 v3, v5, v3, vcc_lo
	v_lshlrev_b32_e32 v3, 2, v3
	s_waitcnt lgkmcnt(0)
	v_add_f32_e32 v13, v4, v13
	v_xor_b32_e32 v4, 2, v5
	ds_bpermute_b32 v14, v3, v13
	v_cmp_gt_i32_e32 vcc_lo, 32, v4
	v_cndmask_b32_e32 v4, v5, v4, vcc_lo
	v_cmp_gt_i32_e32 vcc_lo, 32, v15
	v_lshlrev_b32_e32 v4, 2, v4
	v_cndmask_b32_e32 v5, v5, v15, vcc_lo
	v_cmp_eq_u32_e32 vcc_lo, 0, v0
	v_lshlrev_b32_e32 v5, 2, v5
	s_waitcnt lgkmcnt(0)
	v_add_f32_e32 v13, v13, v14
	ds_bpermute_b32 v14, v4, v13
	s_waitcnt lgkmcnt(0)
	v_add_f32_e32 v13, v13, v14
	ds_bpermute_b32 v14, v5, v13
	s_and_saveexec_b32 s3, vcc_lo
	s_cbranch_execz .LBB251_7
; %bb.6:
	s_waitcnt lgkmcnt(0)
	v_add_f32_e32 v0, v13, v14
	v_mov_b32_e32 v13, 0
	global_store_dword v13, v0, s[0:1]
.LBB251_7:
	s_or_b32 exec_lo, exec_lo, s3
	ds_bpermute_b32 v0, v1, v12
	s_waitcnt lgkmcnt(0)
	v_add_f32_e32 v0, v12, v0
	ds_bpermute_b32 v12, v2, v0
	s_waitcnt lgkmcnt(0)
	v_add_f32_e32 v0, v0, v12
	;; [unrolled: 3-line block ×4, first 2 shown]
	ds_bpermute_b32 v12, v5, v0
	s_and_saveexec_b32 s4, vcc_lo
	s_cbranch_execz .LBB251_9
; %bb.8:
	s_mov_b32 s3, 0
	s_waitcnt lgkmcnt(0)
	v_add_f32_e32 v0, v0, v12
	s_lshl_b64 s[6:7], s[2:3], 2
	v_mov_b32_e32 v12, 0
	s_add_u32 s6, s0, s6
	s_addc_u32 s7, s1, s7
	global_store_dword v12, v0, s[6:7]
.LBB251_9:
	s_or_b32 exec_lo, exec_lo, s4
	ds_bpermute_b32 v0, v1, v11
	s_waitcnt lgkmcnt(0)
	v_add_f32_e32 v0, v11, v0
	ds_bpermute_b32 v11, v2, v0
	s_waitcnt lgkmcnt(0)
	v_add_f32_e32 v0, v0, v11
	ds_bpermute_b32 v11, v3, v0
	s_waitcnt lgkmcnt(0)
	v_add_f32_e32 v0, v0, v11
	ds_bpermute_b32 v11, v4, v0
	s_waitcnt lgkmcnt(0)
	v_add_f32_e32 v0, v0, v11
	ds_bpermute_b32 v11, v5, v0
	s_and_saveexec_b32 s3, vcc_lo
	s_cbranch_execz .LBB251_11
; %bb.10:
	s_lshl_b32 s4, s2, 1
	s_mov_b32 s5, 0
	s_waitcnt lgkmcnt(0)
	v_add_f32_e32 v0, v0, v11
	s_lshl_b64 s[4:5], s[4:5], 2
	v_mov_b32_e32 v11, 0
	s_add_u32 s4, s0, s4
	s_addc_u32 s5, s1, s5
	global_store_dword v11, v0, s[4:5]
.LBB251_11:
	s_or_b32 exec_lo, exec_lo, s3
	ds_bpermute_b32 v0, v1, v10
	s_waitcnt lgkmcnt(0)
	v_add_f32_e32 v0, v10, v0
	ds_bpermute_b32 v10, v2, v0
	s_waitcnt lgkmcnt(0)
	v_add_f32_e32 v0, v0, v10
	;; [unrolled: 3-line block ×4, first 2 shown]
	ds_bpermute_b32 v10, v5, v0
	s_and_saveexec_b32 s3, vcc_lo
	s_cbranch_execz .LBB251_13
; %bb.12:
	s_mul_i32 s4, s2, 3
	s_mov_b32 s5, 0
	s_waitcnt lgkmcnt(0)
	v_add_f32_e32 v0, v0, v10
	s_lshl_b64 s[4:5], s[4:5], 2
	v_mov_b32_e32 v10, 0
	s_add_u32 s4, s0, s4
	s_addc_u32 s5, s1, s5
	global_store_dword v10, v0, s[4:5]
.LBB251_13:
	s_or_b32 exec_lo, exec_lo, s3
	ds_bpermute_b32 v0, v1, v9
	s_waitcnt lgkmcnt(0)
	v_add_f32_e32 v0, v9, v0
	ds_bpermute_b32 v9, v2, v0
	s_waitcnt lgkmcnt(0)
	v_add_f32_e32 v0, v0, v9
	;; [unrolled: 3-line block ×4, first 2 shown]
	ds_bpermute_b32 v9, v5, v0
	s_and_saveexec_b32 s3, vcc_lo
	s_cbranch_execz .LBB251_15
; %bb.14:
	s_lshl_b32 s4, s2, 2
	s_mov_b32 s5, 0
	s_waitcnt lgkmcnt(0)
	v_add_f32_e32 v0, v0, v9
	s_lshl_b64 s[4:5], s[4:5], 2
	v_mov_b32_e32 v9, 0
	s_add_u32 s4, s0, s4
	s_addc_u32 s5, s1, s5
	global_store_dword v9, v0, s[4:5]
.LBB251_15:
	s_or_b32 exec_lo, exec_lo, s3
	ds_bpermute_b32 v0, v1, v8
	s_waitcnt lgkmcnt(0)
	v_add_f32_e32 v0, v8, v0
	ds_bpermute_b32 v8, v2, v0
	s_waitcnt lgkmcnt(0)
	v_add_f32_e32 v0, v0, v8
	;; [unrolled: 3-line block ×4, first 2 shown]
	ds_bpermute_b32 v8, v5, v0
	s_and_saveexec_b32 s3, vcc_lo
	s_cbranch_execz .LBB251_17
; %bb.16:
	s_mul_i32 s4, s2, 5
	s_mov_b32 s5, 0
	s_waitcnt lgkmcnt(0)
	v_add_f32_e32 v0, v0, v8
	s_lshl_b64 s[4:5], s[4:5], 2
	v_mov_b32_e32 v8, 0
	s_add_u32 s4, s0, s4
	s_addc_u32 s5, s1, s5
	global_store_dword v8, v0, s[4:5]
.LBB251_17:
	s_or_b32 exec_lo, exec_lo, s3
	ds_bpermute_b32 v0, v1, v7
	s_waitcnt lgkmcnt(0)
	v_add_f32_e32 v0, v7, v0
	ds_bpermute_b32 v7, v2, v0
	s_waitcnt lgkmcnt(0)
	v_add_f32_e32 v0, v0, v7
	ds_bpermute_b32 v7, v3, v0
	s_waitcnt lgkmcnt(0)
	v_add_f32_e32 v0, v0, v7
	ds_bpermute_b32 v7, v4, v0
	s_waitcnt lgkmcnt(0)
	v_add_f32_e32 v0, v0, v7
	ds_bpermute_b32 v7, v5, v0
	s_and_saveexec_b32 s3, vcc_lo
	s_cbranch_execz .LBB251_19
; %bb.18:
	s_mul_i32 s4, s2, 6
	s_mov_b32 s5, 0
	s_waitcnt lgkmcnt(0)
	v_add_f32_e32 v0, v0, v7
	s_lshl_b64 s[4:5], s[4:5], 2
	v_mov_b32_e32 v7, 0
	s_add_u32 s4, s0, s4
	s_addc_u32 s5, s1, s5
	global_store_dword v7, v0, s[4:5]
.LBB251_19:
	s_or_b32 exec_lo, exec_lo, s3
	ds_bpermute_b32 v0, v1, v6
	s_waitcnt lgkmcnt(0)
	v_add_f32_e32 v0, v6, v0
	ds_bpermute_b32 v1, v2, v0
	s_waitcnt lgkmcnt(0)
	v_add_f32_e32 v0, v0, v1
	ds_bpermute_b32 v1, v3, v0
	s_waitcnt lgkmcnt(0)
	v_add_f32_e32 v0, v0, v1
	ds_bpermute_b32 v1, v4, v0
	s_waitcnt lgkmcnt(0)
	v_add_f32_e32 v0, v0, v1
	ds_bpermute_b32 v1, v5, v0
	s_and_b32 exec_lo, exec_lo, vcc_lo
	s_cbranch_execz .LBB251_21
; %bb.20:
	s_mul_i32 s2, s2, 7
	s_mov_b32 s3, 0
	s_waitcnt lgkmcnt(0)
	v_add_f32_e32 v0, v0, v1
	s_lshl_b64 s[2:3], s[2:3], 2
	v_mov_b32_e32 v1, 0
	s_add_u32 s0, s0, s2
	s_addc_u32 s1, s1, s3
	global_store_dword v1, v0, s[0:1]
.LBB251_21:
	s_endpgm
	.section	.rodata,"a",@progbits
	.p2align	6, 0x0
	.amdhsa_kernel _ZL13mul_mat_vec_qIL9ggml_type23ELi8ELb0ELb0EEvPKvS2_PKi31ggml_cuda_mm_fusion_args_devicePfj15HIP_vector_typeIjLj3EEjjjS8_jjjS8_jjjj
		.amdhsa_group_segment_fixed_size 0
		.amdhsa_private_segment_fixed_size 0
		.amdhsa_kernarg_size 144
		.amdhsa_user_sgpr_count 6
		.amdhsa_user_sgpr_private_segment_buffer 1
		.amdhsa_user_sgpr_dispatch_ptr 0
		.amdhsa_user_sgpr_queue_ptr 0
		.amdhsa_user_sgpr_kernarg_segment_ptr 1
		.amdhsa_user_sgpr_dispatch_id 0
		.amdhsa_user_sgpr_flat_scratch_init 0
		.amdhsa_user_sgpr_private_segment_size 0
		.amdhsa_wavefront_size32 1
		.amdhsa_uses_dynamic_stack 0
		.amdhsa_system_sgpr_private_segment_wavefront_offset 0
		.amdhsa_system_sgpr_workgroup_id_x 1
		.amdhsa_system_sgpr_workgroup_id_y 1
		.amdhsa_system_sgpr_workgroup_id_z 1
		.amdhsa_system_sgpr_workgroup_info 0
		.amdhsa_system_vgpr_workitem_id 1
		.amdhsa_next_free_vgpr 40
		.amdhsa_next_free_sgpr 28
		.amdhsa_reserve_vcc 1
		.amdhsa_reserve_flat_scratch 0
		.amdhsa_float_round_mode_32 0
		.amdhsa_float_round_mode_16_64 0
		.amdhsa_float_denorm_mode_32 3
		.amdhsa_float_denorm_mode_16_64 3
		.amdhsa_dx10_clamp 1
		.amdhsa_ieee_mode 1
		.amdhsa_fp16_overflow 0
		.amdhsa_workgroup_processor_mode 1
		.amdhsa_memory_ordered 1
		.amdhsa_forward_progress 1
		.amdhsa_shared_vgpr_count 0
		.amdhsa_exception_fp_ieee_invalid_op 0
		.amdhsa_exception_fp_denorm_src 0
		.amdhsa_exception_fp_ieee_div_zero 0
		.amdhsa_exception_fp_ieee_overflow 0
		.amdhsa_exception_fp_ieee_underflow 0
		.amdhsa_exception_fp_ieee_inexact 0
		.amdhsa_exception_int_div_zero 0
	.end_amdhsa_kernel
	.section	.text._ZL13mul_mat_vec_qIL9ggml_type23ELi8ELb0ELb0EEvPKvS2_PKi31ggml_cuda_mm_fusion_args_devicePfj15HIP_vector_typeIjLj3EEjjjS8_jjjS8_jjjj,"axG",@progbits,_ZL13mul_mat_vec_qIL9ggml_type23ELi8ELb0ELb0EEvPKvS2_PKi31ggml_cuda_mm_fusion_args_devicePfj15HIP_vector_typeIjLj3EEjjjS8_jjjS8_jjjj,comdat
.Lfunc_end251:
	.size	_ZL13mul_mat_vec_qIL9ggml_type23ELi8ELb0ELb0EEvPKvS2_PKi31ggml_cuda_mm_fusion_args_devicePfj15HIP_vector_typeIjLj3EEjjjS8_jjjS8_jjjj, .Lfunc_end251-_ZL13mul_mat_vec_qIL9ggml_type23ELi8ELb0ELb0EEvPKvS2_PKi31ggml_cuda_mm_fusion_args_devicePfj15HIP_vector_typeIjLj3EEjjjS8_jjjS8_jjjj
                                        ; -- End function
	.set _ZL13mul_mat_vec_qIL9ggml_type23ELi8ELb0ELb0EEvPKvS2_PKi31ggml_cuda_mm_fusion_args_devicePfj15HIP_vector_typeIjLj3EEjjjS8_jjjS8_jjjj.num_vgpr, 40
	.set _ZL13mul_mat_vec_qIL9ggml_type23ELi8ELb0ELb0EEvPKvS2_PKi31ggml_cuda_mm_fusion_args_devicePfj15HIP_vector_typeIjLj3EEjjjS8_jjjS8_jjjj.num_agpr, 0
	.set _ZL13mul_mat_vec_qIL9ggml_type23ELi8ELb0ELb0EEvPKvS2_PKi31ggml_cuda_mm_fusion_args_devicePfj15HIP_vector_typeIjLj3EEjjjS8_jjjS8_jjjj.numbered_sgpr, 28
	.set _ZL13mul_mat_vec_qIL9ggml_type23ELi8ELb0ELb0EEvPKvS2_PKi31ggml_cuda_mm_fusion_args_devicePfj15HIP_vector_typeIjLj3EEjjjS8_jjjS8_jjjj.num_named_barrier, 0
	.set _ZL13mul_mat_vec_qIL9ggml_type23ELi8ELb0ELb0EEvPKvS2_PKi31ggml_cuda_mm_fusion_args_devicePfj15HIP_vector_typeIjLj3EEjjjS8_jjjS8_jjjj.private_seg_size, 0
	.set _ZL13mul_mat_vec_qIL9ggml_type23ELi8ELb0ELb0EEvPKvS2_PKi31ggml_cuda_mm_fusion_args_devicePfj15HIP_vector_typeIjLj3EEjjjS8_jjjS8_jjjj.uses_vcc, 1
	.set _ZL13mul_mat_vec_qIL9ggml_type23ELi8ELb0ELb0EEvPKvS2_PKi31ggml_cuda_mm_fusion_args_devicePfj15HIP_vector_typeIjLj3EEjjjS8_jjjS8_jjjj.uses_flat_scratch, 0
	.set _ZL13mul_mat_vec_qIL9ggml_type23ELi8ELb0ELb0EEvPKvS2_PKi31ggml_cuda_mm_fusion_args_devicePfj15HIP_vector_typeIjLj3EEjjjS8_jjjS8_jjjj.has_dyn_sized_stack, 0
	.set _ZL13mul_mat_vec_qIL9ggml_type23ELi8ELb0ELb0EEvPKvS2_PKi31ggml_cuda_mm_fusion_args_devicePfj15HIP_vector_typeIjLj3EEjjjS8_jjjS8_jjjj.has_recursion, 0
	.set _ZL13mul_mat_vec_qIL9ggml_type23ELi8ELb0ELb0EEvPKvS2_PKi31ggml_cuda_mm_fusion_args_devicePfj15HIP_vector_typeIjLj3EEjjjS8_jjjS8_jjjj.has_indirect_call, 0
	.section	.AMDGPU.csdata,"",@progbits
; Kernel info:
; codeLenInByte = 3020
; TotalNumSgprs: 30
; NumVgprs: 40
; ScratchSize: 0
; MemoryBound: 0
; FloatMode: 240
; IeeeMode: 1
; LDSByteSize: 0 bytes/workgroup (compile time only)
; SGPRBlocks: 0
; VGPRBlocks: 4
; NumSGPRsForWavesPerEU: 30
; NumVGPRsForWavesPerEU: 40
; Occupancy: 16
; WaveLimiterHint : 0
; COMPUTE_PGM_RSRC2:SCRATCH_EN: 0
; COMPUTE_PGM_RSRC2:USER_SGPR: 6
; COMPUTE_PGM_RSRC2:TRAP_HANDLER: 0
; COMPUTE_PGM_RSRC2:TGID_X_EN: 1
; COMPUTE_PGM_RSRC2:TGID_Y_EN: 1
; COMPUTE_PGM_RSRC2:TGID_Z_EN: 1
; COMPUTE_PGM_RSRC2:TIDIG_COMP_CNT: 1
	.section	.text._ZL17mul_mat_vec_q_moeIL9ggml_type21ELi2EEvPKvS2_PKiPfj15HIP_vector_typeIjLj3EEjjjjjjjjj,"axG",@progbits,_ZL17mul_mat_vec_q_moeIL9ggml_type21ELi2EEvPKvS2_PKiPfj15HIP_vector_typeIjLj3EEjjjjjjjjj,comdat
	.globl	_ZL17mul_mat_vec_q_moeIL9ggml_type21ELi2EEvPKvS2_PKiPfj15HIP_vector_typeIjLj3EEjjjjjjjjj ; -- Begin function _ZL17mul_mat_vec_q_moeIL9ggml_type21ELi2EEvPKvS2_PKiPfj15HIP_vector_typeIjLj3EEjjjjjjjjj
	.p2align	8
	.type	_ZL17mul_mat_vec_q_moeIL9ggml_type21ELi2EEvPKvS2_PKiPfj15HIP_vector_typeIjLj3EEjjjjjjjjj,@function
_ZL17mul_mat_vec_q_moeIL9ggml_type21ELi2EEvPKvS2_PKiPfj15HIP_vector_typeIjLj3EEjjjjjjjjj: ; @_ZL17mul_mat_vec_q_moeIL9ggml_type21ELi2EEvPKvS2_PKiPfj15HIP_vector_typeIjLj3EEjjjjjjjjj
; %bb.0:
	s_load_dwordx8 s[16:23], s[4:5], 0x30
	s_mov_b32 s0, exec_lo
	s_waitcnt lgkmcnt(0)
	v_cmpx_gt_u32_e64 s23, v1
	s_cbranch_execz .LBB252_7
; %bb.1:
	s_clause 0x2
	s_load_dword s1, s[4:5], 0x20
	s_load_dword s0, s[4:5], 0x50
	s_load_dwordx8 s[8:15], s[4:5], 0x0
	v_lshrrev_b32_e32 v12, 3, v0
	v_mov_b32_e32 v11, 0
	v_mov_b32_e32 v13, 0
	s_mov_b32 s2, s7
	s_lshl_b32 s3, s6, 1
	s_mov_b32 s6, exec_lo
	s_waitcnt lgkmcnt(0)
	s_lshr_b32 s7, s1, 8
	v_cmpx_gt_u32_e64 s7, v12
	s_cbranch_execz .LBB252_5
; %bb.2:
	v_mad_u64_u32 v[5:6], null, s0, v1, s[2:3]
	v_mov_b32_e32 v6, 0
	s_load_dwordx4 s[24:27], s[4:5], 0x24
	v_and_b32_e32 v14, 7, v0
	s_mov_b32 s4, 0
	v_lshlrev_b64 v[2:3], 2, v[5:6]
	v_lshrrev_b32_e32 v5, 3, v0
	v_add_co_u32 v2, vcc_lo, s12, v2
	v_add_co_ci_u32_e64 v3, null, s13, v3, vcc_lo
	global_load_dword v4, v[2:3], off
	v_mul_lo_u32 v2, s18, v1
	s_waitcnt lgkmcnt(0)
	s_mul_hi_u32 s0, s24, s2
	s_add_i32 s0, s2, s0
	s_lshr_b32 s0, s0, s25
	s_mul_i32 s0, s0, s26
	v_mad_u64_u32 v[2:3], null, v2, 36, 0
	s_sub_i32 s0, s2, s0
	s_mul_i32 s0, s0, s21
	v_mad_u64_u32 v[2:3], null, 0x120, v5, v[2:3]
	v_lshlrev_b32_e32 v5, 1, v0
	v_and_b32_e32 v13, 14, v5
	v_mad_u64_u32 v[2:3], null, s0, 36, v[2:3]
	v_bfe_u32 v15, v5, 2, 2
	s_add_i32 s0, s3, 1
	v_lshlrev_b32_e32 v5, 1, v13
	v_lshlrev_b32_e32 v18, 1, v13
	v_mov_b32_e32 v13, 0
	v_mad_u64_u32 v[2:3], null, v14, 36, v[2:3]
	v_and_b32_e32 v16, 4, v5
	v_lshlrev_b32_e32 v17, 1, v5
	v_add_co_u32 v2, vcc_lo, s10, v2
	v_add_co_ci_u32_e64 v3, null, s11, v3, vcc_lo
	v_add_co_u32 v7, vcc_lo, v2, 32
	v_add_co_ci_u32_e64 v8, null, 0, v3, vcc_lo
	s_waitcnt vmcnt(0)
	v_mul_lo_u32 v4, v4, s20
	v_mad_u64_u32 v[9:10], null, s3, s17, v[4:5]
	v_mad_u64_u32 v[10:11], null, s17, s0, v[4:5]
	v_mov_b32_e32 v11, 0
.LBB252_3:                              ; =>This Inner Loop Header: Depth=1
	v_add_nc_u32_e32 v19, v9, v12
	v_add_nc_u32_e32 v20, v10, v12
	global_load_dwordx4 v[2:5], v[7:8], off offset:-32
	s_getpc_b64 s[0:1]
	s_add_u32 s0, s0, _ZL9iq3s_grid@rel32@lo+4
	s_addc_u32 s1, s1, _ZL9iq3s_grid@rel32@hi+12
	v_add_nc_u32_e32 v12, 4, v12
	v_mad_i64_i32 v[21:22], null, 0x6e, v19, s[8:9]
	v_mad_i64_i32 v[19:20], null, 0x6e, v20, s[8:9]
	v_add_co_u32 v23, vcc_lo, v21, v17
	v_add_co_ci_u32_e64 v24, null, 0, v22, vcc_lo
	v_add_co_u32 v25, vcc_lo, v21, v14
	v_add_co_ci_u32_e64 v26, null, 0, v22, vcc_lo
	;; [unrolled: 2-line block ×8, first 2 shown]
	s_clause 0x9
	global_load_dword v27, v[27:28], off offset:74
	global_load_dwordx2 v[23:24], v[23:24], off offset:2
	global_load_ubyte v28, v[29:30], off offset:106
	global_load_ushort v19, v[19:20], off
	global_load_ubyte v29, v[25:26], off offset:66
	global_load_dwordx2 v[25:26], v[31:32], off offset:2
	global_load_dword v30, v[35:36], off offset:74
	global_load_ubyte v31, v[37:38], off offset:106
	global_load_ubyte v32, v[33:34], off offset:66
	global_load_ushort v20, v[21:22], off
	s_waitcnt vmcnt(10)
	v_cvt_f32_f16_e32 v2, v2
	s_waitcnt vmcnt(9)
	v_and_b32_e32 v36, 0xff, v27
	s_waitcnt vmcnt(8)
	v_and_b32_e32 v22, 0xff, v23
	v_bfe_u32 v34, v23, 8, 8
	v_lshlrev_b32_e32 v37, 21, v27
	s_waitcnt vmcnt(5)
	v_lshlrev_b32_e32 v33, 8, v29
	v_lshlrev_b32_e32 v35, 7, v29
	v_lshrrev_b32_e32 v65, 31, v27
	v_lshlrev_b32_e32 v38, 17, v27
	v_bfe_u32 v39, v23, 16, 8
	v_lshlrev_b32_e32 v40, 6, v29
	v_lshrrev_b32_e32 v23, 24, v23
	v_lshlrev_b32_e32 v41, 5, v29
	v_lshrrev_b32_e32 v21, 16, v27
	v_and_b32_e32 v48, 0xff, v24
	v_lshlrev_b32_e32 v49, 4, v29
	v_bfe_u32 v50, v24, 8, 8
	v_lshlrev_b32_e32 v51, 3, v29
	v_lshrrev_b32_e32 v52, 9, v27
	v_lshrrev_b32_e32 v53, 13, v27
	v_bfe_u32 v54, v24, 16, 8
	v_lshlrev_b32_e32 v55, 2, v29
	s_waitcnt vmcnt(4)
	v_and_b32_e32 v56, 0xff, v25
	v_bfe_u32 v57, v25, 8, 8
	v_bfe_u32 v58, v25, 16, 8
	v_lshrrev_b32_e32 v25, 24, v25
	v_and_b32_e32 v59, 0xff, v26
	v_bfe_u32 v60, v26, 8, 8
	v_bfe_u32 v61, v26, 16, 8
	v_lshrrev_b32_e32 v26, 24, v26
	s_waitcnt vmcnt(1)
	v_lshlrev_b32_e32 v67, 8, v32
	v_lshlrev_b32_e32 v68, 7, v32
	;; [unrolled: 1-line block ×8, first 2 shown]
	v_lshrrev_b32_e32 v24, 24, v24
	v_lshlrev_b32_e32 v29, 1, v29
	v_lshrrev_b32_e32 v79, 17, v30
	v_lshrrev_b32_e32 v80, 24, v30
	;; [unrolled: 1-line block ×3, first 2 shown]
	v_and_or_b32 v22, 0x100, v33, v22
	v_and_or_b32 v33, 0x100, v35, v34
	v_lshl_or_b32 v34, v36, 7, v37
	v_cmp_ne_u16_e32 vcc_lo, 0, v65
	v_lshl_or_b32 v35, v36, 3, v38
	v_and_or_b32 v36, 0x100, v40, v39
	v_and_or_b32 v23, 0x100, v41, v23
	;; [unrolled: 1-line block ×4, first 2 shown]
	v_lshl_or_b32 v39, v21, 21, v52
	v_lshl_or_b32 v21, v21, 17, v53
	v_and_or_b32 v40, 0x100, v55, v54
	v_and_or_b32 v41, 0x100, v67, v56
	;; [unrolled: 1-line block ×9, first 2 shown]
	v_and_b32_e32 v69, 0xff, v30
	v_lshlrev_b32_e32 v70, 21, v30
	v_lshrrev_b32_e32 v93, 18, v27
	v_lshrrev_b32_e32 v94, 22, v27
	;; [unrolled: 1-line block ×3, first 2 shown]
	v_and_or_b32 v24, 0x100, v29, v24
	v_lshl_or_b32 v32, v80, 21, v79
	v_cndmask_b32_e64 v60, 0, -1, vcc_lo
	v_cmp_ne_u16_e32 vcc_lo, 0, v81
	v_bfe_u32 v79, v34, 24, 1
	v_and_b32_e32 v34, 0x1800180, v34
	v_lshlrev_b32_e32 v22, 2, v22
	v_lshlrev_b32_e32 v33, 2, v33
	v_lshlrev_b32_e32 v36, 2, v36
	v_lshlrev_b32_e32 v23, 2, v23
	v_lshlrev_b32_e32 v37, 2, v37
	v_lshlrev_b32_e32 v38, 2, v38
	v_lshlrev_b32_e32 v40, 2, v40
	v_lshlrev_b32_e32 v41, 2, v41
	v_lshlrev_b32_e32 v48, 2, v48
	v_lshlrev_b32_e32 v51, 2, v51
	v_lshlrev_b32_e32 v25, 2, v25
	v_lshlrev_b32_e32 v52, 2, v52
	v_lshlrev_b32_e32 v53, 2, v53
	v_lshlrev_b32_e32 v56, 2, v56
	v_lshlrev_b32_e32 v26, 2, v26
	v_lshrrev_b32_e32 v83, 1, v30
	v_lshl_or_b32 v49, v69, 7, v70
	v_cndmask_b32_e64 v70, 0, -1, vcc_lo
	v_bfe_i32 v73, v93, 0, 1
	v_bfe_i32 v74, v94, 0, 1
	;; [unrolled: 1-line block ×3, first 2 shown]
	v_bfe_u32 v80, v35, 24, 1
	v_and_b32_e32 v35, 0x1800180, v35
	v_lshlrev_b32_e32 v24, 2, v24
	s_clause 0xf
	global_load_dword v93, v22, s[0:1]
	global_load_dword v33, v33, s[0:1]
	;; [unrolled: 1-line block ×16, first 2 shown]
	v_cmp_ne_u16_sdwa s0, v34, v6 src0_sel:BYTE_1 src1_sel:DWORD
	v_cmp_ne_u16_e32 vcc_lo, 0, v79
	v_lshrrev_b32_e32 v62, 17, v27
	v_lshrrev_b32_e32 v63, 24, v27
	;; [unrolled: 1-line block ×3, first 2 shown]
	v_and_b32_e32 v61, 0x180, v83
	v_bfe_u32 v83, v39, 24, 1
	v_and_b32_e32 v39, 0x1800180, v39
	v_lshrrev_b16 v99, 7, v34
	v_cndmask_b32_e64 v34, 0, -1, s0
	v_cndmask_b32_e64 v79, 0, -1, vcc_lo
	v_cmp_ne_u16_sdwa s0, v35, v6 src0_sel:BYTE_1 src1_sel:DWORD
	v_cmp_ne_u16_e32 vcc_lo, 0, v80
	v_lshrrev_b32_e32 v42, 1, v27
	v_lshrrev_b32_e32 v85, 10, v30
	v_lshl_or_b32 v29, v63, 21, v62
	v_bfe_i32 v62, v84, 0, 1
	v_bfe_u32 v84, v21, 24, 1
	v_and_b32_e32 v21, 0x1800180, v21
	v_lshrrev_b16 v100, 7, v35
	v_cndmask_b32_e64 v35, 0, -1, s0
	v_cndmask_b32_e64 v80, 0, -1, vcc_lo
	v_cmp_ne_u16_sdwa s0, v39, v6 src0_sel:BYTE_1 src1_sel:DWORD
	v_cmp_ne_u16_e32 vcc_lo, 0, v83
	v_lshrrev_b32_e32 v45, 5, v27
	v_lshrrev_b32_e32 v64, 21, v27
	v_lshlrev_b32_e32 v71, 17, v30
	v_lshrrev_b32_e32 v86, 5, v30
	v_and_b32_e32 v42, 0x180, v42
	v_bfe_i32 v63, v85, 0, 1
	v_bfe_u32 v85, v29, 24, 1
	v_and_b32_e32 v29, 0x1800180, v29
	v_lshrrev_b16 v101, 7, v39
	v_cndmask_b32_e64 v39, 0, -1, s0
	v_cndmask_b32_e64 v83, 0, -1, vcc_lo
	v_cmp_ne_u16_sdwa s0, v21, v6 src0_sel:BYTE_1 src1_sel:DWORD
	v_cmp_ne_u16_e32 vcc_lo, 0, v84
	v_lshrrev_b32_e32 v66, 16, v30
	v_lshrrev_b32_e32 v76, 9, v30
	;; [unrolled: 1-line block ×3, first 2 shown]
	v_lshl_or_b32 v50, v69, 3, v71
	v_and_b32_e32 v45, 0x180, v45
	v_lshrrev_b16 v57, 8, v64
	v_lshrrev_b16 v58, 7, v64
	v_and_b32_e32 v64, 0x180, v86
	v_cmp_ne_u16_sdwa s5, v42, v6 src0_sel:BYTE_1 src1_sel:DWORD
	v_bfe_u32 v86, v49, 24, 1
	v_and_b32_e32 v49, 0x1800180, v49
	v_lshrrev_b16 v102, 7, v21
	v_cndmask_b32_e64 v21, 0, -1, s0
	v_cndmask_b32_e64 v84, 0, -1, vcc_lo
	v_cmp_ne_u16_sdwa s0, v29, v6 src0_sel:BYTE_1 src1_sel:DWORD
	v_cmp_ne_u16_e32 vcc_lo, 0, v85
	v_lshrrev_b32_e32 v77, 13, v30
	v_lshrrev_b32_e32 v82, 30, v27
	;; [unrolled: 1-line block ×3, first 2 shown]
	v_lshl_or_b32 v54, v66, 21, v76
	v_bfe_i32 v65, v87, 0, 1
	v_lshrrev_b16 v81, 7, v42
	v_cndmask_b32_e64 v42, 0, -1, s5
	v_cmp_ne_u16_sdwa s5, v45, v6 src0_sel:BYTE_1 src1_sel:DWORD
	v_bfe_u32 v87, v50, 24, 1
	v_and_b32_e32 v50, 0x1800180, v50
	v_lshrrev_b16 v103, 7, v29
	v_cndmask_b32_e64 v29, 0, -1, s0
	v_cndmask_b32_e64 v85, 0, -1, vcc_lo
	v_cmp_ne_u16_sdwa s0, v49, v6 src0_sel:BYTE_1 src1_sel:DWORD
	v_cmp_ne_u16_e32 vcc_lo, 0, v86
	v_lshrrev_b32_e32 v43, 11, v27
	v_lshrrev_b32_e32 v46, 15, v27
	v_lshrrev_b32_e32 v89, 21, v30
	v_lshrrev_b32_e32 v91, 2, v27
	v_lshl_or_b32 v55, v66, 17, v77
	v_bfe_i32 v59, v82, 0, 1
	v_bfe_i32 v66, v88, 0, 1
	v_lshrrev_b16 v82, 7, v45
	v_cndmask_b32_e64 v45, 0, -1, s5
	v_bfe_u32 v88, v54, 24, 1
	v_cmp_ne_u16_sdwa s5, v61, v6 src0_sel:BYTE_1 src1_sel:DWORD
	v_and_b32_e32 v54, 0x1800180, v54
	v_lshrrev_b16 v104, 7, v49
	v_cndmask_b32_e64 v49, 0, -1, s0
	v_cndmask_b32_e64 v86, 0, -1, vcc_lo
	v_cmp_ne_u16_sdwa s0, v50, v6 src0_sel:BYTE_1 src1_sel:DWORD
	v_cmp_ne_u16_e32 vcc_lo, 0, v87
	v_lshrrev_b32_e32 v44, 10, v27
	v_lshrrev_b32_e32 v47, 14, v27
	;; [unrolled: 1-line block ×3, first 2 shown]
	v_bfe_i32 v43, v43, 0, 1
	v_bfe_i32 v46, v46, 0, 1
	v_lshrrev_b16 v67, 8, v89
	v_lshrrev_b16 v68, 7, v89
	v_bfe_i32 v71, v91, 0, 1
	v_bfe_u32 v89, v55, 24, 1
	v_bfe_i32 v57, v57, 0, 1
	v_lshrrev_b16 v91, 7, v61
	v_cndmask_b32_e64 v61, 0, -1, s5
	v_cmp_ne_u16_sdwa s5, v64, v6 src0_sel:BYTE_1 src1_sel:DWORD
	v_and_b32_e32 v55, 0x1800180, v55
	v_lshrrev_b16 v105, 7, v50
	v_cndmask_b32_e64 v50, 0, -1, s0
	v_cndmask_b32_e64 v87, 0, -1, vcc_lo
	v_cmp_ne_u16_sdwa s0, v54, v6 src0_sel:BYTE_1 src1_sel:DWORD
	v_cmp_ne_u16_e32 vcc_lo, 0, v88
	v_lshrrev_b32_e32 v90, 30, v30
	v_bfe_i32 v44, v44, 0, 1
	v_bfe_i32 v47, v47, 0, 1
	;; [unrolled: 1-line block ×3, first 2 shown]
	v_lshlrev_b16 v43, 8, v43
	v_lshlrev_b16 v46, 8, v46
	v_bfe_i32 v58, v58, 0, 1
	v_lshlrev_b16 v60, 8, v60
	v_lshrrev_b16 v92, 7, v64
	v_cndmask_b32_e64 v64, 0, -1, s5
	v_bfe_i32 v67, v67, 0, 1
	v_bfe_i32 v81, v81, 0, 1
	v_lshlrev_b16 v42, 8, v42
	v_bfe_i32 v82, v82, 0, 1
	v_lshlrev_b16 v45, 8, v45
	v_lshlrev_b16 v57, 8, v57
	v_lshrrev_b16 v106, 7, v54
	v_cndmask_b32_e64 v54, 0, -1, s0
	v_cndmask_b32_e64 v88, 0, -1, vcc_lo
	v_cmp_ne_u16_sdwa s0, v55, v6 src0_sel:BYTE_1 src1_sel:DWORD
	v_cmp_ne_u16_e32 vcc_lo, 0, v89
	v_lshrrev_b32_e32 v27, 26, v27
	v_lshrrev_b32_e32 v96, 6, v30
	v_lshrrev_b32_e32 v97, 18, v30
	v_lshrrev_b32_e32 v98, 22, v30
	v_bfe_i32 v69, v90, 0, 1
	v_lshlrev_b16 v62, 8, v62
	v_lshlrev_b16 v65, 8, v65
	v_bfe_i32 v68, v68, 0, 1
	v_lshlrev_b16 v70, 8, v70
	v_or_b32_sdwa v22, v44, v43 dst_sel:WORD_1 dst_unused:UNUSED_PAD src0_sel:BYTE_0 src1_sel:DWORD
	v_or_b32_sdwa v23, v47, v46 dst_sel:WORD_1 dst_unused:UNUSED_PAD src0_sel:BYTE_0 src1_sel:DWORD
	;; [unrolled: 1-line block ×3, first 2 shown]
	v_bfe_i32 v91, v91, 0, 1
	v_lshlrev_b16 v61, 8, v61
	v_bfe_i32 v92, v92, 0, 1
	v_lshlrev_b16 v64, 8, v64
	v_lshlrev_b16 v67, 8, v67
	v_lshrrev_b16 v107, 7, v55
	v_cndmask_b32_e64 v55, 0, -1, s0
	v_cndmask_b32_e64 v89, 0, -1, vcc_lo
	v_or_b32_sdwa v109, v81, v42 dst_sel:DWORD dst_unused:UNUSED_PAD src0_sel:BYTE_0 src1_sel:DWORD
	v_or_b32_sdwa v110, v82, v45 dst_sel:DWORD dst_unused:UNUSED_PAD src0_sel:BYTE_0 src1_sel:DWORD
	;; [unrolled: 1-line block ×3, first 2 shown]
	v_bfe_i32 v99, v99, 0, 1
	v_lshlrev_b16 v34, 8, v34
	v_lshlrev_b16 v79, 8, v79
	v_bfe_i32 v100, v100, 0, 1
	v_lshlrev_b16 v35, 8, v35
	v_lshlrev_b16 v80, 8, v80
	v_bfe_i32 v27, v27, 0, 1
	v_bfe_i32 v76, v96, 0, 1
	;; [unrolled: 1-line block ×4, first 2 shown]
	v_or_b32_sdwa v96, v63, v62 dst_sel:WORD_1 dst_unused:UNUSED_PAD src0_sel:BYTE_0 src1_sel:DWORD
	v_or_b32_sdwa v97, v66, v65 dst_sel:WORD_1 dst_unused:UNUSED_PAD src0_sel:BYTE_0 src1_sel:DWORD
	;; [unrolled: 1-line block ×3, first 2 shown]
	v_or_b32_sdwa v112, v91, v61 dst_sel:DWORD dst_unused:UNUSED_PAD src0_sel:BYTE_0 src1_sel:DWORD
	v_or_b32_sdwa v113, v92, v64 dst_sel:DWORD dst_unused:UNUSED_PAD src0_sel:BYTE_0 src1_sel:DWORD
	;; [unrolled: 1-line block ×3, first 2 shown]
	v_bfe_i32 v101, v101, 0, 1
	v_lshlrev_b16 v39, 8, v39
	v_lshlrev_b16 v83, 8, v83
	v_bfe_i32 v102, v102, 0, 1
	v_lshlrev_b16 v115, 8, v21
	v_lshlrev_b16 v84, 8, v84
	;; [unrolled: 3-line block ×7, first 2 shown]
	v_or_b32_sdwa v109, v109, v22 dst_sel:DWORD dst_unused:UNUSED_PAD src0_sel:WORD_0 src1_sel:DWORD
	v_or_b32_sdwa v110, v110, v23 dst_sel:DWORD dst_unused:UNUSED_PAD src0_sel:WORD_0 src1_sel:DWORD
	;; [unrolled: 1-line block ×3, first 2 shown]
	v_or_b32_sdwa v21, v99, v34 dst_sel:DWORD dst_unused:UNUSED_PAD src0_sel:BYTE_0 src1_sel:DWORD
	v_or_b32_sdwa v22, v71, v79 dst_sel:WORD_1 dst_unused:UNUSED_PAD src0_sel:BYTE_0 src1_sel:DWORD
	v_or_b32_sdwa v23, v100, v35 dst_sel:DWORD dst_unused:UNUSED_PAD src0_sel:BYTE_0 src1_sel:DWORD
	v_or_b32_sdwa v24, v72, v80 dst_sel:WORD_1 dst_unused:UNUSED_PAD src0_sel:BYTE_0 src1_sel:DWORD
	v_bfe_u32 v90, v32, 24, 1
	v_and_b32_e32 v32, 0x1800180, v32
	v_or_b32_sdwa v96, v112, v96 dst_sel:DWORD dst_unused:UNUSED_PAD src0_sel:WORD_0 src1_sel:DWORD
	v_or_b32_sdwa v97, v113, v97 dst_sel:DWORD dst_unused:UNUSED_PAD src0_sel:WORD_0 src1_sel:DWORD
	;; [unrolled: 1-line block ×3, first 2 shown]
	v_or_b32_sdwa v112, v101, v39 dst_sel:DWORD dst_unused:UNUSED_PAD src0_sel:BYTE_0 src1_sel:DWORD
	v_or_b32_sdwa v113, v73, v83 dst_sel:WORD_1 dst_unused:UNUSED_PAD src0_sel:BYTE_0 src1_sel:DWORD
	v_or_b32_sdwa v114, v102, v115 dst_sel:DWORD dst_unused:UNUSED_PAD src0_sel:BYTE_0 src1_sel:DWORD
	v_or_b32_sdwa v116, v74, v84 dst_sel:WORD_1 dst_unused:UNUSED_PAD src0_sel:BYTE_0 src1_sel:DWORD
	v_or_b32_sdwa v117, v103, v29 dst_sel:DWORD dst_unused:UNUSED_PAD src0_sel:BYTE_0 src1_sel:DWORD
	v_or_b32_sdwa v118, v27, v85 dst_sel:WORD_1 dst_unused:UNUSED_PAD src0_sel:BYTE_0 src1_sel:DWORD
	v_or_b32_sdwa v119, v104, v49 dst_sel:DWORD dst_unused:UNUSED_PAD src0_sel:BYTE_0 src1_sel:DWORD
	v_or_b32_sdwa v120, v75, v86 dst_sel:WORD_1 dst_unused:UNUSED_PAD src0_sel:BYTE_0 src1_sel:DWORD
	v_or_b32_sdwa v121, v105, v50 dst_sel:DWORD dst_unused:UNUSED_PAD src0_sel:BYTE_0 src1_sel:DWORD
	v_or_b32_sdwa v122, v76, v87 dst_sel:WORD_1 dst_unused:UNUSED_PAD src0_sel:BYTE_0 src1_sel:DWORD
	v_or_b32_sdwa v123, v21, v22 dst_sel:DWORD dst_unused:UNUSED_PAD src0_sel:WORD_0 src1_sel:DWORD
	v_or_b32_sdwa v21, v106, v54 dst_sel:DWORD dst_unused:UNUSED_PAD src0_sel:BYTE_0 src1_sel:DWORD
	v_or_b32_sdwa v124, v23, v24 dst_sel:DWORD dst_unused:UNUSED_PAD src0_sel:WORD_0 src1_sel:DWORD
	v_or_b32_sdwa v22, v77, v88 dst_sel:WORD_1 dst_unused:UNUSED_PAD src0_sel:BYTE_0 src1_sel:DWORD
	v_or_b32_sdwa v23, v107, v55 dst_sel:DWORD dst_unused:UNUSED_PAD src0_sel:BYTE_0 src1_sel:DWORD
	v_or_b32_sdwa v24, v78, v89 dst_sel:WORD_1 dst_unused:UNUSED_PAD src0_sel:BYTE_0 src1_sel:DWORD
	v_cmp_ne_u16_sdwa s0, v32, v6 src0_sel:BYTE_1 src1_sel:DWORD
	v_cmp_ne_u16_e32 vcc_lo, 0, v90
	v_or_b32_sdwa v112, v112, v113 dst_sel:DWORD dst_unused:UNUSED_PAD src0_sel:WORD_0 src1_sel:DWORD
	v_or_b32_sdwa v113, v114, v116 dst_sel:DWORD dst_unused:UNUSED_PAD src0_sel:WORD_0 src1_sel:DWORD
	;; [unrolled: 1-line block ×7, first 2 shown]
	global_load_dwordx4 v[21:24], v[7:8], off offset:-16
	v_lshrrev_b32_e32 v30, 26, v30
	v_lshrrev_b16 v108, 7, v32
	v_cndmask_b32_e64 v32, 0, -1, s0
	v_cndmask_b32_e64 v90, 0, -1, vcc_lo
	v_lshlrev_b16 v81, 8, v81
	v_bfe_i32 v30, v30, 0, 1
	v_bfe_i32 v108, v108, 0, 1
	v_lshlrev_b16 v32, 8, v32
	v_lshlrev_b16 v90, 8, v90
	;; [unrolled: 1-line block ×5, first 2 shown]
	v_or_b32_sdwa v116, v108, v32 dst_sel:DWORD dst_unused:UNUSED_PAD src0_sel:BYTE_0 src1_sel:DWORD
	v_or_b32_sdwa v118, v30, v90 dst_sel:WORD_1 dst_unused:UNUSED_PAD src0_sel:BYTE_0 src1_sel:DWORD
	v_lshlrev_b16 v103, 8, v103
	v_lshlrev_b16 v58, 8, v58
	;; [unrolled: 1-line block ×4, first 2 shown]
	v_or_b32_sdwa v116, v116, v118 dst_sel:DWORD dst_unused:UNUSED_PAD src0_sel:WORD_0 src1_sel:DWORD
	global_load_dword v118, v[7:8], off
	v_lshlrev_b16 v104, 8, v104
	v_lshlrev_b16 v105, 8, v105
	;; [unrolled: 1-line block ×18, first 2 shown]
	v_mov_b32_e32 v122, 0
	v_lshlrev_b16 v66, 8, v66
	v_lshlrev_b16 v106, 8, v106
	;; [unrolled: 1-line block ×6, first 2 shown]
	v_lshrrev_b32_e32 v28, v16, v28
	v_lshrrev_b32_e32 v31, v16, v31
	v_cvt_f32_f16_e32 v19, v19
	v_add_co_u32 v7, vcc_lo, 0x480, v7
	v_lshlrev_b32_e32 v28, 1, v28
	v_cmp_le_u32_e64 s0, s7, v12
	v_add_co_ci_u32_e64 v8, null, 0, v8, vcc_lo
	s_or_b32 s4, s0, s4
	s_waitcnt vmcnt(17)
	v_xor_b32_e32 v93, v93, v123
	s_waitcnt vmcnt(16)
	v_xor_b32_e32 v33, v33, v124
	;; [unrolled: 2-line block ×11, first 2 shown]
	v_and_b32_e32 v96, 0xffffff00, v93
	s_waitcnt vmcnt(6)
	v_xor_b32_e32 v25, v25, v97
	s_waitcnt vmcnt(4)
	v_xor_b32_e32 v53, v53, v121
	;; [unrolled: 2-line block ×4, first 2 shown]
	v_lshlrev_b16 v97, 8, v93
	v_and_b32_e32 v98, 0xffffff00, v33
	v_lshlrev_b16 v110, 8, v33
	v_and_b32_e32 v111, 0xffffff00, v36
	;; [unrolled: 2-line block ×4, first 2 shown]
	v_sub_nc_i16 v34, v96, v34 clamp
	v_lshlrev_b16 v96, 8, v40
	v_lshlrev_b16 v117, 8, v37
	v_and_b32_e32 v121, 0xffffff00, v40
	v_sub_nc_i16 v97, v97, v99 clamp
	v_and_b32_e32 v99, 0xffffff00, v95
	v_sub_nc_i16 v35, v98, v35 clamp
	v_lshlrev_b16 v98, 8, v95
	v_sub_nc_i16 v100, v110, v100 clamp
	v_and_b32_e32 v110, 0xffffff00, v41
	v_sub_nc_i16 v42, v111, v42 clamp
	v_lshlrev_b16 v111, 8, v41
	v_sub_nc_i16 v81, v112, v81 clamp
	v_and_b32_e32 v112, 0xffffff00, v48
	v_sub_nc_i16 v45, v113, v45 clamp
	v_lshlrev_b16 v113, 8, v48
	v_sub_nc_i16 v82, v114, v82 clamp
	v_and_b32_e32 v114, 0xffffff00, v51
	v_sub_nc_i16 v39, v116, v39 clamp
	v_lshlrev_b16 v116, 8, v51
	v_sub_nc_i16 v96, v96, v103 clamp
	v_and_b32_e32 v103, 0xffffff00, v53
	v_lshrrev_b32_e32 v93, 16, v93
	v_lshrrev_b32_e32 v40, 16, v40
	;; [unrolled: 1-line block ×4, first 2 shown]
	v_and_b32_e32 v119, 0xffffff00, v38
	v_sub_nc_i16 v101, v117, v101 clamp
	v_and_b32_e32 v117, 0xffffff00, v25
	v_sub_nc_i16 v57, v99, v57 clamp
	v_lshlrev_b16 v99, 8, v53
	v_sub_nc_i16 v58, v98, v58 clamp
	v_and_b32_e32 v98, 0xffffff00, v56
	v_sub_nc_i16 v49, v110, v49 clamp
	v_lshlrev_b16 v110, 8, v56
	;; [unrolled: 4-line block ×3, first 2 shown]
	v_lshrrev_b32_e32 v33, 16, v33
	v_lshrrev_b32_e32 v36, 16, v36
	;; [unrolled: 1-line block ×5, first 2 shown]
	v_sub_nc_i16 v105, v113, v105 clamp
	v_sub_nc_i16 v61, v114, v61 clamp
	;; [unrolled: 1-line block ×4, first 2 shown]
	v_and_b32_e32 v103, 0xffffff00, v93
	v_lshlrev_b16 v93, 8, v93
	v_and_b32_e32 v113, 0xffffff00, v40
	v_lshlrev_b16 v40, 8, v40
	;; [unrolled: 2-line block ×4, first 2 shown]
	v_xor_b32_e32 v52, v52, v120
	v_lshlrev_b16 v120, 8, v38
	v_sub_nc_i16 v115, v119, v115 clamp
	v_lshlrev_b16 v119, 8, v25
	v_lshrrev_b32_e32 v37, 16, v37
	v_lshrrev_b32_e32 v51, 16, v51
	v_sub_nc_i16 v64, v117, v64 clamp
	v_sub_nc_i16 v99, v99, v107 clamp
	;; [unrolled: 1-line block ×6, first 2 shown]
	v_and_b32_e32 v107, 0xffffff00, v33
	v_lshlrev_b16 v33, 8, v33
	v_and_b32_e32 v108, 0xffffff00, v36
	v_lshlrev_b16 v36, 8, v36
	;; [unrolled: 2-line block ×4, first 2 shown]
	v_sub_nc_i16 v79, v103, v79 clamp
	v_and_b32_e32 v103, 0xffffff00, v56
	v_lshlrev_b16 v56, 8, v56
	v_sub_nc_i16 v71, v93, v71 clamp
	v_sub_nc_i16 v27, v40, v27 clamp
	v_perm_b32 v40, v58, v57, 0xc0c0105
	v_sub_nc_i16 v58, v95, v59 clamp
	v_sub_nc_i16 v59, v116, v86 clamp
	;; [unrolled: 1-line block ×4, first 2 shown]
	v_and_b32_e32 v120, 0xffffff00, v52
	v_lshrrev_b32_e32 v25, 16, v25
	v_sub_nc_i16 v92, v119, v92 clamp
	v_and_b32_e32 v111, 0xffffff00, v37
	v_lshlrev_b16 v37, 8, v37
	v_and_b32_e32 v119, 0xffffff00, v51
	v_lshlrev_b16 v51, 8, v51
	v_perm_b32 v34, v97, v34, 0xc0c0105
	v_sub_nc_i16 v80, v107, v80 clamp
	v_sub_nc_i16 v33, v33, v72 clamp
	;; [unrolled: 1-line block ×4, first 2 shown]
	v_perm_b32 v44, v82, v45, 0xc0c0105
	v_sub_nc_i16 v45, v110, v46 clamp
	v_sub_nc_i16 v46, v94, v47 clamp
	;; [unrolled: 1-line block ×3, first 2 shown]
	v_perm_b32 v49, v104, v49, 0xc0c0105
	v_sub_nc_i16 v60, v117, v87 clamp
	v_sub_nc_i16 v48, v48, v76 clamp
	;; [unrolled: 1-line block ×3, first 2 shown]
	v_perm_b32 v56, v68, v67, 0xc0c0105
	v_perm_b32 v68, v71, v79, 0xc0c0105
	;; [unrolled: 1-line block ×3, first 2 shown]
	v_mov_b32_e32 v109, 0
	v_sub_nc_i16 v29, v121, v29 clamp
	v_lshlrev_b16 v121, 8, v52
	v_lshrrev_b32_e32 v52, 16, v52
	v_sub_nc_i16 v54, v120, v54 clamp
	v_and_b32_e32 v120, 0xffffff00, v25
	v_lshlrev_b16 v25, 8, v25
	v_perm_b32 v35, v100, v35, 0xc0c0105
	v_sub_nc_i16 v47, v111, v83 clamp
	v_sub_nc_i16 v37, v37, v73 clamp
	v_perm_b32 v50, v105, v50, 0xc0c0105
	v_sub_nc_i16 v62, v119, v62 clamp
	v_sub_nc_i16 v51, v51, v63 clamp
	v_perm_b32 v33, v33, v80, 0xc0c0105
	v_perm_b32 v36, v36, v43, 0xc0c0105
	;; [unrolled: 1-line block ×4, first 2 shown]
	v_lshl_or_b32 v34, v68, 16, v34
	v_lshl_or_b32 v41, v41, 16, v49
	v_lshrrev_b32_e32 v38, 16, v38
	v_lshrrev_b32_e32 v53, 16, v53
	v_sub_nc_i16 v106, v121, v106 clamp
	v_and_b32_e32 v121, 0xffffff00, v52
	v_lshlrev_b16 v52, 8, v52
	v_perm_b32 v42, v81, v42, 0xc0c0105
	v_perm_b32 v61, v91, v61, 0xc0c0105
	;; [unrolled: 1-line block ×3, first 2 shown]
	v_sub_nc_i16 v64, v120, v65 clamp
	v_sub_nc_i16 v25, v25, v66 clamp
	v_perm_b32 v37, v37, v47, 0xc0c0105
	v_perm_b32 v47, v51, v62, 0xc0c0105
	v_lshl_or_b32 v33, v33, 16, v35
	v_lshl_or_b32 v35, v46, 16, v50
	v_dot4c_i32_i8 v122, v34, v3
	v_dot4c_i32_i8 v109, v41, v3
	v_and_b32_e32 v112, 0xffffff00, v38
	v_lshlrev_b16 v38, 8, v38
	v_and_b32_e32 v97, 0xffffff00, v53
	v_lshlrev_b16 v53, 8, v53
	v_sub_nc_i16 v65, v121, v88 clamp
	v_sub_nc_i16 v52, v52, v77 clamp
	v_perm_b32 v3, v25, v64, 0xc0c0105
	v_lshl_or_b32 v25, v36, 16, v42
	v_lshl_or_b32 v34, v47, 16, v61
	v_dot4c_i32_i8 v122, v33, v4
	v_dot4c_i32_i8 v109, v35, v4
	v_lshrrev_b32_e32 v26, 16, v26
	v_perm_b32 v39, v101, v39, 0xc0c0105
	v_sub_nc_i16 v73, v112, v84 clamp
	v_sub_nc_i16 v38, v38, v74 clamp
	v_perm_b32 v54, v106, v54, 0xc0c0105
	v_sub_nc_i16 v66, v97, v89 clamp
	v_sub_nc_i16 v53, v53, v78 clamp
	v_perm_b32 v4, v52, v65, 0xc0c0105
	v_lshl_or_b32 v33, v43, 16, v44
	v_lshl_or_b32 v3, v3, 16, v63
	v_dot4c_i32_i8 v122, v25, v5
	v_dot4c_i32_i8 v109, v34, v5
	v_and_b32_e32 v93, 0xffffff00, v26
	v_lshlrev_b16 v26, 8, v26
	v_perm_b32 v72, v102, v115, 0xc0c0105
	v_sub_nc_i16 v74, v113, v85 clamp
	v_perm_b32 v55, v99, v55, 0xc0c0105
	v_sub_nc_i16 v75, v103, v90 clamp
	v_perm_b32 v38, v38, v73, 0xc0c0105
	v_perm_b32 v5, v53, v66, 0xc0c0105
	v_lshl_or_b32 v25, v37, 16, v39
	v_lshl_or_b32 v4, v4, 16, v54
	v_perm_b32 v29, v96, v29, 0xc0c0105
	v_perm_b32 v32, v98, v32, 0xc0c0105
	v_sub_nc_i16 v67, v93, v70 clamp
	v_sub_nc_i16 v26, v26, v69 clamp
	v_perm_b32 v27, v27, v74, 0xc0c0105
	v_lshl_or_b32 v5, v5, 16, v55
	v_perm_b32 v45, v58, v57, 0xc0c0105
	s_waitcnt vmcnt(1)
	v_dot4c_i32_i8 v122, v33, v21
	v_dot4c_i32_i8 v109, v3, v21
	v_perm_b32 v3, v30, v75, 0xc0c0105
	v_lshl_or_b32 v21, v38, 16, v72
	v_dot4c_i32_i8 v122, v25, v22
	v_dot4c_i32_i8 v109, v4, v22
	v_perm_b32 v4, v26, v67, 0xc0c0105
	v_lshl_or_b32 v22, v27, 16, v29
	v_lshl_or_b32 v3, v3, 16, v32
	v_dot4c_i32_i8 v122, v21, v23
	v_dot4c_i32_i8 v109, v5, v23
	v_lshlrev_b32_e32 v5, 1, v31
	v_lshl_or_b32 v21, v45, 16, v40
	v_lshl_or_b32 v4, v4, 16, v56
	v_dot4c_i32_i8 v122, v22, v24
	v_dot4c_i32_i8 v109, v3, v24
	v_and_or_b32 v3, v28, 30, 1
	v_and_or_b32 v5, v5, 30, 1
	s_waitcnt vmcnt(0)
	v_dot4c_i32_i8 v122, v21, v118
	v_dot4c_i32_i8 v109, v4, v118
	v_cvt_f32_f16_e32 v4, v20
	v_mul_lo_u32 v3, v122, v3
	v_mul_lo_u32 v5, v109, v5
	v_mul_f32_e32 v4, v4, v2
	v_mul_f32_e32 v2, v19, v2
	v_cvt_f32_i32_e32 v3, v3
	v_cvt_f32_i32_e32 v5, v5
	v_fmac_f32_e32 v13, v4, v3
	v_fmac_f32_e32 v11, v2, v5
	s_andn2_b32 exec_lo, exec_lo, s4
	s_cbranch_execnz .LBB252_3
; %bb.4:
	s_or_b32 exec_lo, exec_lo, s4
.LBB252_5:
	s_or_b32 exec_lo, exec_lo, s6
	v_mbcnt_lo_u32_b32 v2, -1, 0
	v_xor_b32_e32 v3, 16, v2
	v_xor_b32_e32 v5, 8, v2
	;; [unrolled: 1-line block ×3, first 2 shown]
	v_cmp_gt_i32_e32 vcc_lo, 32, v3
	v_cndmask_b32_e32 v3, v2, v3, vcc_lo
	v_cmp_gt_i32_e32 vcc_lo, 32, v5
	v_lshlrev_b32_e32 v3, 2, v3
	v_cndmask_b32_e32 v5, v2, v5, vcc_lo
	v_cmp_gt_i32_e32 vcc_lo, 32, v7
	ds_bpermute_b32 v4, v3, v13
	ds_bpermute_b32 v3, v3, v11
	v_lshlrev_b32_e32 v5, 2, v5
	v_cndmask_b32_e32 v7, v2, v7, vcc_lo
	v_lshlrev_b32_e32 v7, 2, v7
	s_waitcnt lgkmcnt(1)
	v_add_f32_e32 v4, v13, v4
	s_waitcnt lgkmcnt(0)
	v_add_f32_e32 v3, v11, v3
	ds_bpermute_b32 v6, v5, v4
	ds_bpermute_b32 v5, v5, v3
	s_waitcnt lgkmcnt(1)
	v_add_f32_e32 v4, v4, v6
	s_waitcnt lgkmcnt(0)
	v_add_f32_e32 v3, v3, v5
	ds_bpermute_b32 v5, v7, v4
	ds_bpermute_b32 v6, v7, v3
	v_xor_b32_e32 v7, 2, v2
	v_cmp_gt_i32_e32 vcc_lo, 32, v7
	v_cndmask_b32_e32 v7, v2, v7, vcc_lo
	v_lshlrev_b32_e32 v7, 2, v7
	s_waitcnt lgkmcnt(1)
	v_add_f32_e32 v4, v4, v5
	s_waitcnt lgkmcnt(0)
	v_add_f32_e32 v3, v3, v6
	ds_bpermute_b32 v5, v7, v4
	ds_bpermute_b32 v6, v7, v3
	v_xor_b32_e32 v7, 1, v2
	v_cmp_gt_i32_e32 vcc_lo, 32, v7
	v_cndmask_b32_e32 v2, v2, v7, vcc_lo
	v_cmp_gt_u32_e32 vcc_lo, 2, v0
	v_lshlrev_b32_e32 v7, 2, v2
	s_waitcnt lgkmcnt(1)
	v_add_f32_e32 v2, v4, v5
	s_waitcnt lgkmcnt(0)
	v_add_f32_e32 v3, v3, v6
	v_add_nc_u32_e32 v6, s3, v0
	ds_bpermute_b32 v4, v7, v2
	ds_bpermute_b32 v5, v7, v3
	v_cmp_gt_u32_e64 s0, s16, v6
	s_and_b32 s0, vcc_lo, s0
	s_and_b32 exec_lo, exec_lo, s0
	s_cbranch_execz .LBB252_7
; %bb.6:
	v_mul_lo_u32 v1, s19, v1
	v_or_b32_e32 v6, s3, v0
	s_mul_i32 s0, s22, s2
	v_mov_b32_e32 v7, 0
	s_waitcnt lgkmcnt(1)
	v_add_f32_e32 v4, v2, v4
	s_waitcnt lgkmcnt(0)
	v_add_f32_e32 v3, v3, v5
	v_cmp_eq_u32_e32 vcc_lo, 1, v0
	v_add3_u32 v6, v6, v1, s0
	v_cndmask_b32_e32 v3, v4, v3, vcc_lo
	v_lshlrev_b64 v[1:2], 2, v[6:7]
	v_add_co_u32 v0, vcc_lo, s14, v1
	v_add_co_ci_u32_e64 v1, null, s15, v2, vcc_lo
	global_store_dword v[0:1], v3, off
.LBB252_7:
	s_endpgm
	.section	.rodata,"a",@progbits
	.p2align	6, 0x0
	.amdhsa_kernel _ZL17mul_mat_vec_q_moeIL9ggml_type21ELi2EEvPKvS2_PKiPfj15HIP_vector_typeIjLj3EEjjjjjjjjj
		.amdhsa_group_segment_fixed_size 0
		.amdhsa_private_segment_fixed_size 0
		.amdhsa_kernarg_size 84
		.amdhsa_user_sgpr_count 6
		.amdhsa_user_sgpr_private_segment_buffer 1
		.amdhsa_user_sgpr_dispatch_ptr 0
		.amdhsa_user_sgpr_queue_ptr 0
		.amdhsa_user_sgpr_kernarg_segment_ptr 1
		.amdhsa_user_sgpr_dispatch_id 0
		.amdhsa_user_sgpr_flat_scratch_init 0
		.amdhsa_user_sgpr_private_segment_size 0
		.amdhsa_wavefront_size32 1
		.amdhsa_uses_dynamic_stack 0
		.amdhsa_system_sgpr_private_segment_wavefront_offset 0
		.amdhsa_system_sgpr_workgroup_id_x 1
		.amdhsa_system_sgpr_workgroup_id_y 1
		.amdhsa_system_sgpr_workgroup_id_z 0
		.amdhsa_system_sgpr_workgroup_info 0
		.amdhsa_system_vgpr_workitem_id 1
		.amdhsa_next_free_vgpr 125
		.amdhsa_next_free_sgpr 28
		.amdhsa_reserve_vcc 1
		.amdhsa_reserve_flat_scratch 0
		.amdhsa_float_round_mode_32 0
		.amdhsa_float_round_mode_16_64 0
		.amdhsa_float_denorm_mode_32 3
		.amdhsa_float_denorm_mode_16_64 3
		.amdhsa_dx10_clamp 1
		.amdhsa_ieee_mode 1
		.amdhsa_fp16_overflow 0
		.amdhsa_workgroup_processor_mode 1
		.amdhsa_memory_ordered 1
		.amdhsa_forward_progress 1
		.amdhsa_shared_vgpr_count 0
		.amdhsa_exception_fp_ieee_invalid_op 0
		.amdhsa_exception_fp_denorm_src 0
		.amdhsa_exception_fp_ieee_div_zero 0
		.amdhsa_exception_fp_ieee_overflow 0
		.amdhsa_exception_fp_ieee_underflow 0
		.amdhsa_exception_fp_ieee_inexact 0
		.amdhsa_exception_int_div_zero 0
	.end_amdhsa_kernel
	.section	.text._ZL17mul_mat_vec_q_moeIL9ggml_type21ELi2EEvPKvS2_PKiPfj15HIP_vector_typeIjLj3EEjjjjjjjjj,"axG",@progbits,_ZL17mul_mat_vec_q_moeIL9ggml_type21ELi2EEvPKvS2_PKiPfj15HIP_vector_typeIjLj3EEjjjjjjjjj,comdat
.Lfunc_end252:
	.size	_ZL17mul_mat_vec_q_moeIL9ggml_type21ELi2EEvPKvS2_PKiPfj15HIP_vector_typeIjLj3EEjjjjjjjjj, .Lfunc_end252-_ZL17mul_mat_vec_q_moeIL9ggml_type21ELi2EEvPKvS2_PKiPfj15HIP_vector_typeIjLj3EEjjjjjjjjj
                                        ; -- End function
	.set _ZL17mul_mat_vec_q_moeIL9ggml_type21ELi2EEvPKvS2_PKiPfj15HIP_vector_typeIjLj3EEjjjjjjjjj.num_vgpr, 125
	.set _ZL17mul_mat_vec_q_moeIL9ggml_type21ELi2EEvPKvS2_PKiPfj15HIP_vector_typeIjLj3EEjjjjjjjjj.num_agpr, 0
	.set _ZL17mul_mat_vec_q_moeIL9ggml_type21ELi2EEvPKvS2_PKiPfj15HIP_vector_typeIjLj3EEjjjjjjjjj.numbered_sgpr, 28
	.set _ZL17mul_mat_vec_q_moeIL9ggml_type21ELi2EEvPKvS2_PKiPfj15HIP_vector_typeIjLj3EEjjjjjjjjj.num_named_barrier, 0
	.set _ZL17mul_mat_vec_q_moeIL9ggml_type21ELi2EEvPKvS2_PKiPfj15HIP_vector_typeIjLj3EEjjjjjjjjj.private_seg_size, 0
	.set _ZL17mul_mat_vec_q_moeIL9ggml_type21ELi2EEvPKvS2_PKiPfj15HIP_vector_typeIjLj3EEjjjjjjjjj.uses_vcc, 1
	.set _ZL17mul_mat_vec_q_moeIL9ggml_type21ELi2EEvPKvS2_PKiPfj15HIP_vector_typeIjLj3EEjjjjjjjjj.uses_flat_scratch, 0
	.set _ZL17mul_mat_vec_q_moeIL9ggml_type21ELi2EEvPKvS2_PKiPfj15HIP_vector_typeIjLj3EEjjjjjjjjj.has_dyn_sized_stack, 0
	.set _ZL17mul_mat_vec_q_moeIL9ggml_type21ELi2EEvPKvS2_PKiPfj15HIP_vector_typeIjLj3EEjjjjjjjjj.has_recursion, 0
	.set _ZL17mul_mat_vec_q_moeIL9ggml_type21ELi2EEvPKvS2_PKiPfj15HIP_vector_typeIjLj3EEjjjjjjjjj.has_indirect_call, 0
	.section	.AMDGPU.csdata,"",@progbits
; Kernel info:
; codeLenInByte = 5672
; TotalNumSgprs: 30
; NumVgprs: 125
; ScratchSize: 0
; MemoryBound: 0
; FloatMode: 240
; IeeeMode: 1
; LDSByteSize: 0 bytes/workgroup (compile time only)
; SGPRBlocks: 0
; VGPRBlocks: 15
; NumSGPRsForWavesPerEU: 30
; NumVGPRsForWavesPerEU: 125
; Occupancy: 8
; WaveLimiterHint : 1
; COMPUTE_PGM_RSRC2:SCRATCH_EN: 0
; COMPUTE_PGM_RSRC2:USER_SGPR: 6
; COMPUTE_PGM_RSRC2:TRAP_HANDLER: 0
; COMPUTE_PGM_RSRC2:TGID_X_EN: 1
; COMPUTE_PGM_RSRC2:TGID_Y_EN: 1
; COMPUTE_PGM_RSRC2:TGID_Z_EN: 0
; COMPUTE_PGM_RSRC2:TIDIG_COMP_CNT: 1
	.section	.text._ZL13mul_mat_vec_qIL9ggml_type21ELi1ELb1ELb1EEvPKvS2_PKi31ggml_cuda_mm_fusion_args_devicePfj15HIP_vector_typeIjLj3EEjjjS8_jjjS8_jjjj,"axG",@progbits,_ZL13mul_mat_vec_qIL9ggml_type21ELi1ELb1ELb1EEvPKvS2_PKi31ggml_cuda_mm_fusion_args_devicePfj15HIP_vector_typeIjLj3EEjjjS8_jjjS8_jjjj,comdat
	.globl	_ZL13mul_mat_vec_qIL9ggml_type21ELi1ELb1ELb1EEvPKvS2_PKi31ggml_cuda_mm_fusion_args_devicePfj15HIP_vector_typeIjLj3EEjjjS8_jjjS8_jjjj ; -- Begin function _ZL13mul_mat_vec_qIL9ggml_type21ELi1ELb1ELb1EEvPKvS2_PKi31ggml_cuda_mm_fusion_args_devicePfj15HIP_vector_typeIjLj3EEjjjS8_jjjS8_jjjj
	.p2align	8
	.type	_ZL13mul_mat_vec_qIL9ggml_type21ELi1ELb1ELb1EEvPKvS2_PKi31ggml_cuda_mm_fusion_args_devicePfj15HIP_vector_typeIjLj3EEjjjS8_jjjS8_jjjj,@function
_ZL13mul_mat_vec_qIL9ggml_type21ELi1ELb1ELb1EEvPKvS2_PKi31ggml_cuda_mm_fusion_args_devicePfj15HIP_vector_typeIjLj3EEjjjS8_jjjS8_jjjj: ; @_ZL13mul_mat_vec_qIL9ggml_type21ELi1ELb1ELb1EEvPKvS2_PKi31ggml_cuda_mm_fusion_args_devicePfj15HIP_vector_typeIjLj3EEjjjS8_jjjS8_jjjj
; %bb.0:
	s_clause 0x3
	s_load_dwordx8 s[12:19], s[4:5], 0x0
	s_load_dwordx4 s[28:31], s[4:5], 0x20
	s_load_dwordx4 s[36:39], s[4:5], 0x40
	;; [unrolled: 1-line block ×3, first 2 shown]
	s_mov_b32 s10, s7
	s_waitcnt lgkmcnt(0)
	s_cmp_lg_u64 s[16:17], 0
	s_cselect_b32 s0, -1, 0
	s_cmp_eq_u64 s[16:17], 0
	s_cbranch_scc1 .LBB253_5
; %bb.1:
	s_mov_b32 s11, 0
	s_lshl_b64 s[2:3], s[10:11], 2
	s_add_u32 s2, s16, s2
	s_addc_u32 s3, s17, s3
	s_load_dword s33, s[2:3], 0x0
	s_clause 0x1
	s_load_dword s35, s[4:5], 0x50
	s_load_dword s34, s[4:5], 0x78
	s_cbranch_execnz .LBB253_3
.LBB253_2:
	s_load_dwordx2 s[2:3], s[4:5], 0x5c
	s_waitcnt lgkmcnt(0)
	s_mul_hi_u32 s1, s2, s10
	s_add_i32 s1, s10, s1
	s_lshr_b32 s33, s1, s3
.LBB253_3:
	s_andn2_b32 vcc_lo, exec_lo, s0
	s_cbranch_vccnz .LBB253_6
; %bb.4:
	s_mul_hi_u32 s0, s37, s10
	s_waitcnt lgkmcnt(0)
	s_mov_b32 s1, s33
	s_add_i32 s0, s10, s0
	s_lshr_b32 s0, s0, s38
	s_mul_i32 s0, s0, s39
	s_sub_i32 s37, s10, s0
	s_branch .LBB253_7
.LBB253_5:
                                        ; implicit-def: $sgpr33
	s_clause 0x1
	s_load_dword s35, s[4:5], 0x50
	s_load_dword s34, s[4:5], 0x78
	s_branch .LBB253_2
.LBB253_6:
	s_mov_b32 s1, s10
	s_mov_b32 s37, s10
.LBB253_7:
	s_load_dwordx4 s[24:27], s[4:5], 0x80
	v_or_b32_e32 v2, v0, v1
	s_cmp_lg_u64 s[18:19], 0
	v_mov_b32_e32 v16, 0
	v_mov_b32_e32 v17, 0
	s_cselect_b32 s0, -1, 0
	v_cmp_eq_u32_e32 vcc_lo, 0, v2
	s_mov_b32 s17, 0
	s_mul_i32 s2, s1, s22
	s_and_b32 s3, s0, vcc_lo
	s_and_saveexec_b32 s1, s3
	s_cbranch_execz .LBB253_9
; %bb.8:
	s_waitcnt lgkmcnt(0)
	s_mul_i32 s16, s26, s8
	s_mov_b32 s3, s17
	s_lshl_b64 s[38:39], s[16:17], 2
	v_lshlrev_b32_e32 v2, 2, v0
	s_add_u32 s7, s18, s38
	s_addc_u32 s9, s19, s39
	s_lshl_b64 s[16:17], s[2:3], 2
	s_add_u32 s3, s7, s16
	s_addc_u32 s9, s9, s17
	s_ashr_i32 s7, s6, 31
	s_lshl_b64 s[16:17], s[6:7], 2
	s_add_u32 s16, s3, s16
	s_addc_u32 s17, s9, s17
	global_load_dword v17, v2, s[16:17]
.LBB253_9:
	s_or_b32 exec_lo, exec_lo, s1
	s_cmp_lg_u64 s[28:29], 0
	s_cselect_b32 s9, -1, 0
	s_cmp_lg_u64 s[30:31], 0
	s_cselect_b32 s1, -1, 0
	s_and_b32 s3, s1, s9
	s_and_b32 s3, s3, vcc_lo
	s_and_saveexec_b32 s11, s3
	s_cbranch_execz .LBB253_11
; %bb.10:
	s_waitcnt lgkmcnt(0)
	s_mul_i32 s16, s26, s8
	s_mov_b32 s17, 0
	v_lshlrev_b32_e32 v2, 2, v0
	s_lshl_b64 s[18:19], s[16:17], 2
	s_mov_b32 s3, s17
	s_add_u32 s7, s30, s18
	s_addc_u32 s16, s31, s19
	s_lshl_b64 s[2:3], s[2:3], 2
	s_add_u32 s17, s7, s2
	s_addc_u32 s16, s16, s3
	s_ashr_i32 s7, s6, 31
	s_lshl_b64 s[2:3], s[6:7], 2
	s_add_u32 s2, s17, s2
	s_addc_u32 s3, s16, s3
	global_load_dword v16, v2, s[2:3]
.LBB253_11:
	s_or_b32 exec_lo, exec_lo, s11
	v_lshl_or_b32 v2, v1, 5, v0
	v_mov_b32_e32 v21, 0
	v_cndmask_b32_e64 v18, 0, 1, s9
	v_mov_b32_e32 v19, 0
	s_lshr_b32 s7, s36, 8
	v_lshrrev_b32_e32 v20, 3, v2
	s_mov_b32 s11, exec_lo
	v_cmpx_gt_u32_e64 s7, v20
	s_cbranch_execz .LBB253_17
; %bb.12:
	v_lshrrev_b32_e32 v2, 3, v2
	s_mul_i32 s2, s37, s21
	v_and_b32_e32 v22, 7, v0
	s_mul_hi_u32 s3, s2, 36
	s_mul_i32 s2, s2, 36
	v_lshlrev_b32_e32 v4, 1, v0
	v_mad_u64_u32 v[2:3], null, 0x120, v2, s[2:3]
	s_waitcnt lgkmcnt(0)
	s_mul_i32 s3, s25, s8
	s_mul_hi_u32 s2, s23, s8
	v_and_b32_e32 v5, 14, v4
	s_add_i32 s2, s8, s2
	s_mul_i32 s35, s35, s6
	s_lshr_b32 s2, s2, s34
	v_mad_u64_u32 v[2:3], null, s3, 36, v[2:3]
	v_lshlrev_b32_e32 v6, 1, v5
	s_mul_i32 s2, s2, s24
	v_mov_b32_e32 v23, 0
	v_bfe_u32 v24, v4, 2, 2
	v_lshlrev_b32_e32 v25, 1, v5
	v_and_b32_e32 v26, 4, v6
	v_mad_u64_u32 v[2:3], null, v22, 36, v[2:3]
	v_lshlrev_b32_e32 v27, 1, v6
	v_mov_b32_e32 v21, 0
	v_mov_b32_e32 v19, 0
	s_mul_i32 s3, s33, s20
	s_add_i32 s2, s2, s35
	v_add_co_u32 v2, vcc_lo, s14, v2
	v_add_co_ci_u32_e64 v3, null, s15, v3, vcc_lo
	s_add_i32 s15, s3, s2
	v_add_co_u32 v10, vcc_lo, v2, 32
	v_add_co_ci_u32_e64 v11, null, 0, v3, vcc_lo
	s_mov_b32 s14, 0
	s_branch .LBB253_14
.LBB253_13:                             ;   in Loop: Header=BB253_14 Depth=1
	s_waitcnt vmcnt(10)
	v_and_b32_e32 v12, 0xff, v31
	v_lshlrev_b32_e32 v13, 21, v31
	v_lshlrev_b32_e32 v14, 17, v31
	v_lshrrev_b32_e32 v15, 2, v31
	v_add_nc_u32_e32 v20, 4, v20
	v_lshl_or_b32 v13, v12, 7, v13
	v_lshl_or_b32 v12, v12, 3, v14
	v_bfe_i32 v15, v15, 0, 1
	v_lshrrev_b32_e32 v14, 6, v31
	v_and_b32_e32 v40, 0x1800180, v13
	v_bfe_u32 v13, v13, 24, 1
	v_and_b32_e32 v41, 0x1800180, v12
	v_bfe_u32 v12, v12, 24, 1
	v_bfe_i32 v14, v14, 0, 1
	v_cmp_ne_u16_sdwa s2, v40, v23 src0_sel:BYTE_1 src1_sel:DWORD
	v_cmp_ne_u16_e32 vcc_lo, 0, v13
	v_lshrrev_b16 v42, 7, v40
	v_lshrrev_b16 v43, 7, v41
	v_cndmask_b32_e64 v40, 0, -1, s2
	v_cndmask_b32_e64 v13, 0, -1, vcc_lo
	v_bfe_i32 v42, v42, 0, 1
	v_cmp_ne_u16_sdwa s2, v41, v23 src0_sel:BYTE_1 src1_sel:DWORD
	v_cmp_ne_u16_e32 vcc_lo, 0, v12
	v_lshlrev_b16 v40, 8, v40
	v_lshlrev_b16 v13, 8, v13
	v_bfe_i32 v43, v43, 0, 1
	v_cndmask_b32_e64 v41, 0, -1, s2
	v_cndmask_b32_e64 v12, 0, -1, vcc_lo
	v_or_b32_sdwa v44, v42, v40 dst_sel:DWORD dst_unused:UNUSED_PAD src0_sel:BYTE_0 src1_sel:DWORD
	v_or_b32_sdwa v45, v15, v13 dst_sel:WORD_1 dst_unused:UNUSED_PAD src0_sel:BYTE_0 src1_sel:DWORD
	v_lshlrev_b16 v15, 8, v15
	v_lshlrev_b16 v41, 8, v41
	;; [unrolled: 1-line block ×4, first 2 shown]
	v_or_b32_sdwa v44, v44, v45 dst_sel:DWORD dst_unused:UNUSED_PAD src0_sel:WORD_0 src1_sel:DWORD
	v_or_b32_sdwa v46, v43, v41 dst_sel:DWORD dst_unused:UNUSED_PAD src0_sel:BYTE_0 src1_sel:DWORD
	v_or_b32_sdwa v47, v14, v12 dst_sel:WORD_1 dst_unused:UNUSED_PAD src0_sel:BYTE_0 src1_sel:DWORD
	v_lshlrev_b16 v43, 8, v43
	s_waitcnt vmcnt(7)
	v_xor_b32_e32 v39, v39, v44
	v_lshlrev_b16 v14, 8, v14
	v_or_b32_sdwa v45, v46, v47 dst_sel:DWORD dst_unused:UNUSED_PAD src0_sel:WORD_0 src1_sel:DWORD
	v_lshrrev_b32_e32 v44, 16, v39
	s_waitcnt vmcnt(6)
	v_xor_b32_e32 v38, v38, v45
	v_and_b32_e32 v45, 0xffffff00, v39
	v_and_b32_e32 v47, 0xffffff00, v44
	v_lshlrev_b16 v44, 8, v44
	v_lshlrev_b16 v39, 8, v39
	v_lshrrev_b32_e32 v46, 16, v38
	v_sub_nc_i16 v40, v45, v40 clamp
	v_sub_nc_i16 v13, v47, v13 clamp
	;; [unrolled: 1-line block ×4, first 2 shown]
	v_and_b32_e32 v48, 0xffffff00, v38
	v_lshlrev_b16 v38, 8, v38
	v_and_b32_e32 v42, 0xffffff00, v46
	v_perm_b32 v13, v15, v13, 0xc0c0105
	v_lshrrev_b32_e32 v15, 1, v31
	v_lshlrev_b16 v44, 8, v46
	v_perm_b32 v39, v39, v40, 0xc0c0105
	v_sub_nc_i16 v40, v48, v41 clamp
	v_sub_nc_i16 v38, v38, v43 clamp
	v_and_b32_e32 v15, 0x180, v15
	v_sub_nc_i16 v12, v42, v12 clamp
	v_sub_nc_i16 v14, v44, v14 clamp
	v_lshl_or_b32 v13, v13, 16, v39
	v_lshrrev_b32_e32 v39, 11, v31
	v_cmp_ne_u16_sdwa s2, v15, v23 src0_sel:BYTE_1 src1_sel:DWORD
	v_perm_b32 v38, v38, v40, 0xc0c0105
	v_perm_b32 v12, v14, v12, 0xc0c0105
	v_lshrrev_b16 v14, 7, v15
	v_bfe_i32 v39, v39, 0, 1
	v_cndmask_b32_e64 v15, 0, -1, s2
	v_lshrrev_b32_e32 v40, 10, v31
	v_lshrrev_b32_e32 v41, 5, v31
	v_bfe_i32 v14, v14, 0, 1
	v_lshlrev_b16 v39, 8, v39
	v_lshlrev_b16 v15, 8, v15
	v_bfe_i32 v40, v40, 0, 1
	v_and_b32_e32 v41, 0x180, v41
	v_lshrrev_b32_e32 v44, 15, v31
	v_mov_b32_e32 v42, 0
	v_or_b32_sdwa v43, v14, v15 dst_sel:DWORD dst_unused:UNUSED_PAD src0_sel:BYTE_0 src1_sel:DWORD
	v_or_b32_sdwa v45, v40, v39 dst_sel:WORD_1 dst_unused:UNUSED_PAD src0_sel:BYTE_0 src1_sel:DWORD
	v_cmp_ne_u16_sdwa s2, v41, v23 src0_sel:BYTE_1 src1_sel:DWORD
	v_lshrrev_b16 v46, 7, v41
	v_bfe_i32 v44, v44, 0, 1
	v_dot4c_i32_i8 v42, v13, v7
	v_or_b32_sdwa v43, v43, v45 dst_sel:DWORD dst_unused:UNUSED_PAD src0_sel:WORD_0 src1_sel:DWORD
	v_cndmask_b32_e64 v41, 0, -1, s2
	v_lshrrev_b32_e32 v45, 14, v31
	v_bfe_i32 v46, v46, 0, 1
	v_lshlrev_b16 v44, 8, v44
	s_waitcnt vmcnt(5)
	v_xor_b32_e32 v37, v37, v43
	v_lshlrev_b16 v41, 8, v41
	v_bfe_i32 v43, v45, 0, 1
	v_lshl_or_b32 v12, v12, 16, v38
	v_lshlrev_b16 v14, 8, v14
	v_lshrrev_b32_e32 v13, 16, v37
	v_or_b32_sdwa v7, v46, v41 dst_sel:DWORD dst_unused:UNUSED_PAD src0_sel:BYTE_0 src1_sel:DWORD
	v_or_b32_sdwa v38, v43, v44 dst_sel:WORD_1 dst_unused:UNUSED_PAD src0_sel:BYTE_0 src1_sel:DWORD
	v_and_b32_e32 v45, 0xffffff00, v37
	v_lshlrev_b16 v37, 8, v37
	v_and_b32_e32 v47, 0xffffff00, v13
	v_lshlrev_b16 v13, 8, v13
	v_lshlrev_b16 v40, 8, v40
	v_or_b32_sdwa v7, v7, v38 dst_sel:DWORD dst_unused:UNUSED_PAD src0_sel:WORD_0 src1_sel:DWORD
	v_sub_nc_i16 v14, v37, v14 clamp
	v_sub_nc_i16 v37, v47, v39 clamp
	;; [unrolled: 1-line block ×4, first 2 shown]
	v_lshrrev_b32_e32 v38, 16, v31
	s_waitcnt vmcnt(4)
	v_xor_b32_e32 v7, v36, v7
	v_dot4c_i32_i8 v42, v12, v8
	v_perm_b32 v8, v14, v15, 0xc0c0105
	v_perm_b32 v12, v13, v37, 0xc0c0105
	v_lshrrev_b32_e32 v13, 9, v31
	v_and_b32_e32 v15, 0xffffff00, v7
	v_lshrrev_b32_e32 v40, 13, v31
	v_lshrrev_b32_e32 v14, 16, v7
	v_lshl_or_b32 v8, v12, 16, v8
	v_lshl_or_b32 v13, v38, 21, v13
	v_sub_nc_i16 v12, v15, v41 clamp
	v_lshrrev_b32_e32 v41, 18, v31
	v_lshl_or_b32 v38, v38, 17, v40
	v_lshlrev_b16 v7, 8, v7
	v_and_b32_e32 v15, 0x1800180, v13
	v_bfe_u32 v13, v13, 24, 1
	v_lshlrev_b16 v36, 8, v46
	v_and_b32_e32 v37, 0xffffff00, v14
	v_bfe_i32 v40, v41, 0, 1
	v_cmp_ne_u16_sdwa s2, v15, v23 src0_sel:BYTE_1 src1_sel:DWORD
	v_cmp_ne_u16_e32 vcc_lo, 0, v13
	v_lshrrev_b16 v39, 7, v15
	v_and_b32_e32 v41, 0x1800180, v38
	v_bfe_u32 v38, v38, 24, 1
	v_cndmask_b32_e64 v15, 0, -1, s2
	v_cndmask_b32_e64 v13, 0, -1, vcc_lo
	v_sub_nc_i16 v7, v7, v36 clamp
	v_sub_nc_i16 v36, v37, v44 clamp
	v_lshlrev_b16 v14, 8, v14
	v_lshlrev_b16 v37, 8, v43
	v_bfe_i32 v39, v39, 0, 1
	v_lshlrev_b16 v15, 8, v15
	v_lshlrev_b16 v13, 8, v13
	v_cmp_ne_u16_sdwa s2, v41, v23 src0_sel:BYTE_1 src1_sel:DWORD
	v_cmp_ne_u16_e32 vcc_lo, 0, v38
	v_sub_nc_i16 v14, v14, v37 clamp
	v_or_b32_sdwa v37, v39, v15 dst_sel:DWORD dst_unused:UNUSED_PAD src0_sel:BYTE_0 src1_sel:DWORD
	v_or_b32_sdwa v43, v40, v13 dst_sel:WORD_1 dst_unused:UNUSED_PAD src0_sel:BYTE_0 src1_sel:DWORD
	v_lshrrev_b16 v44, 7, v41
	v_cndmask_b32_e64 v41, 0, -1, s2
	v_cndmask_b32_e64 v38, 0, -1, vcc_lo
	v_lshrrev_b32_e32 v45, 22, v31
	v_or_b32_sdwa v37, v37, v43 dst_sel:DWORD dst_unused:UNUSED_PAD src0_sel:WORD_0 src1_sel:DWORD
	v_bfe_i32 v43, v44, 0, 1
	v_lshlrev_b16 v41, 8, v41
	v_lshlrev_b16 v38, 8, v38
	v_bfe_i32 v44, v45, 0, 1
	v_perm_b32 v7, v7, v12, 0xc0c0105
	v_perm_b32 v12, v14, v36, 0xc0c0105
	v_or_b32_sdwa v14, v43, v41 dst_sel:DWORD dst_unused:UNUSED_PAD src0_sel:BYTE_0 src1_sel:DWORD
	s_waitcnt vmcnt(3)
	v_xor_b32_e32 v35, v35, v37
	v_or_b32_sdwa v36, v44, v38 dst_sel:WORD_1 dst_unused:UNUSED_PAD src0_sel:BYTE_0 src1_sel:DWORD
	v_dot4c_i32_i8 v42, v8, v9
	v_lshl_or_b32 v7, v12, 16, v7
	v_lshlrev_b16 v37, 8, v40
	v_lshrrev_b32_e32 v8, 16, v35
	v_or_b32_sdwa v9, v14, v36 dst_sel:DWORD dst_unused:UNUSED_PAD src0_sel:WORD_0 src1_sel:DWORD
	v_and_b32_e32 v12, 0xffffff00, v35
	v_lshlrev_b16 v14, 8, v35
	v_lshlrev_b16 v35, 8, v39
	v_and_b32_e32 v36, 0xffffff00, v8
	v_lshlrev_b16 v8, 8, v8
	s_waitcnt vmcnt(2)
	v_xor_b32_e32 v9, v34, v9
	v_sub_nc_i16 v12, v12, v15 clamp
	v_sub_nc_i16 v14, v14, v35 clamp
	;; [unrolled: 1-line block ×4, first 2 shown]
	v_and_b32_e32 v15, 0xffffff00, v9
	v_lshlrev_b16 v34, 8, v9
	v_lshrrev_b32_e32 v35, 17, v31
	v_lshrrev_b32_e32 v36, 24, v31
	v_lshlrev_b16 v37, 8, v43
	v_perm_b32 v12, v14, v12, 0xc0c0105
	v_perm_b32 v8, v8, v13, 0xc0c0105
	v_sub_nc_i16 v13, v15, v41 clamp
	v_lshl_or_b32 v14, v36, 21, v35
	v_sub_nc_i16 v15, v34, v37 clamp
	v_dot4c_i32_i8 v42, v7, v2
	v_lshl_or_b32 v2, v8, 16, v12
	v_lshrrev_b32_e32 v34, 21, v31
	v_and_b32_e32 v7, 0x1800180, v14
	v_perm_b32 v8, v15, v13, 0xc0c0105
	v_bfe_u32 v13, v14, 24, 1
	v_lshrrev_b32_e32 v15, 26, v31
	v_lshrrev_b32_e32 v39, 31, v31
	v_cmp_ne_u16_sdwa s2, v7, v23 src0_sel:BYTE_1 src1_sel:DWORD
	v_lshrrev_b16 v14, 7, v7
	v_cmp_ne_u16_e32 vcc_lo, 0, v13
	v_bfe_i32 v15, v15, 0, 1
	v_lshrrev_b16 v36, 8, v34
	v_cndmask_b32_e64 v7, 0, -1, s2
	v_bfe_i32 v14, v14, 0, 1
	v_cndmask_b32_e64 v13, 0, -1, vcc_lo
	v_cmp_ne_u16_e32 vcc_lo, 0, v39
	v_lshrrev_b32_e32 v9, 16, v9
	v_lshlrev_b16 v7, 8, v7
	v_lshrrev_b32_e32 v31, 30, v31
	v_lshlrev_b16 v13, 8, v13
	v_bfe_i32 v36, v36, 0, 1
	v_lshrrev_b16 v34, 7, v34
	v_or_b32_sdwa v37, v14, v7 dst_sel:DWORD dst_unused:UNUSED_PAD src0_sel:BYTE_0 src1_sel:DWORD
	v_cndmask_b32_e64 v39, 0, -1, vcc_lo
	v_or_b32_sdwa v40, v15, v13 dst_sel:WORD_1 dst_unused:UNUSED_PAD src0_sel:BYTE_0 src1_sel:DWORD
	v_and_b32_e32 v12, 0xffffff00, v9
	v_lshlrev_b16 v9, 8, v9
	v_lshlrev_b16 v35, 8, v44
	v_lshlrev_b16 v36, 8, v36
	v_or_b32_sdwa v37, v37, v40 dst_sel:DWORD dst_unused:UNUSED_PAD src0_sel:WORD_0 src1_sel:DWORD
	v_bfe_i32 v34, v34, 0, 1
	v_bfe_i32 v31, v31, 0, 1
	v_lshlrev_b16 v39, 8, v39
	v_sub_nc_i16 v12, v12, v38 clamp
	s_waitcnt vmcnt(1)
	v_xor_b32_e32 v33, v33, v37
	v_sub_nc_i16 v9, v9, v35 clamp
	v_or_b32_sdwa v35, v34, v36 dst_sel:DWORD dst_unused:UNUSED_PAD src0_sel:BYTE_0 src1_sel:DWORD
	v_or_b32_sdwa v37, v31, v39 dst_sel:WORD_1 dst_unused:UNUSED_PAD src0_sel:BYTE_0 src1_sel:DWORD
	v_lshlrev_b16 v14, 8, v14
	v_and_b32_e32 v38, 0xffffff00, v33
	v_lshlrev_b16 v40, 8, v33
	v_lshrrev_b32_e32 v33, 16, v33
	v_perm_b32 v9, v9, v12, 0xc0c0105
	v_or_b32_sdwa v12, v35, v37 dst_sel:DWORD dst_unused:UNUSED_PAD src0_sel:WORD_0 src1_sel:DWORD
	v_sub_nc_i16 v7, v38, v7 clamp
	v_sub_nc_i16 v14, v40, v14 clamp
	v_and_b32_e32 v35, 0xffffff00, v33
	v_lshl_or_b32 v8, v9, 16, v8
	s_waitcnt vmcnt(0)
	v_xor_b32_e32 v9, v32, v12
	v_dot4c_i32_i8 v42, v2, v3
	v_perm_b32 v2, v14, v7, 0xc0c0105
	v_sub_nc_i16 v3, v35, v13 clamp
	v_lshlrev_b16 v7, 8, v33
	v_lshrrev_b32_e32 v12, 16, v9
	v_lshlrev_b16 v13, 8, v15
	v_and_b32_e32 v14, 0xffffff00, v9
	v_lshlrev_b16 v9, 8, v9
	v_lshlrev_b16 v15, 8, v34
	v_and_b32_e32 v32, 0xffffff00, v12
	v_lshlrev_b16 v12, 8, v12
	v_lshlrev_b16 v31, 8, v31
	v_sub_nc_i16 v7, v7, v13 clamp
	v_sub_nc_i16 v13, v14, v36 clamp
	;; [unrolled: 1-line block ×5, first 2 shown]
	v_perm_b32 v3, v7, v3, 0xc0c0105
	v_dot4c_i32_i8 v42, v8, v4
	v_perm_b32 v4, v9, v13, 0xc0c0105
	v_cmp_le_u32_e32 vcc_lo, s7, v20
	v_perm_b32 v7, v12, v14, 0xc0c0105
	v_lshl_or_b32 v2, v3, 16, v2
	v_lshrrev_b32_sdwa v3, v26, v30 dst_sel:DWORD dst_unused:UNUSED_PAD src0_sel:DWORD src1_sel:BYTE_0
	v_add_co_u32 v10, s2, 0x480, v10
	v_lshl_or_b32 v4, v7, 16, v4
	v_dot4c_i32_i8 v42, v2, v5
	v_lshlrev_b32_e32 v2, 1, v3
	v_cvt_f32_f16_e32 v3, v29
	v_add_co_ci_u32_e64 v11, null, 0, v11, s2
	v_dot4c_i32_i8 v42, v4, v28
	v_and_or_b32 v2, v2, 30, 1
	v_mul_f32_e32 v3, v3, v6
	s_or_b32 s14, vcc_lo, s14
	v_mul_lo_u32 v2, v42, v2
	v_cvt_f32_i32_e32 v2, v2
	v_fmac_f32_e32 v21, v3, v2
	s_andn2_b32 exec_lo, exec_lo, s14
	s_cbranch_execz .LBB253_16
.LBB253_14:                             ; =>This Inner Loop Header: Depth=1
	v_add_nc_u32_e32 v12, s15, v20
	s_getpc_b64 s[2:3]
	s_add_u32 s2, s2, _ZL9iq3s_grid@rel32@lo+4
	s_addc_u32 s3, s3, _ZL9iq3s_grid@rel32@hi+12
	v_mad_i64_i32 v[13:14], null, 0x6e, v12, s[12:13]
	v_add_co_u32 v2, vcc_lo, v13, v27
	v_add_co_ci_u32_e64 v3, null, 0, v14, vcc_lo
	v_add_co_u32 v4, vcc_lo, v13, v22
	v_add_co_ci_u32_e64 v5, null, 0, v14, vcc_lo
	s_clause 0x1
	global_load_dwordx2 v[32:33], v[2:3], off offset:2
	global_load_ubyte v15, v[4:5], off offset:66
	v_add_co_u32 v29, vcc_lo, v13, v25
	v_add_co_ci_u32_e64 v30, null, 0, v14, vcc_lo
	v_add_co_u32 v34, vcc_lo, v13, v24
	v_add_co_ci_u32_e64 v35, null, 0, v14, vcc_lo
	s_clause 0x2
	global_load_dwordx4 v[6:9], v[10:11], off offset:-32
	global_load_dwordx4 v[2:5], v[10:11], off offset:-16
	global_load_dword v28, v[10:11], off
	s_clause 0x2
	global_load_dword v31, v[29:30], off offset:74
	global_load_ubyte v30, v[34:35], off offset:106
	global_load_ushort v29, v[13:14], off
	s_andn2_b32 vcc_lo, exec_lo, s9
	s_waitcnt vmcnt(7)
	v_and_b32_e32 v13, 0xff, v32
	s_waitcnt vmcnt(6)
	v_lshlrev_b32_e32 v14, 8, v15
	v_bfe_u32 v34, v32, 8, 8
	v_lshlrev_b32_e32 v35, 7, v15
	v_bfe_u32 v36, v32, 16, 8
	v_lshlrev_b32_e32 v37, 6, v15
	v_lshrrev_b32_e32 v32, 24, v32
	v_lshlrev_b32_e32 v38, 5, v15
	v_and_b32_e32 v39, 0xff, v33
	v_lshlrev_b32_e32 v40, 4, v15
	v_bfe_u32 v41, v33, 8, 8
	v_lshlrev_b32_e32 v42, 3, v15
	v_bfe_u32 v43, v33, 16, 8
	v_lshlrev_b32_e32 v44, 2, v15
	v_lshrrev_b32_e32 v33, 24, v33
	v_lshlrev_b32_e32 v15, 1, v15
	v_and_or_b32 v13, 0x100, v14, v13
	v_and_or_b32 v14, 0x100, v35, v34
	;; [unrolled: 1-line block ×8, first 2 shown]
	v_lshlrev_b32_e32 v13, 2, v13
	v_lshlrev_b32_e32 v14, 2, v14
	;; [unrolled: 1-line block ×8, first 2 shown]
	s_clause 0x7
	global_load_dword v39, v13, s[2:3]
	global_load_dword v38, v14, s[2:3]
	;; [unrolled: 1-line block ×8, first 2 shown]
	s_waitcnt vmcnt(13)
	v_cvt_f32_f16_e32 v6, v6
	s_cbranch_vccnz .LBB253_13
; %bb.15:                               ;   in Loop: Header=BB253_14 Depth=1
	v_mad_i64_i32 v[12:13], null, 0x6e, v12, s[28:29]
	v_add_co_u32 v14, vcc_lo, v12, v24
	v_add_co_ci_u32_e64 v15, null, 0, v13, vcc_lo
	v_add_co_u32 v40, vcc_lo, v12, v25
	v_add_co_ci_u32_e64 v41, null, 0, v13, vcc_lo
	;; [unrolled: 2-line block ×4, first 2 shown]
	s_clause 0x4
	global_load_dwordx2 v[44:45], v[44:45], off offset:2
	global_load_ubyte v42, v[42:43], off offset:66
	global_load_dword v41, v[40:41], off offset:74
	global_load_ubyte v14, v[14:15], off offset:106
	global_load_ushort v12, v[12:13], off
	s_waitcnt vmcnt(4)
	v_and_b32_e32 v40, 0xff, v44
	s_waitcnt vmcnt(3)
	v_lshlrev_b32_e32 v46, 8, v42
	v_lshlrev_b32_e32 v47, 7, v42
	s_waitcnt vmcnt(2)
	v_lshlrev_b32_e32 v48, 21, v41
	v_lshrrev_b32_e32 v43, 16, v41
	s_waitcnt vmcnt(1)
	v_lshrrev_b32_e32 v14, v26, v14
	v_and_or_b32 v40, 0x100, v46, v40
	v_bfe_u32 v46, v44, 8, 8
	s_waitcnt vmcnt(0)
	v_cvt_f32_f16_e32 v12, v12
	v_lshlrev_b32_e32 v14, 1, v14
	v_lshlrev_b32_e32 v40, 2, v40
	v_and_or_b32 v46, 0x100, v47, v46
	v_and_b32_e32 v47, 0xff, v41
	v_mul_f32_e32 v12, v6, v12
	v_and_or_b32 v14, v14, 30, 1
	global_load_dword v40, v40, s[2:3]
	v_lshlrev_b32_e32 v46, 2, v46
	v_lshl_or_b32 v48, v47, 7, v48
	global_load_dword v46, v46, s[2:3]
	v_and_b32_e32 v49, 0x1800180, v48
	v_bfe_u32 v48, v48, 24, 1
	v_cmp_ne_u16_sdwa s16, v49, v23 src0_sel:BYTE_1 src1_sel:DWORD
	v_cmp_ne_u16_e32 vcc_lo, 0, v48
	v_lshrrev_b16 v48, 7, v49
	v_lshrrev_b32_e32 v49, 2, v41
	v_cndmask_b32_e64 v50, 0, -1, s16
	v_cndmask_b32_e64 v52, 0, -1, vcc_lo
	v_bfe_i32 v48, v48, 0, 1
	v_bfe_i32 v49, v49, 0, 1
	v_lshlrev_b16 v50, 8, v50
	v_lshlrev_b16 v52, 8, v52
	v_or_b32_sdwa v51, v48, v50 dst_sel:DWORD dst_unused:UNUSED_PAD src0_sel:BYTE_0 src1_sel:DWORD
	v_or_b32_sdwa v53, v49, v52 dst_sel:WORD_1 dst_unused:UNUSED_PAD src0_sel:BYTE_0 src1_sel:DWORD
	v_lshlrev_b16 v48, 8, v48
	v_lshlrev_b16 v49, 8, v49
	v_or_b32_sdwa v51, v51, v53 dst_sel:DWORD dst_unused:UNUSED_PAD src0_sel:WORD_0 src1_sel:DWORD
	v_lshlrev_b32_e32 v53, 17, v41
	v_lshl_or_b32 v47, v47, 3, v53
	v_and_b32_e32 v53, 0x1800180, v47
	v_bfe_u32 v47, v47, 24, 1
	v_cmp_ne_u16_sdwa s16, v53, v23 src0_sel:BYTE_1 src1_sel:DWORD
	v_cmp_ne_u16_e32 vcc_lo, 0, v47
	v_lshrrev_b16 v47, 7, v53
	v_lshrrev_b32_e32 v53, 6, v41
	v_cndmask_b32_e64 v54, 0, -1, s16
	v_cndmask_b32_e64 v56, 0, -1, vcc_lo
	v_bfe_i32 v47, v47, 0, 1
	v_bfe_i32 v53, v53, 0, 1
	v_lshlrev_b16 v54, 8, v54
	v_lshlrev_b16 v56, 8, v56
	v_or_b32_sdwa v55, v47, v54 dst_sel:DWORD dst_unused:UNUSED_PAD src0_sel:BYTE_0 src1_sel:DWORD
	v_or_b32_sdwa v57, v53, v56 dst_sel:WORD_1 dst_unused:UNUSED_PAD src0_sel:BYTE_0 src1_sel:DWORD
	v_lshlrev_b16 v47, 8, v47
	v_or_b32_sdwa v55, v55, v57 dst_sel:DWORD dst_unused:UNUSED_PAD src0_sel:WORD_0 src1_sel:DWORD
	s_waitcnt vmcnt(1)
	v_xor_b32_e32 v40, v40, v51
	v_lshrrev_b32_e32 v51, 16, v40
	v_and_b32_e32 v57, 0xffffff00, v40
	v_lshlrev_b16 v40, 8, v40
	v_sub_nc_i16 v50, v57, v50 clamp
	v_sub_nc_i16 v40, v40, v48 clamp
	v_and_b32_e32 v48, 0xffffff00, v51
	v_perm_b32 v40, v40, v50, 0xc0c0105
	v_lshlrev_b16 v50, 8, v51
	v_sub_nc_i16 v48, v48, v52 clamp
	v_sub_nc_i16 v49, v50, v49 clamp
	v_perm_b32 v48, v49, v48, 0xc0c0105
	v_lshl_or_b32 v48, v48, 16, v40
	s_waitcnt vmcnt(0)
	v_xor_b32_e32 v40, v46, v55
	v_lshrrev_b32_e32 v46, 16, v40
	v_and_b32_e32 v49, 0xffffff00, v40
	v_lshlrev_b16 v40, 8, v40
	v_sub_nc_i16 v49, v49, v54 clamp
	v_sub_nc_i16 v40, v40, v47 clamp
	v_and_b32_e32 v47, 0xffffff00, v46
	v_lshlrev_b16 v46, 8, v46
	v_lshrrev_b32_e32 v54, 14, v41
	v_perm_b32 v40, v40, v49, 0xc0c0105
	v_lshlrev_b16 v49, 8, v53
	v_sub_nc_i16 v47, v47, v56 clamp
	v_lshrrev_b32_e32 v53, 15, v41
	v_bfe_i32 v54, v54, 0, 1
	v_sub_nc_i16 v46, v46, v49 clamp
	v_lshrrev_b32_e32 v49, 10, v41
	v_bfe_i32 v53, v53, 0, 1
	v_perm_b32 v46, v46, v47, 0xc0c0105
	v_lshlrev_b32_e32 v47, 6, v42
	v_bfe_i32 v49, v49, 0, 1
	v_lshlrev_b16 v53, 8, v53
	v_lshl_or_b32 v46, v46, 16, v40
	v_mov_b32_e32 v40, 0
	v_or_b32_sdwa v57, v54, v53 dst_sel:WORD_1 dst_unused:UNUSED_PAD src0_sel:BYTE_0 src1_sel:DWORD
	v_dot4c_i32_i8 v40, v48, v7
	v_lshrrev_b32_e32 v48, 11, v41
	v_dot4c_i32_i8 v40, v46, v8
	v_bfe_u32 v46, v44, 16, 8
	v_lshrrev_b32_e32 v44, 24, v44
	v_bfe_i32 v48, v48, 0, 1
	v_and_or_b32 v46, 0x100, v47, v46
	v_lshlrev_b32_e32 v47, 5, v42
	v_lshlrev_b16 v48, 8, v48
	v_lshlrev_b32_e32 v46, 2, v46
	v_and_or_b32 v44, 0x100, v47, v44
	v_lshrrev_b32_e32 v47, 1, v41
	v_or_b32_sdwa v52, v49, v48 dst_sel:WORD_1 dst_unused:UNUSED_PAD src0_sel:BYTE_0 src1_sel:DWORD
	v_lshlrev_b16 v49, 8, v49
	global_load_dword v46, v46, s[2:3]
	v_lshlrev_b32_e32 v44, 2, v44
	v_and_b32_e32 v47, 0x180, v47
	global_load_dword v44, v44, s[2:3]
	v_cmp_ne_u16_sdwa s16, v47, v23 src0_sel:BYTE_1 src1_sel:DWORD
	v_lshrrev_b16 v47, 7, v47
	v_cndmask_b32_e64 v50, 0, -1, s16
	v_bfe_i32 v47, v47, 0, 1
	v_lshlrev_b16 v50, 8, v50
	v_or_b32_sdwa v51, v47, v50 dst_sel:DWORD dst_unused:UNUSED_PAD src0_sel:BYTE_0 src1_sel:DWORD
	v_lshlrev_b16 v47, 8, v47
	v_or_b32_sdwa v51, v51, v52 dst_sel:DWORD dst_unused:UNUSED_PAD src0_sel:WORD_0 src1_sel:DWORD
	v_lshrrev_b32_e32 v52, 5, v41
	v_and_b32_e32 v52, 0x180, v52
	v_cmp_ne_u16_sdwa s16, v52, v23 src0_sel:BYTE_1 src1_sel:DWORD
	v_lshrrev_b16 v52, 7, v52
	v_cndmask_b32_e64 v55, 0, -1, s16
	v_bfe_i32 v52, v52, 0, 1
	v_lshlrev_b16 v55, 8, v55
	v_or_b32_sdwa v56, v52, v55 dst_sel:DWORD dst_unused:UNUSED_PAD src0_sel:BYTE_0 src1_sel:DWORD
	v_or_b32_sdwa v56, v56, v57 dst_sel:DWORD dst_unused:UNUSED_PAD src0_sel:WORD_0 src1_sel:DWORD
	s_waitcnt vmcnt(1)
	v_xor_b32_e32 v46, v46, v51
	v_lshrrev_b32_e32 v51, 16, v46
	v_and_b32_e32 v57, 0xffffff00, v46
	v_lshlrev_b16 v46, 8, v46
	s_waitcnt vmcnt(0)
	v_xor_b32_e32 v44, v44, v56
	v_sub_nc_i16 v50, v57, v50 clamp
	v_sub_nc_i16 v46, v46, v47 clamp
	v_and_b32_e32 v47, 0xffffff00, v51
	v_perm_b32 v46, v46, v50, 0xc0c0105
	v_sub_nc_i16 v47, v47, v48 clamp
	v_lshlrev_b16 v48, 8, v51
	v_sub_nc_i16 v48, v48, v49 clamp
	v_lshlrev_b16 v49, 8, v52
	v_perm_b32 v47, v48, v47, 0xc0c0105
	v_and_b32_e32 v48, 0xffffff00, v44
	v_lshl_or_b32 v46, v47, 16, v46
	v_lshrrev_b32_e32 v47, 16, v44
	v_lshlrev_b16 v44, 8, v44
	v_sub_nc_i16 v48, v48, v55 clamp
	v_dot4c_i32_i8 v40, v46, v9
	v_lshlrev_b32_e32 v46, 4, v42
	v_sub_nc_i16 v44, v44, v49 clamp
	v_lshlrev_b16 v49, 8, v54
	v_perm_b32 v44, v44, v48, 0xc0c0105
	v_and_b32_e32 v48, 0xffffff00, v47
	v_lshlrev_b16 v47, 8, v47
	v_sub_nc_i16 v48, v48, v53 clamp
	v_sub_nc_i16 v47, v47, v49 clamp
	v_perm_b32 v47, v47, v48, 0xc0c0105
	v_lshl_or_b32 v44, v47, 16, v44
	v_lshlrev_b32_e32 v47, 3, v42
	v_dot4c_i32_i8 v40, v44, v2
	v_and_b32_e32 v44, 0xff, v45
	v_and_or_b32 v44, 0x100, v46, v44
	v_bfe_u32 v46, v45, 8, 8
	v_lshlrev_b32_e32 v44, 2, v44
	v_and_or_b32 v46, 0x100, v47, v46
	v_lshrrev_b32_e32 v47, 9, v41
	global_load_dword v44, v44, s[2:3]
	v_lshlrev_b32_e32 v46, 2, v46
	v_lshl_or_b32 v47, v43, 21, v47
	global_load_dword v46, v46, s[2:3]
	v_and_b32_e32 v48, 0x1800180, v47
	v_bfe_u32 v47, v47, 24, 1
	v_cmp_ne_u16_sdwa s16, v48, v23 src0_sel:BYTE_1 src1_sel:DWORD
	v_cmp_ne_u16_e32 vcc_lo, 0, v47
	v_lshrrev_b16 v47, 7, v48
	v_lshrrev_b32_e32 v48, 18, v41
	v_cndmask_b32_e64 v49, 0, -1, s16
	v_cndmask_b32_e64 v51, 0, -1, vcc_lo
	v_bfe_i32 v47, v47, 0, 1
	v_bfe_i32 v48, v48, 0, 1
	v_lshlrev_b16 v49, 8, v49
	v_lshlrev_b16 v51, 8, v51
	v_or_b32_sdwa v50, v47, v49 dst_sel:DWORD dst_unused:UNUSED_PAD src0_sel:BYTE_0 src1_sel:DWORD
	v_or_b32_sdwa v52, v48, v51 dst_sel:WORD_1 dst_unused:UNUSED_PAD src0_sel:BYTE_0 src1_sel:DWORD
	v_lshlrev_b16 v47, 8, v47
	v_lshlrev_b16 v48, 8, v48
	v_or_b32_sdwa v50, v50, v52 dst_sel:DWORD dst_unused:UNUSED_PAD src0_sel:WORD_0 src1_sel:DWORD
	v_lshrrev_b32_e32 v52, 13, v41
	v_lshl_or_b32 v43, v43, 17, v52
	v_and_b32_e32 v52, 0x1800180, v43
	v_bfe_u32 v43, v43, 24, 1
	v_cmp_ne_u16_sdwa s16, v52, v23 src0_sel:BYTE_1 src1_sel:DWORD
	v_cmp_ne_u16_e32 vcc_lo, 0, v43
	v_lshrrev_b16 v43, 7, v52
	v_lshrrev_b32_e32 v52, 22, v41
	v_cndmask_b32_e64 v53, 0, -1, s16
	v_cndmask_b32_e64 v55, 0, -1, vcc_lo
	v_bfe_i32 v43, v43, 0, 1
	v_bfe_i32 v52, v52, 0, 1
	v_lshlrev_b16 v53, 8, v53
	v_lshlrev_b16 v55, 8, v55
	v_or_b32_sdwa v54, v43, v53 dst_sel:DWORD dst_unused:UNUSED_PAD src0_sel:BYTE_0 src1_sel:DWORD
	v_or_b32_sdwa v56, v52, v55 dst_sel:WORD_1 dst_unused:UNUSED_PAD src0_sel:BYTE_0 src1_sel:DWORD
	v_lshlrev_b16 v43, 8, v43
	v_or_b32_sdwa v54, v54, v56 dst_sel:DWORD dst_unused:UNUSED_PAD src0_sel:WORD_0 src1_sel:DWORD
	s_waitcnt vmcnt(1)
	v_xor_b32_e32 v44, v44, v50
	v_lshrrev_b32_e32 v50, 16, v44
	v_and_b32_e32 v56, 0xffffff00, v44
	v_lshlrev_b16 v44, 8, v44
	s_waitcnt vmcnt(0)
	v_xor_b32_e32 v46, v46, v54
	v_sub_nc_i16 v49, v56, v49 clamp
	v_sub_nc_i16 v44, v44, v47 clamp
	v_and_b32_e32 v47, 0xffffff00, v50
	v_perm_b32 v44, v44, v49, 0xc0c0105
	v_lshlrev_b16 v49, 8, v50
	v_sub_nc_i16 v47, v47, v51 clamp
	v_lshrrev_b32_e32 v51, 31, v41
	v_sub_nc_i16 v48, v49, v48 clamp
	v_perm_b32 v47, v48, v47, 0xc0c0105
	v_and_b32_e32 v48, 0xffffff00, v46
	v_lshl_or_b32 v44, v47, 16, v44
	v_lshrrev_b32_e32 v47, 16, v46
	v_lshlrev_b16 v46, 8, v46
	v_sub_nc_i16 v48, v48, v53 clamp
	v_dot4c_i32_i8 v40, v44, v3
	v_lshlrev_b32_e32 v44, 2, v42
	v_sub_nc_i16 v43, v46, v43 clamp
	v_and_b32_e32 v46, 0xffffff00, v47
	v_lshlrev_b16 v47, 8, v47
	v_lshlrev_b32_e32 v42, 1, v42
	v_perm_b32 v43, v43, v48, 0xc0c0105
	v_lshlrev_b16 v48, 8, v52
	v_sub_nc_i16 v46, v46, v55 clamp
	v_sub_nc_i16 v47, v47, v48 clamp
	v_perm_b32 v46, v47, v46, 0xc0c0105
	v_lshl_or_b32 v43, v46, 16, v43
	v_dot4c_i32_i8 v40, v43, v4
	v_bfe_u32 v43, v45, 16, 8
	v_and_or_b32 v43, 0x100, v44, v43
	v_lshrrev_b32_e32 v44, 24, v45
	v_lshrrev_b32_e32 v45, 24, v41
	v_lshlrev_b32_e32 v43, 2, v43
	v_and_or_b32 v42, 0x100, v42, v44
	v_lshrrev_b32_e32 v44, 17, v41
	global_load_dword v43, v43, s[2:3]
	v_lshlrev_b32_e32 v42, 2, v42
	v_lshl_or_b32 v44, v45, 21, v44
	global_load_dword v42, v42, s[2:3]
	v_and_b32_e32 v45, 0x1800180, v44
	v_bfe_u32 v44, v44, 24, 1
	v_cmp_ne_u16_sdwa s2, v45, v23 src0_sel:BYTE_1 src1_sel:DWORD
	v_cmp_ne_u16_e32 vcc_lo, 0, v44
	v_lshrrev_b16 v44, 7, v45
	v_lshrrev_b32_e32 v45, 26, v41
	v_cndmask_b32_e64 v46, 0, -1, s2
	v_cndmask_b32_e64 v48, 0, -1, vcc_lo
	v_bfe_i32 v44, v44, 0, 1
	v_bfe_i32 v45, v45, 0, 1
	v_cmp_ne_u16_e32 vcc_lo, 0, v51
	v_lshlrev_b16 v46, 8, v46
	v_lshlrev_b16 v48, 8, v48
	v_cndmask_b32_e64 v52, 0, -1, vcc_lo
	v_or_b32_sdwa v47, v44, v46 dst_sel:DWORD dst_unused:UNUSED_PAD src0_sel:BYTE_0 src1_sel:DWORD
	v_or_b32_sdwa v49, v45, v48 dst_sel:WORD_1 dst_unused:UNUSED_PAD src0_sel:BYTE_0 src1_sel:DWORD
	v_lshlrev_b16 v44, 8, v44
	v_lshlrev_b16 v45, 8, v45
	;; [unrolled: 1-line block ×3, first 2 shown]
	v_or_b32_sdwa v47, v47, v49 dst_sel:DWORD dst_unused:UNUSED_PAD src0_sel:WORD_0 src1_sel:DWORD
	v_lshrrev_b32_e32 v49, 21, v41
	v_lshrrev_b32_e32 v41, 30, v41
	v_lshrrev_b16 v50, 8, v49
	v_lshrrev_b16 v49, 7, v49
	v_bfe_i32 v41, v41, 0, 1
	v_bfe_i32 v50, v50, 0, 1
	;; [unrolled: 1-line block ×3, first 2 shown]
	v_or_b32_sdwa v53, v41, v52 dst_sel:WORD_1 dst_unused:UNUSED_PAD src0_sel:BYTE_0 src1_sel:DWORD
	v_lshlrev_b16 v41, 8, v41
	v_lshlrev_b16 v50, 8, v50
	v_or_b32_sdwa v51, v49, v50 dst_sel:DWORD dst_unused:UNUSED_PAD src0_sel:BYTE_0 src1_sel:DWORD
	v_or_b32_sdwa v51, v51, v53 dst_sel:DWORD dst_unused:UNUSED_PAD src0_sel:WORD_0 src1_sel:DWORD
	s_waitcnt vmcnt(1)
	v_xor_b32_e32 v43, v43, v47
	v_lshrrev_b32_e32 v47, 16, v43
	v_and_b32_e32 v53, 0xffffff00, v43
	v_lshlrev_b16 v43, 8, v43
	s_waitcnt vmcnt(0)
	v_xor_b32_e32 v42, v42, v51
	v_sub_nc_i16 v46, v53, v46 clamp
	v_sub_nc_i16 v43, v43, v44 clamp
	v_and_b32_e32 v44, 0xffffff00, v47
	v_perm_b32 v43, v43, v46, 0xc0c0105
	v_lshlrev_b16 v46, 8, v47
	v_sub_nc_i16 v44, v44, v48 clamp
	v_sub_nc_i16 v45, v46, v45 clamp
	v_lshlrev_b16 v46, 8, v49
	v_perm_b32 v44, v45, v44, 0xc0c0105
	v_and_b32_e32 v45, 0xffffff00, v42
	v_lshl_or_b32 v43, v44, 16, v43
	v_lshrrev_b32_e32 v44, 16, v42
	v_lshlrev_b16 v42, 8, v42
	v_sub_nc_i16 v45, v45, v50 clamp
	v_dot4c_i32_i8 v40, v43, v5
	v_sub_nc_i16 v42, v42, v46 clamp
	v_perm_b32 v42, v42, v45, 0xc0c0105
	v_and_b32_e32 v45, 0xffffff00, v44
	v_lshlrev_b16 v44, 8, v44
	v_sub_nc_i16 v45, v45, v52 clamp
	v_sub_nc_i16 v41, v44, v41 clamp
	v_perm_b32 v41, v41, v45, 0xc0c0105
	v_lshl_or_b32 v41, v41, 16, v42
	v_dot4c_i32_i8 v40, v41, v28
	v_mul_lo_u32 v14, v40, v14
	v_cvt_f32_i32_e32 v13, v14
	v_fmac_f32_e32 v19, v12, v13
	s_branch .LBB253_13
.LBB253_16:
	s_or_b32 exec_lo, exec_lo, s14
.LBB253_17:
	s_or_b32 exec_lo, exec_lo, s11
	s_load_dword s2, s[4:5], 0x30
	s_waitcnt vmcnt(0) lgkmcnt(0)
	; wave barrier
	buffer_gl0_inv
	s_mov_b32 s3, exec_lo
	v_cmpx_eq_u32_e32 0, v1
	s_cbranch_execz .LBB253_44
; %bb.18:
	v_mbcnt_lo_u32_b32 v2, -1, 0
	v_xor_b32_e32 v1, 16, v2
	v_xor_b32_e32 v4, 8, v2
	;; [unrolled: 1-line block ×3, first 2 shown]
	v_cmp_gt_i32_e32 vcc_lo, 32, v1
	v_cndmask_b32_e32 v1, v2, v1, vcc_lo
	v_cmp_gt_i32_e32 vcc_lo, 32, v4
	v_lshlrev_b32_e32 v1, 2, v1
	v_cndmask_b32_e32 v4, v2, v4, vcc_lo
	v_cmp_gt_i32_e32 vcc_lo, 32, v5
	ds_bpermute_b32 v3, v1, v21
	v_lshlrev_b32_e32 v4, 2, v4
	v_cndmask_b32_e32 v5, v2, v5, vcc_lo
	v_lshlrev_b32_e32 v5, 2, v5
	s_waitcnt lgkmcnt(0)
	v_add_f32_e32 v3, v21, v3
	ds_bpermute_b32 v6, v4, v3
	s_waitcnt lgkmcnt(0)
	v_add_f32_e32 v3, v3, v6
	v_xor_b32_e32 v6, 2, v2
	ds_bpermute_b32 v7, v5, v3
	v_cmp_gt_i32_e32 vcc_lo, 32, v6
	v_cndmask_b32_e32 v6, v2, v6, vcc_lo
	v_lshlrev_b32_e32 v6, 2, v6
	s_waitcnt lgkmcnt(0)
	v_add_f32_e32 v3, v3, v7
	v_xor_b32_e32 v7, 1, v2
	ds_bpermute_b32 v8, v6, v3
	v_cmp_gt_i32_e32 vcc_lo, 32, v7
	v_cndmask_b32_e32 v2, v2, v7, vcc_lo
	v_cmp_ne_u32_e32 vcc_lo, 1, v18
	v_lshlrev_b32_e32 v7, 2, v2
	s_waitcnt lgkmcnt(0)
	v_add_f32_e32 v2, v3, v8
	ds_bpermute_b32 v3, v7, v2
	s_cbranch_vccnz .LBB253_20
; %bb.19:
	ds_bpermute_b32 v1, v1, v19
	s_waitcnt lgkmcnt(0)
	v_add_f32_e32 v1, v19, v1
	ds_bpermute_b32 v4, v4, v1
	s_waitcnt lgkmcnt(0)
	v_add_f32_e32 v1, v1, v4
	;; [unrolled: 3-line block ×5, first 2 shown]
.LBB253_20:
	v_cmp_eq_u32_e32 vcc_lo, 0, v0
	s_and_b32 exec_lo, exec_lo, vcc_lo
	s_cbranch_execz .LBB253_44
; %bb.21:
	s_waitcnt lgkmcnt(0)
	v_add_f32_e32 v1, v2, v3
	v_cmp_ne_u32_e32 vcc_lo, 1, v18
	v_add_f32_e32 v2, v17, v1
	v_cndmask_b32_e64 v1, v1, v2, s0
	s_cbranch_vccnz .LBB253_43
; %bb.22:
	v_add_f32_e32 v2, v16, v19
	s_cmp_lt_i32 s2, 2
	s_mov_b32 s0, 0
	v_cndmask_b32_e64 v2, v19, v2, s1
	s_cbranch_scc1 .LBB253_26
; %bb.23:
	s_cmp_gt_i32 s2, 2
	s_cbranch_scc0 .LBB253_27
; %bb.24:
	s_cmp_eq_u32 s2, 3
	s_cbranch_scc0 .LBB253_28
; %bb.25:
	v_max_f32_e32 v3, v2, v2
	s_mov_b32 s1, 0
	v_min_f32_e32 v3, 0x40e00000, v3
	v_mul_f32_e32 v4, 0xbfd9db23, v3
	v_mul_f32_e32 v5, 0x3fb8aa3b, v4
	v_cmp_ngt_f32_e32 vcc_lo, 0xc2ce8ed0, v4
	v_fma_f32 v6, 0x3fb8aa3b, v4, -v5
	v_rndne_f32_e32 v7, v5
	v_fmamk_f32 v6, v4, 0x32a5705f, v6
	v_sub_f32_e32 v5, v5, v7
	v_add_f32_e32 v5, v5, v6
	v_cvt_i32_f32_e32 v6, v7
	v_exp_f32_e32 v5, v5
	v_ldexp_f32 v5, v5, v6
	v_cndmask_b32_e32 v5, 0, v5, vcc_lo
	v_cmp_nlt_f32_e32 vcc_lo, 0x42b17218, v4
	v_cndmask_b32_e32 v4, 0x7f800000, v5, vcc_lo
	v_add_f32_e32 v4, 1.0, v4
	v_div_scale_f32 v5, null, v4, v4, v3
	v_div_scale_f32 v8, vcc_lo, v3, v4, v3
	v_rcp_f32_e32 v6, v5
	v_fma_f32 v7, -v5, v6, 1.0
	v_fmac_f32_e32 v6, v7, v6
	v_mul_f32_e32 v7, v8, v6
	v_fma_f32 v9, -v5, v7, v8
	v_fmac_f32_e32 v7, v9, v6
	v_max_f32_e32 v9, v1, v1
	v_fma_f32 v5, -v5, v7, v8
	v_min_f32_e32 v8, 0x40e00000, v9
	v_div_fmas_f32 v5, v5, v6, v7
	v_max_f32_e32 v6, 0xc0e00000, v8
	v_div_fixup_f32 v3, v5, v4, v3
	v_add_f32_e32 v4, 1.0, v6
	v_mul_f32_e32 v3, v4, v3
	s_branch .LBB253_29
.LBB253_26:
	s_mov_b32 s1, 0
                                        ; implicit-def: $vgpr3
	s_cbranch_execnz .LBB253_33
	s_branch .LBB253_34
.LBB253_27:
	s_mov_b32 s3, -1
	s_mov_b32 s1, 0
                                        ; implicit-def: $vgpr3
	s_branch .LBB253_30
.LBB253_28:
	s_mov_b32 s1, -1
                                        ; implicit-def: $vgpr3
.LBB253_29:
	s_mov_b32 s3, 0
.LBB253_30:
	s_and_b32 vcc_lo, exec_lo, s3
	s_cbranch_vccz .LBB253_32
; %bb.31:
	v_mul_f32_e32 v3, 0xbfb8aa3b, v2
	v_cmp_nlt_f32_e32 vcc_lo, 0x42ce8ed0, v2
	v_rndne_f32_e32 v4, v3
	v_fma_f32 v5, 0xbfb8aa3b, v2, -v3
	v_sub_f32_e32 v3, v3, v4
	v_fmamk_f32 v5, v2, 0xb2a5705f, v5
	v_cvt_i32_f32_e32 v4, v4
	v_add_f32_e32 v3, v3, v5
	v_exp_f32_e32 v3, v3
	v_ldexp_f32 v3, v3, v4
	v_cndmask_b32_e32 v3, 0, v3, vcc_lo
	v_cmp_ngt_f32_e32 vcc_lo, 0xc2b17218, v2
	v_cndmask_b32_e32 v3, 0x7f800000, v3, vcc_lo
	v_add_f32_e32 v3, 1.0, v3
	v_div_scale_f32 v4, null, v3, v3, v2
	v_rcp_f32_e32 v5, v4
	v_fma_f32 v6, -v4, v5, 1.0
	v_fmac_f32_e32 v5, v6, v5
	v_div_scale_f32 v6, vcc_lo, v2, v3, v2
	v_mul_f32_e32 v7, v6, v5
	v_fma_f32 v8, -v4, v7, v6
	v_fmac_f32_e32 v7, v8, v5
	v_fma_f32 v4, -v4, v7, v6
	v_div_fmas_f32 v4, v4, v5, v7
	v_div_fixup_f32 v3, v4, v3, v2
	v_mul_f32_e32 v3, v1, v3
.LBB253_32:
	s_branch .LBB253_34
.LBB253_33:
	s_cmp_lg_u32 s2, 1
	s_mov_b32 s0, -1
	s_cselect_b32 s1, -1, 0
.LBB253_34:
	s_andn2_b32 vcc_lo, exec_lo, s1
	s_cbranch_vccz .LBB253_36
; %bb.35:
	s_andn2_b32 vcc_lo, exec_lo, s0
	s_cbranch_vccz .LBB253_37
	s_branch .LBB253_42
.LBB253_36:
	v_mul_f32_e32 v3, v2, v1
	s_cbranch_execnz .LBB253_42
.LBB253_37:
	v_mul_f32_e32 v3, 0x3d372713, v2
	v_mul_f32_e32 v4, 0x3f4c422a, v2
	v_fma_f32 v3, v2, v3, 1.0
	v_mul_f32_e32 v3, v4, v3
                                        ; implicit-def: $vgpr4
	v_cmp_ngt_f32_e64 s0, 0x3f200000, |v3|
	s_and_saveexec_b32 s1, s0
	s_xor_b32 s0, exec_lo, s1
	s_cbranch_execz .LBB253_39
; %bb.38:
	v_add_f32_e64 v4, |v3|, |v3|
	v_mul_f32_e32 v5, 0x3fb8aa3b, v4
	v_cmp_ngt_f32_e32 vcc_lo, 0xc2ce8ed0, v4
	v_rndne_f32_e32 v6, v5
	v_fma_f32 v7, 0x3fb8aa3b, v4, -v5
	v_sub_f32_e32 v5, v5, v6
	v_fmamk_f32 v7, v4, 0x32a5705f, v7
	v_cvt_i32_f32_e32 v6, v6
	v_add_f32_e32 v5, v5, v7
	v_exp_f32_e32 v5, v5
	v_ldexp_f32 v5, v5, v6
	v_cndmask_b32_e32 v5, 0, v5, vcc_lo
	v_cmp_nlt_f32_e32 vcc_lo, 0x42b17218, v4
	v_cndmask_b32_e32 v4, 0x7f800000, v5, vcc_lo
	v_add_f32_e32 v4, 1.0, v4
	v_rcp_f32_e32 v4, v4
	v_fma_f32 v4, v4, -2.0, 1.0
.LBB253_39:
	s_andn2_saveexec_b32 s0, s0
	s_cbranch_execz .LBB253_41
; %bb.40:
	v_mul_f32_e32 v4, v3, v3
	s_mov_b32 s1, 0xbbbac73d
	v_fmaak_f32 v5, s1, v4, 0x3ca908c9
	v_fmaak_f32 v5, v4, v5, 0xbd5c1c4e
	;; [unrolled: 1-line block ×4, first 2 shown]
	v_mul_f32_e64 v5, |v3|, v5
	v_fma_f32 v4, v4, v5, |v3|
.LBB253_41:
	s_or_b32 exec_lo, exec_lo, s0
	v_bfi_b32 v3, 0x7fffffff, v4, v3
	v_mul_f32_e32 v2, 0.5, v2
	v_add_f32_e32 v3, 1.0, v3
	v_mul_f32_e32 v2, v2, v3
	v_mul_f32_e32 v3, v1, v2
.LBB253_42:
	v_mov_b32_e32 v1, v3
.LBB253_43:
	s_load_dwordx2 s[0:1], s[4:5], 0x38
	s_mul_i32 s2, s22, s10
	s_mul_i32 s3, s26, s8
	s_add_i32 s2, s2, s6
	v_lshlrev_b32_e32 v0, 2, v0
	s_add_i32 s2, s2, s3
	s_mov_b32 s3, 0
	s_lshl_b64 s[2:3], s[2:3], 2
	s_waitcnt lgkmcnt(0)
	s_add_u32 s0, s0, s2
	s_addc_u32 s1, s1, s3
	global_store_dword v0, v1, s[0:1]
.LBB253_44:
	s_endpgm
	.section	.rodata,"a",@progbits
	.p2align	6, 0x0
	.amdhsa_kernel _ZL13mul_mat_vec_qIL9ggml_type21ELi1ELb1ELb1EEvPKvS2_PKi31ggml_cuda_mm_fusion_args_devicePfj15HIP_vector_typeIjLj3EEjjjS8_jjjS8_jjjj
		.amdhsa_group_segment_fixed_size 0
		.amdhsa_private_segment_fixed_size 0
		.amdhsa_kernarg_size 144
		.amdhsa_user_sgpr_count 6
		.amdhsa_user_sgpr_private_segment_buffer 1
		.amdhsa_user_sgpr_dispatch_ptr 0
		.amdhsa_user_sgpr_queue_ptr 0
		.amdhsa_user_sgpr_kernarg_segment_ptr 1
		.amdhsa_user_sgpr_dispatch_id 0
		.amdhsa_user_sgpr_flat_scratch_init 0
		.amdhsa_user_sgpr_private_segment_size 0
		.amdhsa_wavefront_size32 1
		.amdhsa_uses_dynamic_stack 0
		.amdhsa_system_sgpr_private_segment_wavefront_offset 0
		.amdhsa_system_sgpr_workgroup_id_x 1
		.amdhsa_system_sgpr_workgroup_id_y 1
		.amdhsa_system_sgpr_workgroup_id_z 1
		.amdhsa_system_sgpr_workgroup_info 0
		.amdhsa_system_vgpr_workitem_id 1
		.amdhsa_next_free_vgpr 58
		.amdhsa_next_free_sgpr 40
		.amdhsa_reserve_vcc 1
		.amdhsa_reserve_flat_scratch 0
		.amdhsa_float_round_mode_32 0
		.amdhsa_float_round_mode_16_64 0
		.amdhsa_float_denorm_mode_32 3
		.amdhsa_float_denorm_mode_16_64 3
		.amdhsa_dx10_clamp 1
		.amdhsa_ieee_mode 1
		.amdhsa_fp16_overflow 0
		.amdhsa_workgroup_processor_mode 1
		.amdhsa_memory_ordered 1
		.amdhsa_forward_progress 1
		.amdhsa_shared_vgpr_count 0
		.amdhsa_exception_fp_ieee_invalid_op 0
		.amdhsa_exception_fp_denorm_src 0
		.amdhsa_exception_fp_ieee_div_zero 0
		.amdhsa_exception_fp_ieee_overflow 0
		.amdhsa_exception_fp_ieee_underflow 0
		.amdhsa_exception_fp_ieee_inexact 0
		.amdhsa_exception_int_div_zero 0
	.end_amdhsa_kernel
	.section	.text._ZL13mul_mat_vec_qIL9ggml_type21ELi1ELb1ELb1EEvPKvS2_PKi31ggml_cuda_mm_fusion_args_devicePfj15HIP_vector_typeIjLj3EEjjjS8_jjjS8_jjjj,"axG",@progbits,_ZL13mul_mat_vec_qIL9ggml_type21ELi1ELb1ELb1EEvPKvS2_PKi31ggml_cuda_mm_fusion_args_devicePfj15HIP_vector_typeIjLj3EEjjjS8_jjjS8_jjjj,comdat
.Lfunc_end253:
	.size	_ZL13mul_mat_vec_qIL9ggml_type21ELi1ELb1ELb1EEvPKvS2_PKi31ggml_cuda_mm_fusion_args_devicePfj15HIP_vector_typeIjLj3EEjjjS8_jjjS8_jjjj, .Lfunc_end253-_ZL13mul_mat_vec_qIL9ggml_type21ELi1ELb1ELb1EEvPKvS2_PKi31ggml_cuda_mm_fusion_args_devicePfj15HIP_vector_typeIjLj3EEjjjS8_jjjS8_jjjj
                                        ; -- End function
	.set _ZL13mul_mat_vec_qIL9ggml_type21ELi1ELb1ELb1EEvPKvS2_PKi31ggml_cuda_mm_fusion_args_devicePfj15HIP_vector_typeIjLj3EEjjjS8_jjjS8_jjjj.num_vgpr, 58
	.set _ZL13mul_mat_vec_qIL9ggml_type21ELi1ELb1ELb1EEvPKvS2_PKi31ggml_cuda_mm_fusion_args_devicePfj15HIP_vector_typeIjLj3EEjjjS8_jjjS8_jjjj.num_agpr, 0
	.set _ZL13mul_mat_vec_qIL9ggml_type21ELi1ELb1ELb1EEvPKvS2_PKi31ggml_cuda_mm_fusion_args_devicePfj15HIP_vector_typeIjLj3EEjjjS8_jjjS8_jjjj.numbered_sgpr, 40
	.set _ZL13mul_mat_vec_qIL9ggml_type21ELi1ELb1ELb1EEvPKvS2_PKi31ggml_cuda_mm_fusion_args_devicePfj15HIP_vector_typeIjLj3EEjjjS8_jjjS8_jjjj.num_named_barrier, 0
	.set _ZL13mul_mat_vec_qIL9ggml_type21ELi1ELb1ELb1EEvPKvS2_PKi31ggml_cuda_mm_fusion_args_devicePfj15HIP_vector_typeIjLj3EEjjjS8_jjjS8_jjjj.private_seg_size, 0
	.set _ZL13mul_mat_vec_qIL9ggml_type21ELi1ELb1ELb1EEvPKvS2_PKi31ggml_cuda_mm_fusion_args_devicePfj15HIP_vector_typeIjLj3EEjjjS8_jjjS8_jjjj.uses_vcc, 1
	.set _ZL13mul_mat_vec_qIL9ggml_type21ELi1ELb1ELb1EEvPKvS2_PKi31ggml_cuda_mm_fusion_args_devicePfj15HIP_vector_typeIjLj3EEjjjS8_jjjS8_jjjj.uses_flat_scratch, 0
	.set _ZL13mul_mat_vec_qIL9ggml_type21ELi1ELb1ELb1EEvPKvS2_PKi31ggml_cuda_mm_fusion_args_devicePfj15HIP_vector_typeIjLj3EEjjjS8_jjjS8_jjjj.has_dyn_sized_stack, 0
	.set _ZL13mul_mat_vec_qIL9ggml_type21ELi1ELb1ELb1EEvPKvS2_PKi31ggml_cuda_mm_fusion_args_devicePfj15HIP_vector_typeIjLj3EEjjjS8_jjjS8_jjjj.has_recursion, 0
	.set _ZL13mul_mat_vec_qIL9ggml_type21ELi1ELb1ELb1EEvPKvS2_PKi31ggml_cuda_mm_fusion_args_devicePfj15HIP_vector_typeIjLj3EEjjjS8_jjjS8_jjjj.has_indirect_call, 0
	.section	.AMDGPU.csdata,"",@progbits
; Kernel info:
; codeLenInByte = 6808
; TotalNumSgprs: 42
; NumVgprs: 58
; ScratchSize: 0
; MemoryBound: 0
; FloatMode: 240
; IeeeMode: 1
; LDSByteSize: 0 bytes/workgroup (compile time only)
; SGPRBlocks: 0
; VGPRBlocks: 7
; NumSGPRsForWavesPerEU: 42
; NumVGPRsForWavesPerEU: 58
; Occupancy: 16
; WaveLimiterHint : 0
; COMPUTE_PGM_RSRC2:SCRATCH_EN: 0
; COMPUTE_PGM_RSRC2:USER_SGPR: 6
; COMPUTE_PGM_RSRC2:TRAP_HANDLER: 0
; COMPUTE_PGM_RSRC2:TGID_X_EN: 1
; COMPUTE_PGM_RSRC2:TGID_Y_EN: 1
; COMPUTE_PGM_RSRC2:TGID_Z_EN: 1
; COMPUTE_PGM_RSRC2:TIDIG_COMP_CNT: 1
	.section	.text._ZL13mul_mat_vec_qIL9ggml_type21ELi1ELb0ELb1EEvPKvS2_PKi31ggml_cuda_mm_fusion_args_devicePfj15HIP_vector_typeIjLj3EEjjjS8_jjjS8_jjjj,"axG",@progbits,_ZL13mul_mat_vec_qIL9ggml_type21ELi1ELb0ELb1EEvPKvS2_PKi31ggml_cuda_mm_fusion_args_devicePfj15HIP_vector_typeIjLj3EEjjjS8_jjjS8_jjjj,comdat
	.globl	_ZL13mul_mat_vec_qIL9ggml_type21ELi1ELb0ELb1EEvPKvS2_PKi31ggml_cuda_mm_fusion_args_devicePfj15HIP_vector_typeIjLj3EEjjjS8_jjjS8_jjjj ; -- Begin function _ZL13mul_mat_vec_qIL9ggml_type21ELi1ELb0ELb1EEvPKvS2_PKi31ggml_cuda_mm_fusion_args_devicePfj15HIP_vector_typeIjLj3EEjjjS8_jjjS8_jjjj
	.p2align	8
	.type	_ZL13mul_mat_vec_qIL9ggml_type21ELi1ELb0ELb1EEvPKvS2_PKi31ggml_cuda_mm_fusion_args_devicePfj15HIP_vector_typeIjLj3EEjjjS8_jjjS8_jjjj,@function
_ZL13mul_mat_vec_qIL9ggml_type21ELi1ELb0ELb1EEvPKvS2_PKi31ggml_cuda_mm_fusion_args_devicePfj15HIP_vector_typeIjLj3EEjjjS8_jjjS8_jjjj: ; @_ZL13mul_mat_vec_qIL9ggml_type21ELi1ELb0ELb1EEvPKvS2_PKi31ggml_cuda_mm_fusion_args_devicePfj15HIP_vector_typeIjLj3EEjjjS8_jjjS8_jjjj
; %bb.0:
	s_clause 0x1
	s_load_dwordx2 s[0:1], s[4:5], 0x10
	s_load_dwordx4 s[16:19], s[4:5], 0x40
	s_mov_b32 s10, s7
	s_waitcnt lgkmcnt(0)
	s_cmp_lg_u64 s[0:1], 0
	s_cselect_b32 s7, -1, 0
	s_cmp_eq_u64 s[0:1], 0
	s_cbranch_scc1 .LBB254_5
; %bb.1:
	s_mov_b32 s11, 0
	s_lshl_b64 s[2:3], s[10:11], 2
	s_add_u32 s0, s0, s2
	s_addc_u32 s1, s1, s3
	s_load_dword s20, s[0:1], 0x0
	s_clause 0x1
	s_load_dwordx4 s[0:3], s[4:5], 0x68
	s_load_dword s21, s[4:5], 0x50
	s_cbranch_execnz .LBB254_3
.LBB254_2:
	s_load_dwordx2 s[12:13], s[4:5], 0x5c
	s_waitcnt lgkmcnt(0)
	s_mul_hi_u32 s9, s12, s10
	s_add_i32 s9, s10, s9
	s_lshr_b32 s20, s9, s13
.LBB254_3:
	s_load_dword s11, s[4:5], 0x78
	s_andn2_b32 vcc_lo, exec_lo, s7
	s_cbranch_vccnz .LBB254_6
; %bb.4:
	s_mul_hi_u32 s7, s17, s10
	s_add_i32 s7, s10, s7
	s_lshr_b32 s7, s7, s18
	s_mul_i32 s7, s7, s19
	s_sub_i32 s17, s10, s7
	s_branch .LBB254_7
.LBB254_5:
                                        ; implicit-def: $sgpr20
	s_clause 0x1
	s_load_dwordx4 s[0:3], s[4:5], 0x68
	s_load_dword s21, s[4:5], 0x50
	s_branch .LBB254_2
.LBB254_6:
	s_mov_b32 s17, s10
.LBB254_7:
	s_load_dwordx4 s[12:15], s[4:5], 0x80
	v_lshl_or_b32 v2, v1, 5, v0
	v_mov_b32_e32 v5, 0
	s_lshr_b32 s9, s16, 8
	s_mov_b32 s7, exec_lo
	v_lshrrev_b32_e32 v4, 3, v2
	v_cmpx_gt_u32_e64 s9, v4
	s_cbranch_execz .LBB254_11
; %bb.8:
	v_lshrrev_b32_e32 v2, 3, v2
	s_waitcnt lgkmcnt(0)
	s_mul_i32 s1, s17, s1
	v_and_b32_e32 v6, 7, v0
	s_mul_hi_u32 s17, s1, 36
	s_mul_i32 s16, s1, 36
	s_mul_i32 s1, s13, s8
	v_mad_u64_u32 v[2:3], null, 0x120, v2, s[16:17]
	s_load_dwordx4 s[16:19], s[4:5], 0x0
	v_lshlrev_b32_e32 v5, 1, v0
	s_mul_i32 s21, s21, s6
	v_mov_b32_e32 v7, 0
	v_and_b32_e32 v11, 14, v5
	v_mad_u64_u32 v[2:3], null, s1, 36, v[2:3]
	s_mul_hi_u32 s1, s3, s8
	s_mul_i32 s3, s20, s0
	s_add_i32 s1, s8, s1
	v_lshlrev_b32_e32 v10, 1, v11
	s_lshr_b32 s0, s1, s11
	v_bfe_u32 v8, v5, 2, 2
	v_mad_u64_u32 v[2:3], null, v6, 36, v[2:3]
	s_mul_i32 s0, s0, s12
	v_and_b32_e32 v9, 4, v10
	v_lshlrev_b32_e32 v10, 1, v10
	v_lshlrev_b32_e32 v11, 1, v11
	v_mov_b32_e32 v5, 0
	s_add_i32 s0, s0, s21
	s_waitcnt lgkmcnt(0)
	v_add_co_u32 v2, vcc_lo, s18, v2
	v_add_co_ci_u32_e64 v3, null, s19, v3, vcc_lo
	s_add_i32 s3, s3, s0
	v_add_co_u32 v2, vcc_lo, v2, 32
	v_add_co_ci_u32_e64 v3, null, 0, v3, vcc_lo
	s_mov_b32 s1, 0
.LBB254_9:                              ; =>This Inner Loop Header: Depth=1
	v_add_nc_u32_e32 v12, s3, v4
	s_getpc_b64 s[12:13]
	s_add_u32 s12, s12, _ZL9iq3s_grid@rel32@lo+4
	s_addc_u32 s13, s13, _ZL9iq3s_grid@rel32@hi+12
	v_add_nc_u32_e32 v4, 4, v4
	v_mad_i64_i32 v[12:13], null, 0x6e, v12, s[16:17]
	v_add_co_u32 v14, vcc_lo, v12, v10
	v_add_co_ci_u32_e64 v15, null, 0, v13, vcc_lo
	v_add_co_u32 v16, vcc_lo, v12, v6
	v_add_co_ci_u32_e64 v17, null, 0, v13, vcc_lo
	;; [unrolled: 2-line block ×4, first 2 shown]
	s_clause 0x4
	global_load_dword v18, v[18:19], off offset:74
	global_load_dwordx2 v[14:15], v[14:15], off offset:2
	global_load_ubyte v16, v[16:17], off offset:66
	global_load_ubyte v20, v[20:21], off offset:106
	global_load_ushort v21, v[12:13], off
	s_waitcnt vmcnt(4)
	v_and_b32_e32 v23, 0xff, v18
	s_waitcnt vmcnt(3)
	v_and_b32_e32 v13, 0xff, v14
	s_waitcnt vmcnt(2)
	v_lshlrev_b32_e32 v17, 8, v16
	v_bfe_u32 v19, v14, 8, 8
	v_lshlrev_b32_e32 v22, 7, v16
	v_lshlrev_b32_e32 v24, 21, v18
	;; [unrolled: 1-line block ×3, first 2 shown]
	v_bfe_u32 v28, v14, 16, 8
	v_lshrrev_b32_e32 v14, 24, v14
	v_lshlrev_b32_e32 v30, 5, v16
	v_lshrrev_b32_e32 v31, 1, v18
	v_lshrrev_b32_e32 v35, 15, v18
	;; [unrolled: 1-line block ×4, first 2 shown]
	v_and_or_b32 v13, 0x100, v17, v13
	v_and_or_b32 v17, 0x100, v22, v19
	v_lshl_or_b32 v19, v23, 7, v24
	v_lshrrev_b32_e32 v12, 16, v18
	v_lshrrev_b32_e32 v25, 2, v18
	;; [unrolled: 1-line block ×3, first 2 shown]
	v_lshlrev_b32_e32 v29, 6, v16
	v_lshrrev_b32_e32 v32, 11, v18
	v_lshrrev_b32_e32 v33, 10, v18
	;; [unrolled: 1-line block ×12, first 2 shown]
	v_lshl_or_b32 v23, v23, 3, v26
	v_and_or_b32 v14, 0x100, v30, v14
	v_and_b32_e32 v26, 0x180, v31
	v_bfe_i32 v30, v35, 0, 1
	v_bfe_i32 v35, v42, 0, 1
	v_cmp_ne_u16_e32 vcc_lo, 0, v51
	v_and_b32_e32 v42, 0x1800180, v19
	v_bfe_u32 v19, v19, 24, 1
	v_and_b32_e32 v37, 0xff, v15
	v_lshlrev_b32_e32 v38, 4, v16
	v_bfe_u32 v45, v15, 16, 8
	v_lshlrev_b32_e32 v46, 2, v16
	v_bfe_i32 v22, v25, 0, 1
	v_and_or_b32 v25, 0x100, v29, v28
	v_and_b32_e32 v29, 0x180, v34
	v_lshl_or_b32 v34, v12, 21, v41
	v_lshl_or_b32 v12, v12, 17, v43
	v_bfe_i32 v41, v18, 0, 1
	v_cndmask_b32_e64 v18, 0, -1, vcc_lo
	v_and_b32_e32 v43, 0x1800180, v23
	v_bfe_u32 v23, v23, 24, 1
	v_cmp_ne_u16_sdwa s0, v26, v7 src0_sel:BYTE_1 src1_sel:DWORD
	v_cmp_ne_u16_e32 vcc_lo, 0, v19
	v_bfe_u32 v39, v15, 8, 8
	v_lshlrev_b32_e32 v40, 3, v16
	v_lshrrev_b32_e32 v15, 24, v15
	v_lshlrev_b32_e32 v16, 1, v16
	v_bfe_i32 v24, v27, 0, 1
	v_bfe_i32 v27, v32, 0, 1
	;; [unrolled: 1-line block ×3, first 2 shown]
	v_and_or_b32 v32, 0x100, v38, v37
	v_bfe_i32 v36, v44, 0, 1
	v_and_or_b32 v37, 0x100, v46, v45
	v_lshrrev_b16 v44, 7, v26
	v_cndmask_b32_e64 v26, 0, -1, s0
	v_cmp_ne_u16_sdwa s0, v29, v7 src0_sel:BYTE_1 src1_sel:DWORD
	v_and_b32_e32 v46, 0x1800180, v34
	v_bfe_u32 v34, v34, 24, 1
	v_cndmask_b32_e64 v19, 0, -1, vcc_lo
	v_cmp_ne_u16_e32 vcc_lo, 0, v23
	v_and_or_b32 v15, 0x100, v16, v15
	v_lshl_or_b32 v16, v48, 21, v47
	v_lshrrev_b16 v45, 7, v29
	v_cndmask_b32_e64 v29, 0, -1, s0
	v_and_b32_e32 v47, 0x1800180, v12
	v_bfe_u32 v12, v12, 24, 1
	v_cmp_ne_u16_sdwa s0, v42, v7 src0_sel:BYTE_1 src1_sel:DWORD
	v_cndmask_b32_e64 v23, 0, -1, vcc_lo
	v_cmp_ne_u16_e32 vcc_lo, 0, v34
	v_bfe_i32 v28, v33, 0, 1
	v_and_or_b32 v33, 0x100, v40, v39
	v_bfe_i32 v38, v49, 0, 1
	v_lshrrev_b16 v39, 8, v50
	v_and_b32_e32 v48, 0x1800180, v16
	v_bfe_u32 v16, v16, 24, 1
	v_lshlrev_b16 v49, 8, v18
	v_lshrrev_b16 v18, 7, v42
	v_cndmask_b32_e64 v42, 0, -1, s0
	v_cmp_ne_u16_sdwa s0, v43, v7 src0_sel:BYTE_1 src1_sel:DWORD
	v_cndmask_b32_e64 v34, 0, -1, vcc_lo
	v_cmp_ne_u16_e32 vcc_lo, 0, v12
	v_lshrrev_b16 v40, 7, v50
	v_bfe_i32 v39, v39, 0, 1
	v_lshrrev_b16 v50, 7, v43
	v_cndmask_b32_e64 v43, 0, -1, s0
	v_cmp_ne_u16_sdwa s0, v46, v7 src0_sel:BYTE_1 src1_sel:DWORD
	v_cndmask_b32_e64 v12, 0, -1, vcc_lo
	v_cmp_ne_u16_e32 vcc_lo, 0, v16
	v_lshlrev_b16 v27, 8, v27
	v_lshlrev_b16 v30, 8, v30
	v_bfe_i32 v40, v40, 0, 1
	v_bfe_i32 v44, v44, 0, 1
	v_lshlrev_b16 v26, 8, v26
	v_bfe_i32 v45, v45, 0, 1
	v_lshlrev_b16 v29, 8, v29
	v_lshrrev_b16 v53, 7, v46
	v_cndmask_b32_e64 v46, 0, -1, s0
	v_cmp_ne_u16_sdwa s0, v47, v7 src0_sel:BYTE_1 src1_sel:DWORD
	v_cndmask_b32_e64 v16, 0, -1, vcc_lo
	v_lshlrev_b16 v39, 8, v39
	v_bfe_i32 v18, v18, 0, 1
	v_lshlrev_b16 v42, 8, v42
	v_lshlrev_b16 v57, 8, v19
	v_or_b32_sdwa v51, v28, v27 dst_sel:WORD_1 dst_unused:UNUSED_PAD src0_sel:BYTE_0 src1_sel:DWORD
	v_or_b32_sdwa v52, v31, v30 dst_sel:WORD_1 dst_unused:UNUSED_PAD src0_sel:BYTE_0 src1_sel:DWORD
	v_lshrrev_b16 v54, 7, v47
	v_cndmask_b32_e64 v47, 0, -1, s0
	v_cmp_ne_u16_sdwa s0, v48, v7 src0_sel:BYTE_1 src1_sel:DWORD
	v_or_b32_sdwa v56, v41, v49 dst_sel:WORD_1 dst_unused:UNUSED_PAD src0_sel:BYTE_0 src1_sel:DWORD
	v_bfe_i32 v19, v50, 0, 1
	v_lshlrev_b16 v43, 8, v43
	v_lshlrev_b16 v23, 8, v23
	v_or_b32_sdwa v50, v44, v26 dst_sel:DWORD dst_unused:UNUSED_PAD src0_sel:BYTE_0 src1_sel:DWORD
	v_or_b32_sdwa v58, v45, v29 dst_sel:DWORD dst_unused:UNUSED_PAD src0_sel:BYTE_0 src1_sel:DWORD
	v_bfe_i32 v53, v53, 0, 1
	v_lshlrev_b16 v46, 8, v46
	v_lshlrev_b16 v34, 8, v34
	;; [unrolled: 1-line block ×4, first 2 shown]
	v_or_b32_sdwa v12, v40, v39 dst_sel:DWORD dst_unused:UNUSED_PAD src0_sel:BYTE_0 src1_sel:DWORD
	v_or_b32_sdwa v16, v18, v42 dst_sel:DWORD dst_unused:UNUSED_PAD src0_sel:BYTE_0 src1_sel:DWORD
	v_or_b32_sdwa v61, v22, v57 dst_sel:WORD_1 dst_unused:UNUSED_PAD src0_sel:BYTE_0 src1_sel:DWORD
	v_lshrrev_b16 v55, 7, v48
	v_cndmask_b32_e64 v48, 0, -1, s0
	v_bfe_i32 v54, v54, 0, 1
	v_lshlrev_b16 v47, 8, v47
	v_or_b32_sdwa v50, v50, v51 dst_sel:DWORD dst_unused:UNUSED_PAD src0_sel:WORD_0 src1_sel:DWORD
	v_or_b32_sdwa v51, v19, v43 dst_sel:DWORD dst_unused:UNUSED_PAD src0_sel:BYTE_0 src1_sel:DWORD
	v_or_b32_sdwa v52, v58, v52 dst_sel:DWORD dst_unused:UNUSED_PAD src0_sel:WORD_0 src1_sel:DWORD
	v_or_b32_sdwa v58, v24, v23 dst_sel:WORD_1 dst_unused:UNUSED_PAD src0_sel:BYTE_0 src1_sel:DWORD
	v_or_b32_sdwa v56, v12, v56 dst_sel:DWORD dst_unused:UNUSED_PAD src0_sel:WORD_0 src1_sel:DWORD
	v_or_b32_sdwa v12, v53, v46 dst_sel:DWORD dst_unused:UNUSED_PAD src0_sel:BYTE_0 src1_sel:DWORD
	v_or_b32_sdwa v16, v16, v61 dst_sel:DWORD dst_unused:UNUSED_PAD src0_sel:WORD_0 src1_sel:DWORD
	v_or_b32_sdwa v61, v35, v34 dst_sel:WORD_1 dst_unused:UNUSED_PAD src0_sel:BYTE_0 src1_sel:DWORD
	v_bfe_i32 v55, v55, 0, 1
	v_lshlrev_b16 v48, 8, v48
	v_or_b32_sdwa v51, v51, v58 dst_sel:DWORD dst_unused:UNUSED_PAD src0_sel:WORD_0 src1_sel:DWORD
	v_or_b32_sdwa v58, v54, v47 dst_sel:DWORD dst_unused:UNUSED_PAD src0_sel:BYTE_0 src1_sel:DWORD
	v_or_b32_sdwa v61, v12, v61 dst_sel:DWORD dst_unused:UNUSED_PAD src0_sel:WORD_0 src1_sel:DWORD
	v_or_b32_sdwa v12, v36, v59 dst_sel:WORD_1 dst_unused:UNUSED_PAD src0_sel:BYTE_0 src1_sel:DWORD
	v_or_b32_sdwa v62, v38, v60 dst_sel:WORD_1 dst_unused:UNUSED_PAD src0_sel:BYTE_0 src1_sel:DWORD
	v_lshlrev_b32_e32 v14, 2, v14
	v_lshlrev_b32_e32 v15, 2, v15
	v_lshlrev_b16 v18, 8, v18
	v_or_b32_sdwa v58, v58, v12 dst_sel:DWORD dst_unused:UNUSED_PAD src0_sel:WORD_0 src1_sel:DWORD
	v_or_b32_sdwa v12, v55, v48 dst_sel:DWORD dst_unused:UNUSED_PAD src0_sel:BYTE_0 src1_sel:DWORD
	v_lshlrev_b16 v19, 8, v19
	v_lshlrev_b16 v22, 8, v22
	;; [unrolled: 1-line block ×4, first 2 shown]
	v_or_b32_sdwa v62, v12, v62 dst_sel:DWORD dst_unused:UNUSED_PAD src0_sel:WORD_0 src1_sel:DWORD
	v_lshlrev_b32_e32 v12, 2, v13
	v_lshlrev_b32_e32 v13, 2, v17
	;; [unrolled: 1-line block ×6, first 2 shown]
	s_clause 0x7
	global_load_dword v12, v12, s[12:13]
	global_load_dword v13, v13, s[12:13]
	;; [unrolled: 1-line block ×8, first 2 shown]
	v_lshlrev_b16 v31, 8, v31
	v_lshlrev_b16 v35, 8, v35
	;; [unrolled: 1-line block ×5, first 2 shown]
	s_waitcnt vmcnt(9)
	v_lshrrev_b32_e32 v20, v9, v20
	v_cmp_le_u32_e64 s0, s9, v4
	s_or_b32 s1, s0, s1
	s_waitcnt vmcnt(7)
	v_xor_b32_e32 v63, v12, v16
	s_waitcnt vmcnt(6)
	v_xor_b32_e32 v51, v13, v51
	;; [unrolled: 2-line block ×4, first 2 shown]
	v_lshlrev_b16 v16, 8, v40
	v_lshlrev_b16 v17, 8, v44
	;; [unrolled: 1-line block ×6, first 2 shown]
	s_waitcnt vmcnt(2)
	v_xor_b32_e32 v32, v32, v58
	v_and_b32_e32 v54, 0xffffff00, v63
	v_lshlrev_b16 v55, 8, v63
	v_lshlrev_b16 v58, 8, v51
	global_load_dwordx4 v[12:15], v[2:3], off offset:-32
	v_xor_b32_e32 v25, v25, v61
	v_sub_nc_i16 v42, v54, v42 clamp
	v_and_b32_e32 v54, 0xffffff00, v50
	v_sub_nc_i16 v55, v55, v18 clamp
	v_lshlrev_b16 v18, 8, v50
	v_sub_nc_i16 v58, v58, v19 clamp
	v_lshlrev_b16 v19, 8, v52
	s_waitcnt vmcnt(2)
	v_xor_b32_e32 v33, v33, v62
	s_waitcnt vmcnt(1)
	v_xor_b32_e32 v37, v37, v56
	v_sub_nc_i16 v26, v54, v26 clamp
	v_and_b32_e32 v54, 0xffffff00, v25
	v_sub_nc_i16 v61, v18, v17 clamp
	v_lshlrev_b16 v17, 8, v25
	v_and_b32_e32 v18, 0xffffff00, v32
	v_sub_nc_i16 v40, v19, v40 clamp
	v_lshlrev_b16 v19, 8, v32
	v_sub_nc_i16 v46, v54, v46 clamp
	v_and_b32_e32 v54, 0xffffff00, v33
	v_sub_nc_i16 v44, v17, v44 clamp
	v_lshlrev_b16 v17, 8, v33
	v_sub_nc_i16 v47, v18, v47 clamp
	v_and_b32_e32 v18, 0xffffff00, v37
	v_sub_nc_i16 v45, v19, v45 clamp
	v_lshlrev_b16 v19, 8, v37
	v_and_b32_e32 v56, 0xffffff00, v51
	v_sub_nc_i16 v48, v54, v48 clamp
	v_sub_nc_i16 v53, v17, v53 clamp
	;; [unrolled: 1-line block ×4, first 2 shown]
	global_load_dwordx4 v[16:19], v[2:3], off offset:-16
	v_sub_nc_i16 v43, v56, v43 clamp
	v_and_b32_e32 v56, 0xffffff00, v52
	v_perm_b32 v42, v55, v42, 0xc0c0105
	v_lshrrev_b32_e32 v51, 16, v51
	v_lshrrev_b32_e32 v50, 16, v50
	v_perm_b32 v43, v58, v43, 0xc0c0105
	v_sub_nc_i16 v29, v56, v29 clamp
	v_lshrrev_b32_e32 v56, 16, v63
	v_and_b32_e32 v58, 0xffffff00, v51
	v_lshlrev_b16 v51, 8, v51
	v_lshrrev_b32_e32 v52, 16, v52
	v_lshrrev_b32_e32 v25, 16, v25
	v_and_b32_e32 v55, 0xffffff00, v56
	v_lshlrev_b16 v56, 8, v56
	v_sub_nc_i16 v23, v58, v23 clamp
	v_and_b32_e32 v58, 0xffffff00, v50
	v_lshlrev_b16 v50, 8, v50
	v_sub_nc_i16 v55, v55, v57 clamp
	global_load_dword v57, v[2:3], off
	v_sub_nc_i16 v22, v56, v22 clamp
	v_sub_nc_i16 v24, v51, v24 clamp
	v_mov_b32_e32 v56, 0
	v_and_b32_e32 v51, 0xffffff00, v52
	v_lshlrev_b16 v52, 8, v52
	v_perm_b32 v22, v22, v55, 0xc0c0105
	v_sub_nc_i16 v27, v58, v27 clamp
	v_sub_nc_i16 v28, v50, v28 clamp
	v_perm_b32 v23, v24, v23, 0xc0c0105
	v_lshrrev_b32_e32 v32, 16, v32
	v_lshl_or_b32 v22, v22, 16, v42
	v_perm_b32 v26, v61, v26, 0xc0c0105
	v_and_b32_e32 v61, 0xffffff00, v25
	v_lshlrev_b16 v25, 8, v25
	v_sub_nc_i16 v30, v51, v30 clamp
	v_sub_nc_i16 v31, v52, v31 clamp
	v_perm_b32 v27, v28, v27, 0xc0c0105
	v_lshl_or_b32 v23, v23, 16, v43
	v_lshrrev_b32_e32 v33, 16, v33
	v_and_b32_e32 v58, 0xffffff00, v32
	v_lshlrev_b16 v32, 8, v32
	v_perm_b32 v29, v40, v29, 0xc0c0105
	v_sub_nc_i16 v34, v61, v34 clamp
	v_sub_nc_i16 v25, v25, v35 clamp
	v_lshl_or_b32 v26, v27, 16, v26
	v_lshrrev_b32_e32 v37, 16, v37
	v_and_b32_e32 v50, 0xffffff00, v33
	v_lshlrev_b16 v33, 8, v33
	v_perm_b32 v44, v44, v46, 0xc0c0105
	v_perm_b32 v35, v45, v47, 0xc0c0105
	v_sub_nc_i16 v45, v58, v59 clamp
	v_sub_nc_i16 v32, v32, v36 clamp
	v_and_b32_e32 v40, 0xffffff00, v37
	v_lshlrev_b16 v37, 8, v37
	v_perm_b32 v24, v53, v48, 0xc0c0105
	v_add_co_u32 v2, vcc_lo, 0x480, v2
	v_add_co_ci_u32_e64 v3, null, 0, v3, vcc_lo
	s_waitcnt vmcnt(2)
	v_dot4c_i32_i8 v56, v22, v13
	v_perm_b32 v22, v31, v30, 0xc0c0105
	v_sub_nc_i16 v13, v50, v60 clamp
	v_cvt_f32_f16_e32 v12, v12
	v_dot4c_i32_i8 v56, v23, v14
	v_perm_b32 v23, v25, v34, 0xc0c0105
	v_lshl_or_b32 v22, v22, 16, v29
	v_sub_nc_i16 v14, v33, v38 clamp
	v_perm_b32 v25, v32, v45, 0xc0c0105
	v_dot4c_i32_i8 v56, v26, v15
	v_lshl_or_b32 v23, v23, 16, v44
	v_sub_nc_i16 v15, v40, v49 clamp
	v_perm_b32 v13, v14, v13, 0xc0c0105
	v_lshl_or_b32 v14, v25, 16, v35
	v_lshl_or_b32 v13, v13, 16, v24
	s_waitcnt vmcnt(1)
	v_dot4c_i32_i8 v56, v22, v16
	v_sub_nc_i16 v16, v37, v41 clamp
	v_dot4c_i32_i8 v56, v23, v17
	v_perm_b32 v17, v54, v39, 0xc0c0105
	v_perm_b32 v15, v16, v15, 0xc0c0105
	v_dot4c_i32_i8 v56, v14, v18
	v_lshlrev_b32_e32 v14, 1, v20
	v_lshl_or_b32 v15, v15, 16, v17
	v_dot4c_i32_i8 v56, v13, v19
	v_and_or_b32 v13, v14, 30, 1
	v_cvt_f32_f16_e32 v14, v21
	s_waitcnt vmcnt(0)
	v_dot4c_i32_i8 v56, v15, v57
	v_mul_f32_e32 v12, v14, v12
	v_mul_lo_u32 v13, v56, v13
	v_cvt_f32_i32_e32 v13, v13
	v_fmac_f32_e32 v5, v12, v13
	s_andn2_b32 exec_lo, exec_lo, s1
	s_cbranch_execnz .LBB254_9
; %bb.10:
	s_or_b32 exec_lo, exec_lo, s1
.LBB254_11:
	s_or_b32 exec_lo, exec_lo, s7
	s_waitcnt lgkmcnt(0)
	; wave barrier
	buffer_gl0_inv
	s_mov_b32 s0, exec_lo
	v_cmpx_eq_u32_e32 0, v1
	s_cbranch_execz .LBB254_14
; %bb.12:
	v_mbcnt_lo_u32_b32 v1, -1, 0
	v_xor_b32_e32 v2, 16, v1
	v_xor_b32_e32 v3, 8, v1
	;; [unrolled: 1-line block ×3, first 2 shown]
	v_cmp_gt_i32_e32 vcc_lo, 32, v2
	v_cndmask_b32_e32 v2, v1, v2, vcc_lo
	v_cmp_gt_i32_e32 vcc_lo, 32, v3
	v_lshlrev_b32_e32 v2, 2, v2
	v_cndmask_b32_e32 v3, v1, v3, vcc_lo
	v_cmp_gt_i32_e32 vcc_lo, 32, v4
	ds_bpermute_b32 v2, v2, v5
	v_lshlrev_b32_e32 v3, 2, v3
	v_cndmask_b32_e32 v4, v1, v4, vcc_lo
	v_lshlrev_b32_e32 v4, 2, v4
	s_waitcnt lgkmcnt(0)
	v_add_f32_e32 v2, v5, v2
	ds_bpermute_b32 v3, v3, v2
	s_waitcnt lgkmcnt(0)
	v_add_f32_e32 v2, v2, v3
	ds_bpermute_b32 v3, v4, v2
	v_xor_b32_e32 v4, 2, v1
	v_cmp_gt_i32_e32 vcc_lo, 32, v4
	v_cndmask_b32_e32 v4, v1, v4, vcc_lo
	v_lshlrev_b32_e32 v4, 2, v4
	s_waitcnt lgkmcnt(0)
	v_add_f32_e32 v2, v2, v3
	ds_bpermute_b32 v3, v4, v2
	v_xor_b32_e32 v4, 1, v1
	v_cmp_gt_i32_e32 vcc_lo, 32, v4
	v_cndmask_b32_e32 v1, v1, v4, vcc_lo
	v_cmp_eq_u32_e32 vcc_lo, 0, v0
	v_lshlrev_b32_e32 v4, 2, v1
	s_waitcnt lgkmcnt(0)
	v_add_f32_e32 v1, v2, v3
	ds_bpermute_b32 v2, v4, v1
	s_and_b32 exec_lo, exec_lo, vcc_lo
	s_cbranch_execz .LBB254_14
; %bb.13:
	s_load_dwordx2 s[0:1], s[4:5], 0x38
	s_mul_i32 s2, s2, s10
	s_mul_i32 s3, s14, s8
	s_add_i32 s2, s2, s6
	s_waitcnt lgkmcnt(0)
	v_add_f32_e32 v0, v1, v2
	s_add_i32 s2, s2, s3
	s_mov_b32 s3, 0
	v_mov_b32_e32 v1, 0
	s_lshl_b64 s[2:3], s[2:3], 2
	s_add_u32 s0, s0, s2
	s_addc_u32 s1, s1, s3
	global_store_dword v1, v0, s[0:1]
.LBB254_14:
	s_endpgm
	.section	.rodata,"a",@progbits
	.p2align	6, 0x0
	.amdhsa_kernel _ZL13mul_mat_vec_qIL9ggml_type21ELi1ELb0ELb1EEvPKvS2_PKi31ggml_cuda_mm_fusion_args_devicePfj15HIP_vector_typeIjLj3EEjjjS8_jjjS8_jjjj
		.amdhsa_group_segment_fixed_size 0
		.amdhsa_private_segment_fixed_size 0
		.amdhsa_kernarg_size 144
		.amdhsa_user_sgpr_count 6
		.amdhsa_user_sgpr_private_segment_buffer 1
		.amdhsa_user_sgpr_dispatch_ptr 0
		.amdhsa_user_sgpr_queue_ptr 0
		.amdhsa_user_sgpr_kernarg_segment_ptr 1
		.amdhsa_user_sgpr_dispatch_id 0
		.amdhsa_user_sgpr_flat_scratch_init 0
		.amdhsa_user_sgpr_private_segment_size 0
		.amdhsa_wavefront_size32 1
		.amdhsa_uses_dynamic_stack 0
		.amdhsa_system_sgpr_private_segment_wavefront_offset 0
		.amdhsa_system_sgpr_workgroup_id_x 1
		.amdhsa_system_sgpr_workgroup_id_y 1
		.amdhsa_system_sgpr_workgroup_id_z 1
		.amdhsa_system_sgpr_workgroup_info 0
		.amdhsa_system_vgpr_workitem_id 1
		.amdhsa_next_free_vgpr 64
		.amdhsa_next_free_sgpr 22
		.amdhsa_reserve_vcc 1
		.amdhsa_reserve_flat_scratch 0
		.amdhsa_float_round_mode_32 0
		.amdhsa_float_round_mode_16_64 0
		.amdhsa_float_denorm_mode_32 3
		.amdhsa_float_denorm_mode_16_64 3
		.amdhsa_dx10_clamp 1
		.amdhsa_ieee_mode 1
		.amdhsa_fp16_overflow 0
		.amdhsa_workgroup_processor_mode 1
		.amdhsa_memory_ordered 1
		.amdhsa_forward_progress 1
		.amdhsa_shared_vgpr_count 0
		.amdhsa_exception_fp_ieee_invalid_op 0
		.amdhsa_exception_fp_denorm_src 0
		.amdhsa_exception_fp_ieee_div_zero 0
		.amdhsa_exception_fp_ieee_overflow 0
		.amdhsa_exception_fp_ieee_underflow 0
		.amdhsa_exception_fp_ieee_inexact 0
		.amdhsa_exception_int_div_zero 0
	.end_amdhsa_kernel
	.section	.text._ZL13mul_mat_vec_qIL9ggml_type21ELi1ELb0ELb1EEvPKvS2_PKi31ggml_cuda_mm_fusion_args_devicePfj15HIP_vector_typeIjLj3EEjjjS8_jjjS8_jjjj,"axG",@progbits,_ZL13mul_mat_vec_qIL9ggml_type21ELi1ELb0ELb1EEvPKvS2_PKi31ggml_cuda_mm_fusion_args_devicePfj15HIP_vector_typeIjLj3EEjjjS8_jjjS8_jjjj,comdat
.Lfunc_end254:
	.size	_ZL13mul_mat_vec_qIL9ggml_type21ELi1ELb0ELb1EEvPKvS2_PKi31ggml_cuda_mm_fusion_args_devicePfj15HIP_vector_typeIjLj3EEjjjS8_jjjS8_jjjj, .Lfunc_end254-_ZL13mul_mat_vec_qIL9ggml_type21ELi1ELb0ELb1EEvPKvS2_PKi31ggml_cuda_mm_fusion_args_devicePfj15HIP_vector_typeIjLj3EEjjjS8_jjjS8_jjjj
                                        ; -- End function
	.set _ZL13mul_mat_vec_qIL9ggml_type21ELi1ELb0ELb1EEvPKvS2_PKi31ggml_cuda_mm_fusion_args_devicePfj15HIP_vector_typeIjLj3EEjjjS8_jjjS8_jjjj.num_vgpr, 64
	.set _ZL13mul_mat_vec_qIL9ggml_type21ELi1ELb0ELb1EEvPKvS2_PKi31ggml_cuda_mm_fusion_args_devicePfj15HIP_vector_typeIjLj3EEjjjS8_jjjS8_jjjj.num_agpr, 0
	.set _ZL13mul_mat_vec_qIL9ggml_type21ELi1ELb0ELb1EEvPKvS2_PKi31ggml_cuda_mm_fusion_args_devicePfj15HIP_vector_typeIjLj3EEjjjS8_jjjS8_jjjj.numbered_sgpr, 22
	.set _ZL13mul_mat_vec_qIL9ggml_type21ELi1ELb0ELb1EEvPKvS2_PKi31ggml_cuda_mm_fusion_args_devicePfj15HIP_vector_typeIjLj3EEjjjS8_jjjS8_jjjj.num_named_barrier, 0
	.set _ZL13mul_mat_vec_qIL9ggml_type21ELi1ELb0ELb1EEvPKvS2_PKi31ggml_cuda_mm_fusion_args_devicePfj15HIP_vector_typeIjLj3EEjjjS8_jjjS8_jjjj.private_seg_size, 0
	.set _ZL13mul_mat_vec_qIL9ggml_type21ELi1ELb0ELb1EEvPKvS2_PKi31ggml_cuda_mm_fusion_args_devicePfj15HIP_vector_typeIjLj3EEjjjS8_jjjS8_jjjj.uses_vcc, 1
	.set _ZL13mul_mat_vec_qIL9ggml_type21ELi1ELb0ELb1EEvPKvS2_PKi31ggml_cuda_mm_fusion_args_devicePfj15HIP_vector_typeIjLj3EEjjjS8_jjjS8_jjjj.uses_flat_scratch, 0
	.set _ZL13mul_mat_vec_qIL9ggml_type21ELi1ELb0ELb1EEvPKvS2_PKi31ggml_cuda_mm_fusion_args_devicePfj15HIP_vector_typeIjLj3EEjjjS8_jjjS8_jjjj.has_dyn_sized_stack, 0
	.set _ZL13mul_mat_vec_qIL9ggml_type21ELi1ELb0ELb1EEvPKvS2_PKi31ggml_cuda_mm_fusion_args_devicePfj15HIP_vector_typeIjLj3EEjjjS8_jjjS8_jjjj.has_recursion, 0
	.set _ZL13mul_mat_vec_qIL9ggml_type21ELi1ELb0ELb1EEvPKvS2_PKi31ggml_cuda_mm_fusion_args_devicePfj15HIP_vector_typeIjLj3EEjjjS8_jjjS8_jjjj.has_indirect_call, 0
	.section	.AMDGPU.csdata,"",@progbits
; Kernel info:
; codeLenInByte = 3220
; TotalNumSgprs: 24
; NumVgprs: 64
; ScratchSize: 0
; MemoryBound: 0
; FloatMode: 240
; IeeeMode: 1
; LDSByteSize: 0 bytes/workgroup (compile time only)
; SGPRBlocks: 0
; VGPRBlocks: 7
; NumSGPRsForWavesPerEU: 24
; NumVGPRsForWavesPerEU: 64
; Occupancy: 16
; WaveLimiterHint : 0
; COMPUTE_PGM_RSRC2:SCRATCH_EN: 0
; COMPUTE_PGM_RSRC2:USER_SGPR: 6
; COMPUTE_PGM_RSRC2:TRAP_HANDLER: 0
; COMPUTE_PGM_RSRC2:TGID_X_EN: 1
; COMPUTE_PGM_RSRC2:TGID_Y_EN: 1
; COMPUTE_PGM_RSRC2:TGID_Z_EN: 1
; COMPUTE_PGM_RSRC2:TIDIG_COMP_CNT: 1
	.section	.text._ZL13mul_mat_vec_qIL9ggml_type21ELi1ELb1ELb0EEvPKvS2_PKi31ggml_cuda_mm_fusion_args_devicePfj15HIP_vector_typeIjLj3EEjjjS8_jjjS8_jjjj,"axG",@progbits,_ZL13mul_mat_vec_qIL9ggml_type21ELi1ELb1ELb0EEvPKvS2_PKi31ggml_cuda_mm_fusion_args_devicePfj15HIP_vector_typeIjLj3EEjjjS8_jjjS8_jjjj,comdat
	.globl	_ZL13mul_mat_vec_qIL9ggml_type21ELi1ELb1ELb0EEvPKvS2_PKi31ggml_cuda_mm_fusion_args_devicePfj15HIP_vector_typeIjLj3EEjjjS8_jjjS8_jjjj ; -- Begin function _ZL13mul_mat_vec_qIL9ggml_type21ELi1ELb1ELb0EEvPKvS2_PKi31ggml_cuda_mm_fusion_args_devicePfj15HIP_vector_typeIjLj3EEjjjS8_jjjS8_jjjj
	.p2align	8
	.type	_ZL13mul_mat_vec_qIL9ggml_type21ELi1ELb1ELb0EEvPKvS2_PKi31ggml_cuda_mm_fusion_args_devicePfj15HIP_vector_typeIjLj3EEjjjS8_jjjS8_jjjj,@function
_ZL13mul_mat_vec_qIL9ggml_type21ELi1ELb1ELb0EEvPKvS2_PKi31ggml_cuda_mm_fusion_args_devicePfj15HIP_vector_typeIjLj3EEjjjS8_jjjS8_jjjj: ; @_ZL13mul_mat_vec_qIL9ggml_type21ELi1ELb1ELb0EEvPKvS2_PKi31ggml_cuda_mm_fusion_args_devicePfj15HIP_vector_typeIjLj3EEjjjS8_jjjS8_jjjj
; %bb.0:
	s_clause 0x3
	s_load_dwordx8 s[12:19], s[4:5], 0x0
	s_load_dwordx4 s[28:31], s[4:5], 0x20
	s_load_dwordx4 s[36:39], s[4:5], 0x40
	;; [unrolled: 1-line block ×3, first 2 shown]
	s_mov_b32 s10, s7
	s_waitcnt lgkmcnt(0)
	s_cmp_lg_u64 s[16:17], 0
	s_cselect_b32 s0, -1, 0
	s_cmp_eq_u64 s[16:17], 0
	s_cbranch_scc1 .LBB255_5
; %bb.1:
	s_mov_b32 s11, 0
	s_lshl_b64 s[2:3], s[10:11], 2
	s_add_u32 s2, s16, s2
	s_addc_u32 s3, s17, s3
	s_load_dword s33, s[2:3], 0x0
	s_clause 0x1
	s_load_dword s35, s[4:5], 0x50
	s_load_dword s34, s[4:5], 0x78
	s_cbranch_execnz .LBB255_3
.LBB255_2:
	s_load_dwordx2 s[2:3], s[4:5], 0x5c
	s_waitcnt lgkmcnt(0)
	s_mul_hi_u32 s1, s2, s10
	s_add_i32 s1, s10, s1
	s_lshr_b32 s33, s1, s3
.LBB255_3:
	s_andn2_b32 vcc_lo, exec_lo, s0
	s_cbranch_vccnz .LBB255_6
; %bb.4:
	s_mul_hi_u32 s0, s37, s10
	s_waitcnt lgkmcnt(0)
	s_mov_b32 s1, s33
	s_add_i32 s0, s10, s0
	s_lshr_b32 s0, s0, s38
	s_mul_i32 s0, s0, s39
	s_sub_i32 s37, s10, s0
	s_branch .LBB255_7
.LBB255_5:
                                        ; implicit-def: $sgpr33
	s_clause 0x1
	s_load_dword s35, s[4:5], 0x50
	s_load_dword s34, s[4:5], 0x78
	s_branch .LBB255_2
.LBB255_6:
	s_mov_b32 s1, s10
	s_mov_b32 s37, s10
.LBB255_7:
	s_load_dwordx4 s[24:27], s[4:5], 0x80
	v_or_b32_e32 v2, v0, v1
	s_cmp_lg_u64 s[18:19], 0
	v_mov_b32_e32 v16, 0
	v_mov_b32_e32 v17, 0
	s_cselect_b32 s0, -1, 0
	v_cmp_eq_u32_e32 vcc_lo, 0, v2
	s_mov_b32 s17, 0
	s_mul_i32 s2, s1, s22
	s_and_b32 s3, s0, vcc_lo
	s_and_saveexec_b32 s1, s3
	s_cbranch_execz .LBB255_9
; %bb.8:
	s_waitcnt lgkmcnt(0)
	s_mul_i32 s16, s26, s8
	s_mov_b32 s3, s17
	s_lshl_b64 s[38:39], s[16:17], 2
	v_lshlrev_b32_e32 v2, 2, v0
	s_add_u32 s7, s18, s38
	s_addc_u32 s9, s19, s39
	s_lshl_b64 s[16:17], s[2:3], 2
	s_add_u32 s3, s7, s16
	s_addc_u32 s9, s9, s17
	s_ashr_i32 s7, s6, 31
	s_lshl_b64 s[16:17], s[6:7], 2
	s_add_u32 s16, s3, s16
	s_addc_u32 s17, s9, s17
	global_load_dword v17, v2, s[16:17]
.LBB255_9:
	s_or_b32 exec_lo, exec_lo, s1
	s_cmp_lg_u64 s[28:29], 0
	s_cselect_b32 s9, -1, 0
	s_cmp_lg_u64 s[30:31], 0
	s_cselect_b32 s1, -1, 0
	s_and_b32 s3, s1, s9
	s_and_b32 s3, s3, vcc_lo
	s_and_saveexec_b32 s11, s3
	s_cbranch_execz .LBB255_11
; %bb.10:
	s_waitcnt lgkmcnt(0)
	s_mul_i32 s16, s26, s8
	s_mov_b32 s17, 0
	v_lshlrev_b32_e32 v2, 2, v0
	s_lshl_b64 s[18:19], s[16:17], 2
	s_mov_b32 s3, s17
	s_add_u32 s7, s30, s18
	s_addc_u32 s16, s31, s19
	s_lshl_b64 s[2:3], s[2:3], 2
	s_add_u32 s17, s7, s2
	s_addc_u32 s16, s16, s3
	s_ashr_i32 s7, s6, 31
	s_lshl_b64 s[2:3], s[6:7], 2
	s_add_u32 s2, s17, s2
	s_addc_u32 s3, s16, s3
	global_load_dword v16, v2, s[2:3]
.LBB255_11:
	s_or_b32 exec_lo, exec_lo, s11
	v_lshl_or_b32 v2, v1, 5, v0
	v_mov_b32_e32 v21, 0
	v_cndmask_b32_e64 v18, 0, 1, s9
	v_mov_b32_e32 v19, 0
	s_lshr_b32 s7, s36, 8
	v_lshrrev_b32_e32 v20, 3, v2
	s_mov_b32 s11, exec_lo
	v_cmpx_gt_u32_e64 s7, v20
	s_cbranch_execz .LBB255_17
; %bb.12:
	v_lshrrev_b32_e32 v2, 3, v2
	s_mul_i32 s2, s37, s21
	v_and_b32_e32 v22, 7, v0
	s_mul_hi_u32 s3, s2, 36
	s_mul_i32 s2, s2, 36
	v_lshlrev_b32_e32 v4, 1, v0
	v_mad_u64_u32 v[2:3], null, 0x120, v2, s[2:3]
	s_waitcnt lgkmcnt(0)
	s_mul_i32 s3, s25, s8
	s_mul_hi_u32 s2, s23, s8
	v_and_b32_e32 v5, 14, v4
	s_add_i32 s2, s8, s2
	s_mul_i32 s35, s35, s6
	s_lshr_b32 s2, s2, s34
	v_mad_u64_u32 v[2:3], null, s3, 36, v[2:3]
	v_lshlrev_b32_e32 v6, 1, v5
	s_mul_i32 s2, s2, s24
	v_mov_b32_e32 v23, 0
	v_bfe_u32 v24, v4, 2, 2
	v_lshlrev_b32_e32 v25, 1, v5
	v_and_b32_e32 v26, 4, v6
	v_mad_u64_u32 v[2:3], null, v22, 36, v[2:3]
	v_lshlrev_b32_e32 v27, 1, v6
	v_mov_b32_e32 v21, 0
	v_mov_b32_e32 v19, 0
	s_mul_i32 s3, s33, s20
	s_add_i32 s2, s2, s35
	v_add_co_u32 v2, vcc_lo, s14, v2
	v_add_co_ci_u32_e64 v3, null, s15, v3, vcc_lo
	s_add_i32 s15, s3, s2
	v_add_co_u32 v10, vcc_lo, v2, 32
	v_add_co_ci_u32_e64 v11, null, 0, v3, vcc_lo
	s_mov_b32 s14, 0
	s_branch .LBB255_14
.LBB255_13:                             ;   in Loop: Header=BB255_14 Depth=1
	s_waitcnt vmcnt(10)
	v_and_b32_e32 v12, 0xff, v31
	v_lshlrev_b32_e32 v13, 21, v31
	v_lshlrev_b32_e32 v14, 17, v31
	v_lshrrev_b32_e32 v15, 2, v31
	v_add_nc_u32_e32 v20, 4, v20
	v_lshl_or_b32 v13, v12, 7, v13
	v_lshl_or_b32 v12, v12, 3, v14
	v_bfe_i32 v15, v15, 0, 1
	v_lshrrev_b32_e32 v14, 6, v31
	v_and_b32_e32 v40, 0x1800180, v13
	v_bfe_u32 v13, v13, 24, 1
	v_and_b32_e32 v41, 0x1800180, v12
	v_bfe_u32 v12, v12, 24, 1
	v_bfe_i32 v14, v14, 0, 1
	v_cmp_ne_u16_sdwa s2, v40, v23 src0_sel:BYTE_1 src1_sel:DWORD
	v_cmp_ne_u16_e32 vcc_lo, 0, v13
	v_lshrrev_b16 v42, 7, v40
	v_lshrrev_b16 v43, 7, v41
	v_cndmask_b32_e64 v40, 0, -1, s2
	v_cndmask_b32_e64 v13, 0, -1, vcc_lo
	v_bfe_i32 v42, v42, 0, 1
	v_cmp_ne_u16_sdwa s2, v41, v23 src0_sel:BYTE_1 src1_sel:DWORD
	v_cmp_ne_u16_e32 vcc_lo, 0, v12
	v_lshlrev_b16 v40, 8, v40
	v_lshlrev_b16 v13, 8, v13
	v_bfe_i32 v43, v43, 0, 1
	v_cndmask_b32_e64 v41, 0, -1, s2
	v_cndmask_b32_e64 v12, 0, -1, vcc_lo
	v_or_b32_sdwa v44, v42, v40 dst_sel:DWORD dst_unused:UNUSED_PAD src0_sel:BYTE_0 src1_sel:DWORD
	v_or_b32_sdwa v45, v15, v13 dst_sel:WORD_1 dst_unused:UNUSED_PAD src0_sel:BYTE_0 src1_sel:DWORD
	v_lshlrev_b16 v15, 8, v15
	v_lshlrev_b16 v41, 8, v41
	;; [unrolled: 1-line block ×4, first 2 shown]
	v_or_b32_sdwa v44, v44, v45 dst_sel:DWORD dst_unused:UNUSED_PAD src0_sel:WORD_0 src1_sel:DWORD
	v_or_b32_sdwa v46, v43, v41 dst_sel:DWORD dst_unused:UNUSED_PAD src0_sel:BYTE_0 src1_sel:DWORD
	v_or_b32_sdwa v47, v14, v12 dst_sel:WORD_1 dst_unused:UNUSED_PAD src0_sel:BYTE_0 src1_sel:DWORD
	v_lshlrev_b16 v43, 8, v43
	s_waitcnt vmcnt(7)
	v_xor_b32_e32 v39, v39, v44
	v_lshlrev_b16 v14, 8, v14
	v_or_b32_sdwa v45, v46, v47 dst_sel:DWORD dst_unused:UNUSED_PAD src0_sel:WORD_0 src1_sel:DWORD
	v_lshrrev_b32_e32 v44, 16, v39
	s_waitcnt vmcnt(6)
	v_xor_b32_e32 v38, v38, v45
	v_and_b32_e32 v45, 0xffffff00, v39
	v_and_b32_e32 v47, 0xffffff00, v44
	v_lshlrev_b16 v44, 8, v44
	v_lshlrev_b16 v39, 8, v39
	v_lshrrev_b32_e32 v46, 16, v38
	v_sub_nc_i16 v40, v45, v40 clamp
	v_sub_nc_i16 v13, v47, v13 clamp
	;; [unrolled: 1-line block ×4, first 2 shown]
	v_and_b32_e32 v48, 0xffffff00, v38
	v_lshlrev_b16 v38, 8, v38
	v_and_b32_e32 v42, 0xffffff00, v46
	v_perm_b32 v13, v15, v13, 0xc0c0105
	v_lshrrev_b32_e32 v15, 1, v31
	v_lshlrev_b16 v44, 8, v46
	v_perm_b32 v39, v39, v40, 0xc0c0105
	v_sub_nc_i16 v40, v48, v41 clamp
	v_sub_nc_i16 v38, v38, v43 clamp
	v_and_b32_e32 v15, 0x180, v15
	v_sub_nc_i16 v12, v42, v12 clamp
	v_sub_nc_i16 v14, v44, v14 clamp
	v_lshl_or_b32 v13, v13, 16, v39
	v_lshrrev_b32_e32 v39, 11, v31
	v_cmp_ne_u16_sdwa s2, v15, v23 src0_sel:BYTE_1 src1_sel:DWORD
	v_perm_b32 v38, v38, v40, 0xc0c0105
	v_perm_b32 v12, v14, v12, 0xc0c0105
	v_lshrrev_b16 v14, 7, v15
	v_bfe_i32 v39, v39, 0, 1
	v_cndmask_b32_e64 v15, 0, -1, s2
	v_lshrrev_b32_e32 v40, 10, v31
	v_lshrrev_b32_e32 v41, 5, v31
	v_bfe_i32 v14, v14, 0, 1
	v_lshlrev_b16 v39, 8, v39
	v_lshlrev_b16 v15, 8, v15
	v_bfe_i32 v40, v40, 0, 1
	v_and_b32_e32 v41, 0x180, v41
	v_lshrrev_b32_e32 v44, 15, v31
	v_mov_b32_e32 v42, 0
	v_or_b32_sdwa v43, v14, v15 dst_sel:DWORD dst_unused:UNUSED_PAD src0_sel:BYTE_0 src1_sel:DWORD
	v_or_b32_sdwa v45, v40, v39 dst_sel:WORD_1 dst_unused:UNUSED_PAD src0_sel:BYTE_0 src1_sel:DWORD
	v_cmp_ne_u16_sdwa s2, v41, v23 src0_sel:BYTE_1 src1_sel:DWORD
	v_lshrrev_b16 v46, 7, v41
	v_bfe_i32 v44, v44, 0, 1
	v_dot4c_i32_i8 v42, v13, v7
	v_or_b32_sdwa v43, v43, v45 dst_sel:DWORD dst_unused:UNUSED_PAD src0_sel:WORD_0 src1_sel:DWORD
	v_cndmask_b32_e64 v41, 0, -1, s2
	v_lshrrev_b32_e32 v45, 14, v31
	v_bfe_i32 v46, v46, 0, 1
	v_lshlrev_b16 v44, 8, v44
	s_waitcnt vmcnt(5)
	v_xor_b32_e32 v37, v37, v43
	v_lshlrev_b16 v41, 8, v41
	v_bfe_i32 v43, v45, 0, 1
	v_lshl_or_b32 v12, v12, 16, v38
	v_lshlrev_b16 v14, 8, v14
	v_lshrrev_b32_e32 v13, 16, v37
	v_or_b32_sdwa v7, v46, v41 dst_sel:DWORD dst_unused:UNUSED_PAD src0_sel:BYTE_0 src1_sel:DWORD
	v_or_b32_sdwa v38, v43, v44 dst_sel:WORD_1 dst_unused:UNUSED_PAD src0_sel:BYTE_0 src1_sel:DWORD
	v_and_b32_e32 v45, 0xffffff00, v37
	v_lshlrev_b16 v37, 8, v37
	v_and_b32_e32 v47, 0xffffff00, v13
	v_lshlrev_b16 v13, 8, v13
	v_lshlrev_b16 v40, 8, v40
	v_or_b32_sdwa v7, v7, v38 dst_sel:DWORD dst_unused:UNUSED_PAD src0_sel:WORD_0 src1_sel:DWORD
	v_sub_nc_i16 v14, v37, v14 clamp
	v_sub_nc_i16 v37, v47, v39 clamp
	;; [unrolled: 1-line block ×4, first 2 shown]
	v_lshrrev_b32_e32 v38, 16, v31
	s_waitcnt vmcnt(4)
	v_xor_b32_e32 v7, v36, v7
	v_dot4c_i32_i8 v42, v12, v8
	v_perm_b32 v8, v14, v15, 0xc0c0105
	v_perm_b32 v12, v13, v37, 0xc0c0105
	v_lshrrev_b32_e32 v13, 9, v31
	v_and_b32_e32 v15, 0xffffff00, v7
	v_lshrrev_b32_e32 v40, 13, v31
	v_lshrrev_b32_e32 v14, 16, v7
	v_lshl_or_b32 v8, v12, 16, v8
	v_lshl_or_b32 v13, v38, 21, v13
	v_sub_nc_i16 v12, v15, v41 clamp
	v_lshrrev_b32_e32 v41, 18, v31
	v_lshl_or_b32 v38, v38, 17, v40
	v_lshlrev_b16 v7, 8, v7
	v_and_b32_e32 v15, 0x1800180, v13
	v_bfe_u32 v13, v13, 24, 1
	v_lshlrev_b16 v36, 8, v46
	v_and_b32_e32 v37, 0xffffff00, v14
	v_bfe_i32 v40, v41, 0, 1
	v_cmp_ne_u16_sdwa s2, v15, v23 src0_sel:BYTE_1 src1_sel:DWORD
	v_cmp_ne_u16_e32 vcc_lo, 0, v13
	v_lshrrev_b16 v39, 7, v15
	v_and_b32_e32 v41, 0x1800180, v38
	v_bfe_u32 v38, v38, 24, 1
	v_cndmask_b32_e64 v15, 0, -1, s2
	v_cndmask_b32_e64 v13, 0, -1, vcc_lo
	v_sub_nc_i16 v7, v7, v36 clamp
	v_sub_nc_i16 v36, v37, v44 clamp
	v_lshlrev_b16 v14, 8, v14
	v_lshlrev_b16 v37, 8, v43
	v_bfe_i32 v39, v39, 0, 1
	v_lshlrev_b16 v15, 8, v15
	v_lshlrev_b16 v13, 8, v13
	v_cmp_ne_u16_sdwa s2, v41, v23 src0_sel:BYTE_1 src1_sel:DWORD
	v_cmp_ne_u16_e32 vcc_lo, 0, v38
	v_sub_nc_i16 v14, v14, v37 clamp
	v_or_b32_sdwa v37, v39, v15 dst_sel:DWORD dst_unused:UNUSED_PAD src0_sel:BYTE_0 src1_sel:DWORD
	v_or_b32_sdwa v43, v40, v13 dst_sel:WORD_1 dst_unused:UNUSED_PAD src0_sel:BYTE_0 src1_sel:DWORD
	v_lshrrev_b16 v44, 7, v41
	v_cndmask_b32_e64 v41, 0, -1, s2
	v_cndmask_b32_e64 v38, 0, -1, vcc_lo
	v_lshrrev_b32_e32 v45, 22, v31
	v_or_b32_sdwa v37, v37, v43 dst_sel:DWORD dst_unused:UNUSED_PAD src0_sel:WORD_0 src1_sel:DWORD
	v_bfe_i32 v43, v44, 0, 1
	v_lshlrev_b16 v41, 8, v41
	v_lshlrev_b16 v38, 8, v38
	v_bfe_i32 v44, v45, 0, 1
	v_perm_b32 v7, v7, v12, 0xc0c0105
	v_perm_b32 v12, v14, v36, 0xc0c0105
	v_or_b32_sdwa v14, v43, v41 dst_sel:DWORD dst_unused:UNUSED_PAD src0_sel:BYTE_0 src1_sel:DWORD
	s_waitcnt vmcnt(3)
	v_xor_b32_e32 v35, v35, v37
	v_or_b32_sdwa v36, v44, v38 dst_sel:WORD_1 dst_unused:UNUSED_PAD src0_sel:BYTE_0 src1_sel:DWORD
	v_dot4c_i32_i8 v42, v8, v9
	v_lshl_or_b32 v7, v12, 16, v7
	v_lshlrev_b16 v37, 8, v40
	v_lshrrev_b32_e32 v8, 16, v35
	v_or_b32_sdwa v9, v14, v36 dst_sel:DWORD dst_unused:UNUSED_PAD src0_sel:WORD_0 src1_sel:DWORD
	v_and_b32_e32 v12, 0xffffff00, v35
	v_lshlrev_b16 v14, 8, v35
	v_lshlrev_b16 v35, 8, v39
	v_and_b32_e32 v36, 0xffffff00, v8
	v_lshlrev_b16 v8, 8, v8
	s_waitcnt vmcnt(2)
	v_xor_b32_e32 v9, v34, v9
	v_sub_nc_i16 v12, v12, v15 clamp
	v_sub_nc_i16 v14, v14, v35 clamp
	;; [unrolled: 1-line block ×4, first 2 shown]
	v_and_b32_e32 v15, 0xffffff00, v9
	v_lshlrev_b16 v34, 8, v9
	v_lshrrev_b32_e32 v35, 17, v31
	v_lshrrev_b32_e32 v36, 24, v31
	v_lshlrev_b16 v37, 8, v43
	v_perm_b32 v12, v14, v12, 0xc0c0105
	v_perm_b32 v8, v8, v13, 0xc0c0105
	v_sub_nc_i16 v13, v15, v41 clamp
	v_lshl_or_b32 v14, v36, 21, v35
	v_sub_nc_i16 v15, v34, v37 clamp
	v_dot4c_i32_i8 v42, v7, v2
	v_lshl_or_b32 v2, v8, 16, v12
	v_lshrrev_b32_e32 v34, 21, v31
	v_and_b32_e32 v7, 0x1800180, v14
	v_perm_b32 v8, v15, v13, 0xc0c0105
	v_bfe_u32 v13, v14, 24, 1
	v_lshrrev_b32_e32 v15, 26, v31
	v_lshrrev_b32_e32 v39, 31, v31
	v_cmp_ne_u16_sdwa s2, v7, v23 src0_sel:BYTE_1 src1_sel:DWORD
	v_lshrrev_b16 v14, 7, v7
	v_cmp_ne_u16_e32 vcc_lo, 0, v13
	v_bfe_i32 v15, v15, 0, 1
	v_lshrrev_b16 v36, 8, v34
	v_cndmask_b32_e64 v7, 0, -1, s2
	v_bfe_i32 v14, v14, 0, 1
	v_cndmask_b32_e64 v13, 0, -1, vcc_lo
	v_cmp_ne_u16_e32 vcc_lo, 0, v39
	v_lshrrev_b32_e32 v9, 16, v9
	v_lshlrev_b16 v7, 8, v7
	v_lshrrev_b32_e32 v31, 30, v31
	v_lshlrev_b16 v13, 8, v13
	v_bfe_i32 v36, v36, 0, 1
	v_lshrrev_b16 v34, 7, v34
	v_or_b32_sdwa v37, v14, v7 dst_sel:DWORD dst_unused:UNUSED_PAD src0_sel:BYTE_0 src1_sel:DWORD
	v_cndmask_b32_e64 v39, 0, -1, vcc_lo
	v_or_b32_sdwa v40, v15, v13 dst_sel:WORD_1 dst_unused:UNUSED_PAD src0_sel:BYTE_0 src1_sel:DWORD
	v_and_b32_e32 v12, 0xffffff00, v9
	v_lshlrev_b16 v9, 8, v9
	v_lshlrev_b16 v35, 8, v44
	;; [unrolled: 1-line block ×3, first 2 shown]
	v_or_b32_sdwa v37, v37, v40 dst_sel:DWORD dst_unused:UNUSED_PAD src0_sel:WORD_0 src1_sel:DWORD
	v_bfe_i32 v34, v34, 0, 1
	v_bfe_i32 v31, v31, 0, 1
	v_lshlrev_b16 v39, 8, v39
	v_sub_nc_i16 v12, v12, v38 clamp
	s_waitcnt vmcnt(1)
	v_xor_b32_e32 v33, v33, v37
	v_sub_nc_i16 v9, v9, v35 clamp
	v_or_b32_sdwa v35, v34, v36 dst_sel:DWORD dst_unused:UNUSED_PAD src0_sel:BYTE_0 src1_sel:DWORD
	v_or_b32_sdwa v37, v31, v39 dst_sel:WORD_1 dst_unused:UNUSED_PAD src0_sel:BYTE_0 src1_sel:DWORD
	v_lshlrev_b16 v14, 8, v14
	v_and_b32_e32 v38, 0xffffff00, v33
	v_lshlrev_b16 v40, 8, v33
	v_lshrrev_b32_e32 v33, 16, v33
	v_perm_b32 v9, v9, v12, 0xc0c0105
	v_or_b32_sdwa v12, v35, v37 dst_sel:DWORD dst_unused:UNUSED_PAD src0_sel:WORD_0 src1_sel:DWORD
	v_sub_nc_i16 v7, v38, v7 clamp
	v_sub_nc_i16 v14, v40, v14 clamp
	v_and_b32_e32 v35, 0xffffff00, v33
	v_lshl_or_b32 v8, v9, 16, v8
	s_waitcnt vmcnt(0)
	v_xor_b32_e32 v9, v32, v12
	v_dot4c_i32_i8 v42, v2, v3
	v_perm_b32 v2, v14, v7, 0xc0c0105
	v_sub_nc_i16 v3, v35, v13 clamp
	v_lshlrev_b16 v7, 8, v33
	v_lshrrev_b32_e32 v12, 16, v9
	v_lshlrev_b16 v13, 8, v15
	v_and_b32_e32 v14, 0xffffff00, v9
	v_lshlrev_b16 v9, 8, v9
	v_lshlrev_b16 v15, 8, v34
	v_and_b32_e32 v32, 0xffffff00, v12
	v_lshlrev_b16 v12, 8, v12
	v_lshlrev_b16 v31, 8, v31
	v_sub_nc_i16 v7, v7, v13 clamp
	v_sub_nc_i16 v13, v14, v36 clamp
	;; [unrolled: 1-line block ×5, first 2 shown]
	v_perm_b32 v3, v7, v3, 0xc0c0105
	v_dot4c_i32_i8 v42, v8, v4
	v_perm_b32 v4, v9, v13, 0xc0c0105
	v_cmp_le_u32_e32 vcc_lo, s7, v20
	v_perm_b32 v7, v12, v14, 0xc0c0105
	v_lshl_or_b32 v2, v3, 16, v2
	v_lshrrev_b32_sdwa v3, v26, v30 dst_sel:DWORD dst_unused:UNUSED_PAD src0_sel:DWORD src1_sel:BYTE_0
	v_add_co_u32 v10, s2, 0x480, v10
	v_lshl_or_b32 v4, v7, 16, v4
	v_dot4c_i32_i8 v42, v2, v5
	v_lshlrev_b32_e32 v2, 1, v3
	v_cvt_f32_f16_e32 v3, v29
	v_add_co_ci_u32_e64 v11, null, 0, v11, s2
	v_dot4c_i32_i8 v42, v4, v28
	v_and_or_b32 v2, v2, 30, 1
	v_mul_f32_e32 v3, v3, v6
	s_or_b32 s14, vcc_lo, s14
	v_mul_lo_u32 v2, v42, v2
	v_cvt_f32_i32_e32 v2, v2
	v_fmac_f32_e32 v21, v3, v2
	s_andn2_b32 exec_lo, exec_lo, s14
	s_cbranch_execz .LBB255_16
.LBB255_14:                             ; =>This Inner Loop Header: Depth=1
	v_add_nc_u32_e32 v12, s15, v20
	s_getpc_b64 s[2:3]
	s_add_u32 s2, s2, _ZL9iq3s_grid@rel32@lo+4
	s_addc_u32 s3, s3, _ZL9iq3s_grid@rel32@hi+12
	v_mad_i64_i32 v[13:14], null, 0x6e, v12, s[12:13]
	v_add_co_u32 v2, vcc_lo, v13, v27
	v_add_co_ci_u32_e64 v3, null, 0, v14, vcc_lo
	v_add_co_u32 v4, vcc_lo, v13, v22
	v_add_co_ci_u32_e64 v5, null, 0, v14, vcc_lo
	s_clause 0x1
	global_load_dwordx2 v[32:33], v[2:3], off offset:2
	global_load_ubyte v15, v[4:5], off offset:66
	v_add_co_u32 v29, vcc_lo, v13, v25
	v_add_co_ci_u32_e64 v30, null, 0, v14, vcc_lo
	v_add_co_u32 v34, vcc_lo, v13, v24
	v_add_co_ci_u32_e64 v35, null, 0, v14, vcc_lo
	s_clause 0x2
	global_load_dwordx4 v[6:9], v[10:11], off offset:-32
	global_load_dwordx4 v[2:5], v[10:11], off offset:-16
	global_load_dword v28, v[10:11], off
	s_clause 0x2
	global_load_dword v31, v[29:30], off offset:74
	global_load_ubyte v30, v[34:35], off offset:106
	global_load_ushort v29, v[13:14], off
	s_andn2_b32 vcc_lo, exec_lo, s9
	s_waitcnt vmcnt(7)
	v_and_b32_e32 v13, 0xff, v32
	s_waitcnt vmcnt(6)
	v_lshlrev_b32_e32 v14, 8, v15
	v_bfe_u32 v34, v32, 8, 8
	v_lshlrev_b32_e32 v35, 7, v15
	v_bfe_u32 v36, v32, 16, 8
	v_lshlrev_b32_e32 v37, 6, v15
	v_lshrrev_b32_e32 v32, 24, v32
	v_lshlrev_b32_e32 v38, 5, v15
	v_and_b32_e32 v39, 0xff, v33
	v_lshlrev_b32_e32 v40, 4, v15
	v_bfe_u32 v41, v33, 8, 8
	v_lshlrev_b32_e32 v42, 3, v15
	v_bfe_u32 v43, v33, 16, 8
	v_lshlrev_b32_e32 v44, 2, v15
	v_lshrrev_b32_e32 v33, 24, v33
	v_lshlrev_b32_e32 v15, 1, v15
	v_and_or_b32 v13, 0x100, v14, v13
	v_and_or_b32 v14, 0x100, v35, v34
	;; [unrolled: 1-line block ×8, first 2 shown]
	v_lshlrev_b32_e32 v13, 2, v13
	v_lshlrev_b32_e32 v14, 2, v14
	;; [unrolled: 1-line block ×8, first 2 shown]
	s_clause 0x7
	global_load_dword v39, v13, s[2:3]
	global_load_dword v38, v14, s[2:3]
	;; [unrolled: 1-line block ×8, first 2 shown]
	s_waitcnt vmcnt(13)
	v_cvt_f32_f16_e32 v6, v6
	s_cbranch_vccnz .LBB255_13
; %bb.15:                               ;   in Loop: Header=BB255_14 Depth=1
	v_mad_i64_i32 v[12:13], null, 0x6e, v12, s[28:29]
	v_add_co_u32 v14, vcc_lo, v12, v24
	v_add_co_ci_u32_e64 v15, null, 0, v13, vcc_lo
	v_add_co_u32 v40, vcc_lo, v12, v25
	v_add_co_ci_u32_e64 v41, null, 0, v13, vcc_lo
	v_add_co_u32 v42, vcc_lo, v12, v22
	v_add_co_ci_u32_e64 v43, null, 0, v13, vcc_lo
	v_add_co_u32 v44, vcc_lo, v12, v27
	v_add_co_ci_u32_e64 v45, null, 0, v13, vcc_lo
	s_clause 0x4
	global_load_dwordx2 v[44:45], v[44:45], off offset:2
	global_load_ubyte v42, v[42:43], off offset:66
	global_load_dword v41, v[40:41], off offset:74
	global_load_ubyte v14, v[14:15], off offset:106
	global_load_ushort v12, v[12:13], off
	s_waitcnt vmcnt(4)
	v_and_b32_e32 v40, 0xff, v44
	s_waitcnt vmcnt(3)
	v_lshlrev_b32_e32 v46, 8, v42
	v_lshlrev_b32_e32 v47, 7, v42
	s_waitcnt vmcnt(2)
	v_lshlrev_b32_e32 v48, 21, v41
	v_lshrrev_b32_e32 v43, 16, v41
	s_waitcnt vmcnt(1)
	v_lshrrev_b32_e32 v14, v26, v14
	v_and_or_b32 v40, 0x100, v46, v40
	v_bfe_u32 v46, v44, 8, 8
	s_waitcnt vmcnt(0)
	v_cvt_f32_f16_e32 v12, v12
	v_lshlrev_b32_e32 v14, 1, v14
	v_lshlrev_b32_e32 v40, 2, v40
	v_and_or_b32 v46, 0x100, v47, v46
	v_and_b32_e32 v47, 0xff, v41
	v_mul_f32_e32 v12, v6, v12
	v_and_or_b32 v14, v14, 30, 1
	global_load_dword v40, v40, s[2:3]
	v_lshlrev_b32_e32 v46, 2, v46
	v_lshl_or_b32 v48, v47, 7, v48
	global_load_dword v46, v46, s[2:3]
	v_and_b32_e32 v49, 0x1800180, v48
	v_bfe_u32 v48, v48, 24, 1
	v_cmp_ne_u16_sdwa s16, v49, v23 src0_sel:BYTE_1 src1_sel:DWORD
	v_cmp_ne_u16_e32 vcc_lo, 0, v48
	v_lshrrev_b16 v48, 7, v49
	v_lshrrev_b32_e32 v49, 2, v41
	v_cndmask_b32_e64 v50, 0, -1, s16
	v_cndmask_b32_e64 v52, 0, -1, vcc_lo
	v_bfe_i32 v48, v48, 0, 1
	v_bfe_i32 v49, v49, 0, 1
	v_lshlrev_b16 v50, 8, v50
	v_lshlrev_b16 v52, 8, v52
	v_or_b32_sdwa v51, v48, v50 dst_sel:DWORD dst_unused:UNUSED_PAD src0_sel:BYTE_0 src1_sel:DWORD
	v_or_b32_sdwa v53, v49, v52 dst_sel:WORD_1 dst_unused:UNUSED_PAD src0_sel:BYTE_0 src1_sel:DWORD
	v_lshlrev_b16 v48, 8, v48
	v_lshlrev_b16 v49, 8, v49
	v_or_b32_sdwa v51, v51, v53 dst_sel:DWORD dst_unused:UNUSED_PAD src0_sel:WORD_0 src1_sel:DWORD
	v_lshlrev_b32_e32 v53, 17, v41
	v_lshl_or_b32 v47, v47, 3, v53
	v_and_b32_e32 v53, 0x1800180, v47
	v_bfe_u32 v47, v47, 24, 1
	v_cmp_ne_u16_sdwa s16, v53, v23 src0_sel:BYTE_1 src1_sel:DWORD
	v_cmp_ne_u16_e32 vcc_lo, 0, v47
	v_lshrrev_b16 v47, 7, v53
	v_lshrrev_b32_e32 v53, 6, v41
	v_cndmask_b32_e64 v54, 0, -1, s16
	v_cndmask_b32_e64 v56, 0, -1, vcc_lo
	v_bfe_i32 v47, v47, 0, 1
	v_bfe_i32 v53, v53, 0, 1
	v_lshlrev_b16 v54, 8, v54
	v_lshlrev_b16 v56, 8, v56
	v_or_b32_sdwa v55, v47, v54 dst_sel:DWORD dst_unused:UNUSED_PAD src0_sel:BYTE_0 src1_sel:DWORD
	v_or_b32_sdwa v57, v53, v56 dst_sel:WORD_1 dst_unused:UNUSED_PAD src0_sel:BYTE_0 src1_sel:DWORD
	v_lshlrev_b16 v47, 8, v47
	v_or_b32_sdwa v55, v55, v57 dst_sel:DWORD dst_unused:UNUSED_PAD src0_sel:WORD_0 src1_sel:DWORD
	s_waitcnt vmcnt(1)
	v_xor_b32_e32 v40, v40, v51
	v_lshrrev_b32_e32 v51, 16, v40
	v_and_b32_e32 v57, 0xffffff00, v40
	v_lshlrev_b16 v40, 8, v40
	v_sub_nc_i16 v50, v57, v50 clamp
	v_sub_nc_i16 v40, v40, v48 clamp
	v_and_b32_e32 v48, 0xffffff00, v51
	v_perm_b32 v40, v40, v50, 0xc0c0105
	v_lshlrev_b16 v50, 8, v51
	v_sub_nc_i16 v48, v48, v52 clamp
	v_sub_nc_i16 v49, v50, v49 clamp
	v_perm_b32 v48, v49, v48, 0xc0c0105
	v_lshl_or_b32 v48, v48, 16, v40
	s_waitcnt vmcnt(0)
	v_xor_b32_e32 v40, v46, v55
	v_lshrrev_b32_e32 v46, 16, v40
	v_and_b32_e32 v49, 0xffffff00, v40
	v_lshlrev_b16 v40, 8, v40
	v_sub_nc_i16 v49, v49, v54 clamp
	v_sub_nc_i16 v40, v40, v47 clamp
	v_and_b32_e32 v47, 0xffffff00, v46
	v_lshlrev_b16 v46, 8, v46
	v_lshrrev_b32_e32 v54, 14, v41
	v_perm_b32 v40, v40, v49, 0xc0c0105
	v_lshlrev_b16 v49, 8, v53
	v_sub_nc_i16 v47, v47, v56 clamp
	v_lshrrev_b32_e32 v53, 15, v41
	v_bfe_i32 v54, v54, 0, 1
	v_sub_nc_i16 v46, v46, v49 clamp
	v_lshrrev_b32_e32 v49, 10, v41
	v_bfe_i32 v53, v53, 0, 1
	v_perm_b32 v46, v46, v47, 0xc0c0105
	v_lshlrev_b32_e32 v47, 6, v42
	v_bfe_i32 v49, v49, 0, 1
	v_lshlrev_b16 v53, 8, v53
	v_lshl_or_b32 v46, v46, 16, v40
	v_mov_b32_e32 v40, 0
	v_or_b32_sdwa v57, v54, v53 dst_sel:WORD_1 dst_unused:UNUSED_PAD src0_sel:BYTE_0 src1_sel:DWORD
	v_dot4c_i32_i8 v40, v48, v7
	v_lshrrev_b32_e32 v48, 11, v41
	v_dot4c_i32_i8 v40, v46, v8
	v_bfe_u32 v46, v44, 16, 8
	v_lshrrev_b32_e32 v44, 24, v44
	v_bfe_i32 v48, v48, 0, 1
	v_and_or_b32 v46, 0x100, v47, v46
	v_lshlrev_b32_e32 v47, 5, v42
	v_lshlrev_b16 v48, 8, v48
	v_lshlrev_b32_e32 v46, 2, v46
	v_and_or_b32 v44, 0x100, v47, v44
	v_lshrrev_b32_e32 v47, 1, v41
	v_or_b32_sdwa v52, v49, v48 dst_sel:WORD_1 dst_unused:UNUSED_PAD src0_sel:BYTE_0 src1_sel:DWORD
	v_lshlrev_b16 v49, 8, v49
	global_load_dword v46, v46, s[2:3]
	v_lshlrev_b32_e32 v44, 2, v44
	v_and_b32_e32 v47, 0x180, v47
	global_load_dword v44, v44, s[2:3]
	v_cmp_ne_u16_sdwa s16, v47, v23 src0_sel:BYTE_1 src1_sel:DWORD
	v_lshrrev_b16 v47, 7, v47
	v_cndmask_b32_e64 v50, 0, -1, s16
	v_bfe_i32 v47, v47, 0, 1
	v_lshlrev_b16 v50, 8, v50
	v_or_b32_sdwa v51, v47, v50 dst_sel:DWORD dst_unused:UNUSED_PAD src0_sel:BYTE_0 src1_sel:DWORD
	v_lshlrev_b16 v47, 8, v47
	v_or_b32_sdwa v51, v51, v52 dst_sel:DWORD dst_unused:UNUSED_PAD src0_sel:WORD_0 src1_sel:DWORD
	v_lshrrev_b32_e32 v52, 5, v41
	v_and_b32_e32 v52, 0x180, v52
	v_cmp_ne_u16_sdwa s16, v52, v23 src0_sel:BYTE_1 src1_sel:DWORD
	v_lshrrev_b16 v52, 7, v52
	v_cndmask_b32_e64 v55, 0, -1, s16
	v_bfe_i32 v52, v52, 0, 1
	v_lshlrev_b16 v55, 8, v55
	v_or_b32_sdwa v56, v52, v55 dst_sel:DWORD dst_unused:UNUSED_PAD src0_sel:BYTE_0 src1_sel:DWORD
	v_or_b32_sdwa v56, v56, v57 dst_sel:DWORD dst_unused:UNUSED_PAD src0_sel:WORD_0 src1_sel:DWORD
	s_waitcnt vmcnt(1)
	v_xor_b32_e32 v46, v46, v51
	v_lshrrev_b32_e32 v51, 16, v46
	v_and_b32_e32 v57, 0xffffff00, v46
	v_lshlrev_b16 v46, 8, v46
	s_waitcnt vmcnt(0)
	v_xor_b32_e32 v44, v44, v56
	v_sub_nc_i16 v50, v57, v50 clamp
	v_sub_nc_i16 v46, v46, v47 clamp
	v_and_b32_e32 v47, 0xffffff00, v51
	v_perm_b32 v46, v46, v50, 0xc0c0105
	v_sub_nc_i16 v47, v47, v48 clamp
	v_lshlrev_b16 v48, 8, v51
	v_sub_nc_i16 v48, v48, v49 clamp
	v_lshlrev_b16 v49, 8, v52
	v_perm_b32 v47, v48, v47, 0xc0c0105
	v_and_b32_e32 v48, 0xffffff00, v44
	v_lshl_or_b32 v46, v47, 16, v46
	v_lshrrev_b32_e32 v47, 16, v44
	v_lshlrev_b16 v44, 8, v44
	v_sub_nc_i16 v48, v48, v55 clamp
	v_dot4c_i32_i8 v40, v46, v9
	v_lshlrev_b32_e32 v46, 4, v42
	v_sub_nc_i16 v44, v44, v49 clamp
	v_lshlrev_b16 v49, 8, v54
	v_perm_b32 v44, v44, v48, 0xc0c0105
	v_and_b32_e32 v48, 0xffffff00, v47
	v_lshlrev_b16 v47, 8, v47
	v_sub_nc_i16 v48, v48, v53 clamp
	v_sub_nc_i16 v47, v47, v49 clamp
	v_perm_b32 v47, v47, v48, 0xc0c0105
	v_lshl_or_b32 v44, v47, 16, v44
	v_lshlrev_b32_e32 v47, 3, v42
	v_dot4c_i32_i8 v40, v44, v2
	v_and_b32_e32 v44, 0xff, v45
	v_and_or_b32 v44, 0x100, v46, v44
	v_bfe_u32 v46, v45, 8, 8
	v_lshlrev_b32_e32 v44, 2, v44
	v_and_or_b32 v46, 0x100, v47, v46
	v_lshrrev_b32_e32 v47, 9, v41
	global_load_dword v44, v44, s[2:3]
	v_lshlrev_b32_e32 v46, 2, v46
	v_lshl_or_b32 v47, v43, 21, v47
	global_load_dword v46, v46, s[2:3]
	v_and_b32_e32 v48, 0x1800180, v47
	v_bfe_u32 v47, v47, 24, 1
	v_cmp_ne_u16_sdwa s16, v48, v23 src0_sel:BYTE_1 src1_sel:DWORD
	v_cmp_ne_u16_e32 vcc_lo, 0, v47
	v_lshrrev_b16 v47, 7, v48
	v_lshrrev_b32_e32 v48, 18, v41
	v_cndmask_b32_e64 v49, 0, -1, s16
	v_cndmask_b32_e64 v51, 0, -1, vcc_lo
	v_bfe_i32 v47, v47, 0, 1
	v_bfe_i32 v48, v48, 0, 1
	v_lshlrev_b16 v49, 8, v49
	v_lshlrev_b16 v51, 8, v51
	v_or_b32_sdwa v50, v47, v49 dst_sel:DWORD dst_unused:UNUSED_PAD src0_sel:BYTE_0 src1_sel:DWORD
	v_or_b32_sdwa v52, v48, v51 dst_sel:WORD_1 dst_unused:UNUSED_PAD src0_sel:BYTE_0 src1_sel:DWORD
	v_lshlrev_b16 v47, 8, v47
	v_lshlrev_b16 v48, 8, v48
	v_or_b32_sdwa v50, v50, v52 dst_sel:DWORD dst_unused:UNUSED_PAD src0_sel:WORD_0 src1_sel:DWORD
	v_lshrrev_b32_e32 v52, 13, v41
	v_lshl_or_b32 v43, v43, 17, v52
	v_and_b32_e32 v52, 0x1800180, v43
	v_bfe_u32 v43, v43, 24, 1
	v_cmp_ne_u16_sdwa s16, v52, v23 src0_sel:BYTE_1 src1_sel:DWORD
	v_cmp_ne_u16_e32 vcc_lo, 0, v43
	v_lshrrev_b16 v43, 7, v52
	v_lshrrev_b32_e32 v52, 22, v41
	v_cndmask_b32_e64 v53, 0, -1, s16
	v_cndmask_b32_e64 v55, 0, -1, vcc_lo
	v_bfe_i32 v43, v43, 0, 1
	v_bfe_i32 v52, v52, 0, 1
	v_lshlrev_b16 v53, 8, v53
	v_lshlrev_b16 v55, 8, v55
	v_or_b32_sdwa v54, v43, v53 dst_sel:DWORD dst_unused:UNUSED_PAD src0_sel:BYTE_0 src1_sel:DWORD
	v_or_b32_sdwa v56, v52, v55 dst_sel:WORD_1 dst_unused:UNUSED_PAD src0_sel:BYTE_0 src1_sel:DWORD
	v_lshlrev_b16 v43, 8, v43
	v_or_b32_sdwa v54, v54, v56 dst_sel:DWORD dst_unused:UNUSED_PAD src0_sel:WORD_0 src1_sel:DWORD
	s_waitcnt vmcnt(1)
	v_xor_b32_e32 v44, v44, v50
	v_lshrrev_b32_e32 v50, 16, v44
	v_and_b32_e32 v56, 0xffffff00, v44
	v_lshlrev_b16 v44, 8, v44
	s_waitcnt vmcnt(0)
	v_xor_b32_e32 v46, v46, v54
	v_sub_nc_i16 v49, v56, v49 clamp
	v_sub_nc_i16 v44, v44, v47 clamp
	v_and_b32_e32 v47, 0xffffff00, v50
	v_perm_b32 v44, v44, v49, 0xc0c0105
	v_lshlrev_b16 v49, 8, v50
	v_sub_nc_i16 v47, v47, v51 clamp
	v_lshrrev_b32_e32 v51, 31, v41
	v_sub_nc_i16 v48, v49, v48 clamp
	v_perm_b32 v47, v48, v47, 0xc0c0105
	v_and_b32_e32 v48, 0xffffff00, v46
	v_lshl_or_b32 v44, v47, 16, v44
	v_lshrrev_b32_e32 v47, 16, v46
	v_lshlrev_b16 v46, 8, v46
	v_sub_nc_i16 v48, v48, v53 clamp
	v_dot4c_i32_i8 v40, v44, v3
	v_lshlrev_b32_e32 v44, 2, v42
	v_sub_nc_i16 v43, v46, v43 clamp
	v_and_b32_e32 v46, 0xffffff00, v47
	v_lshlrev_b16 v47, 8, v47
	v_lshlrev_b32_e32 v42, 1, v42
	v_perm_b32 v43, v43, v48, 0xc0c0105
	v_lshlrev_b16 v48, 8, v52
	v_sub_nc_i16 v46, v46, v55 clamp
	v_sub_nc_i16 v47, v47, v48 clamp
	v_perm_b32 v46, v47, v46, 0xc0c0105
	v_lshl_or_b32 v43, v46, 16, v43
	v_dot4c_i32_i8 v40, v43, v4
	v_bfe_u32 v43, v45, 16, 8
	v_and_or_b32 v43, 0x100, v44, v43
	v_lshrrev_b32_e32 v44, 24, v45
	v_lshrrev_b32_e32 v45, 24, v41
	v_lshlrev_b32_e32 v43, 2, v43
	v_and_or_b32 v42, 0x100, v42, v44
	v_lshrrev_b32_e32 v44, 17, v41
	global_load_dword v43, v43, s[2:3]
	v_lshlrev_b32_e32 v42, 2, v42
	v_lshl_or_b32 v44, v45, 21, v44
	global_load_dword v42, v42, s[2:3]
	v_and_b32_e32 v45, 0x1800180, v44
	v_bfe_u32 v44, v44, 24, 1
	v_cmp_ne_u16_sdwa s2, v45, v23 src0_sel:BYTE_1 src1_sel:DWORD
	v_cmp_ne_u16_e32 vcc_lo, 0, v44
	v_lshrrev_b16 v44, 7, v45
	v_lshrrev_b32_e32 v45, 26, v41
	v_cndmask_b32_e64 v46, 0, -1, s2
	v_cndmask_b32_e64 v48, 0, -1, vcc_lo
	v_bfe_i32 v44, v44, 0, 1
	v_bfe_i32 v45, v45, 0, 1
	v_cmp_ne_u16_e32 vcc_lo, 0, v51
	v_lshlrev_b16 v46, 8, v46
	v_lshlrev_b16 v48, 8, v48
	v_cndmask_b32_e64 v52, 0, -1, vcc_lo
	v_or_b32_sdwa v47, v44, v46 dst_sel:DWORD dst_unused:UNUSED_PAD src0_sel:BYTE_0 src1_sel:DWORD
	v_or_b32_sdwa v49, v45, v48 dst_sel:WORD_1 dst_unused:UNUSED_PAD src0_sel:BYTE_0 src1_sel:DWORD
	v_lshlrev_b16 v44, 8, v44
	v_lshlrev_b16 v45, 8, v45
	;; [unrolled: 1-line block ×3, first 2 shown]
	v_or_b32_sdwa v47, v47, v49 dst_sel:DWORD dst_unused:UNUSED_PAD src0_sel:WORD_0 src1_sel:DWORD
	v_lshrrev_b32_e32 v49, 21, v41
	v_lshrrev_b32_e32 v41, 30, v41
	v_lshrrev_b16 v50, 8, v49
	v_lshrrev_b16 v49, 7, v49
	v_bfe_i32 v41, v41, 0, 1
	v_bfe_i32 v50, v50, 0, 1
	;; [unrolled: 1-line block ×3, first 2 shown]
	v_or_b32_sdwa v53, v41, v52 dst_sel:WORD_1 dst_unused:UNUSED_PAD src0_sel:BYTE_0 src1_sel:DWORD
	v_lshlrev_b16 v41, 8, v41
	v_lshlrev_b16 v50, 8, v50
	v_or_b32_sdwa v51, v49, v50 dst_sel:DWORD dst_unused:UNUSED_PAD src0_sel:BYTE_0 src1_sel:DWORD
	v_or_b32_sdwa v51, v51, v53 dst_sel:DWORD dst_unused:UNUSED_PAD src0_sel:WORD_0 src1_sel:DWORD
	s_waitcnt vmcnt(1)
	v_xor_b32_e32 v43, v43, v47
	v_lshrrev_b32_e32 v47, 16, v43
	v_and_b32_e32 v53, 0xffffff00, v43
	v_lshlrev_b16 v43, 8, v43
	s_waitcnt vmcnt(0)
	v_xor_b32_e32 v42, v42, v51
	v_sub_nc_i16 v46, v53, v46 clamp
	v_sub_nc_i16 v43, v43, v44 clamp
	v_and_b32_e32 v44, 0xffffff00, v47
	v_perm_b32 v43, v43, v46, 0xc0c0105
	v_lshlrev_b16 v46, 8, v47
	v_sub_nc_i16 v44, v44, v48 clamp
	v_sub_nc_i16 v45, v46, v45 clamp
	v_lshlrev_b16 v46, 8, v49
	v_perm_b32 v44, v45, v44, 0xc0c0105
	v_and_b32_e32 v45, 0xffffff00, v42
	v_lshl_or_b32 v43, v44, 16, v43
	v_lshrrev_b32_e32 v44, 16, v42
	v_lshlrev_b16 v42, 8, v42
	v_sub_nc_i16 v45, v45, v50 clamp
	v_dot4c_i32_i8 v40, v43, v5
	v_sub_nc_i16 v42, v42, v46 clamp
	v_perm_b32 v42, v42, v45, 0xc0c0105
	v_and_b32_e32 v45, 0xffffff00, v44
	v_lshlrev_b16 v44, 8, v44
	v_sub_nc_i16 v45, v45, v52 clamp
	v_sub_nc_i16 v41, v44, v41 clamp
	v_perm_b32 v41, v41, v45, 0xc0c0105
	v_lshl_or_b32 v41, v41, 16, v42
	v_dot4c_i32_i8 v40, v41, v28
	v_mul_lo_u32 v14, v40, v14
	v_cvt_f32_i32_e32 v13, v14
	v_fmac_f32_e32 v19, v12, v13
	s_branch .LBB255_13
.LBB255_16:
	s_or_b32 exec_lo, exec_lo, s14
.LBB255_17:
	s_or_b32 exec_lo, exec_lo, s11
	s_load_dword s2, s[4:5], 0x30
	s_waitcnt vmcnt(0) lgkmcnt(0)
	; wave barrier
	buffer_gl0_inv
	s_mov_b32 s3, exec_lo
	v_cmpx_eq_u32_e32 0, v1
	s_cbranch_execz .LBB255_44
; %bb.18:
	v_mbcnt_lo_u32_b32 v2, -1, 0
	v_xor_b32_e32 v1, 16, v2
	v_xor_b32_e32 v4, 8, v2
	;; [unrolled: 1-line block ×3, first 2 shown]
	v_cmp_gt_i32_e32 vcc_lo, 32, v1
	v_cndmask_b32_e32 v1, v2, v1, vcc_lo
	v_cmp_gt_i32_e32 vcc_lo, 32, v4
	v_lshlrev_b32_e32 v1, 2, v1
	v_cndmask_b32_e32 v4, v2, v4, vcc_lo
	v_cmp_gt_i32_e32 vcc_lo, 32, v5
	ds_bpermute_b32 v3, v1, v21
	v_lshlrev_b32_e32 v4, 2, v4
	v_cndmask_b32_e32 v5, v2, v5, vcc_lo
	v_lshlrev_b32_e32 v5, 2, v5
	s_waitcnt lgkmcnt(0)
	v_add_f32_e32 v3, v21, v3
	ds_bpermute_b32 v6, v4, v3
	s_waitcnt lgkmcnt(0)
	v_add_f32_e32 v3, v3, v6
	v_xor_b32_e32 v6, 2, v2
	ds_bpermute_b32 v7, v5, v3
	v_cmp_gt_i32_e32 vcc_lo, 32, v6
	v_cndmask_b32_e32 v6, v2, v6, vcc_lo
	v_lshlrev_b32_e32 v6, 2, v6
	s_waitcnt lgkmcnt(0)
	v_add_f32_e32 v3, v3, v7
	v_xor_b32_e32 v7, 1, v2
	ds_bpermute_b32 v8, v6, v3
	v_cmp_gt_i32_e32 vcc_lo, 32, v7
	v_cndmask_b32_e32 v2, v2, v7, vcc_lo
	v_cmp_ne_u32_e32 vcc_lo, 1, v18
	v_lshlrev_b32_e32 v7, 2, v2
	s_waitcnt lgkmcnt(0)
	v_add_f32_e32 v2, v3, v8
	ds_bpermute_b32 v3, v7, v2
	s_cbranch_vccnz .LBB255_20
; %bb.19:
	ds_bpermute_b32 v1, v1, v19
	s_waitcnt lgkmcnt(0)
	v_add_f32_e32 v1, v19, v1
	ds_bpermute_b32 v4, v4, v1
	s_waitcnt lgkmcnt(0)
	v_add_f32_e32 v1, v1, v4
	;; [unrolled: 3-line block ×5, first 2 shown]
.LBB255_20:
	v_cmp_eq_u32_e32 vcc_lo, 0, v0
	s_and_b32 exec_lo, exec_lo, vcc_lo
	s_cbranch_execz .LBB255_44
; %bb.21:
	s_waitcnt lgkmcnt(0)
	v_add_f32_e32 v1, v2, v3
	v_cmp_ne_u32_e32 vcc_lo, 1, v18
	v_add_f32_e32 v2, v17, v1
	v_cndmask_b32_e64 v1, v1, v2, s0
	s_cbranch_vccnz .LBB255_43
; %bb.22:
	v_add_f32_e32 v2, v16, v19
	s_cmp_lt_i32 s2, 2
	s_mov_b32 s0, 0
	v_cndmask_b32_e64 v2, v19, v2, s1
	s_cbranch_scc1 .LBB255_26
; %bb.23:
	s_cmp_gt_i32 s2, 2
	s_cbranch_scc0 .LBB255_27
; %bb.24:
	s_cmp_eq_u32 s2, 3
	s_cbranch_scc0 .LBB255_28
; %bb.25:
	v_max_f32_e32 v3, v2, v2
	s_mov_b32 s1, 0
	v_min_f32_e32 v3, 0x40e00000, v3
	v_mul_f32_e32 v4, 0xbfd9db23, v3
	v_mul_f32_e32 v5, 0x3fb8aa3b, v4
	v_cmp_ngt_f32_e32 vcc_lo, 0xc2ce8ed0, v4
	v_fma_f32 v6, 0x3fb8aa3b, v4, -v5
	v_rndne_f32_e32 v7, v5
	v_fmamk_f32 v6, v4, 0x32a5705f, v6
	v_sub_f32_e32 v5, v5, v7
	v_add_f32_e32 v5, v5, v6
	v_cvt_i32_f32_e32 v6, v7
	v_exp_f32_e32 v5, v5
	v_ldexp_f32 v5, v5, v6
	v_cndmask_b32_e32 v5, 0, v5, vcc_lo
	v_cmp_nlt_f32_e32 vcc_lo, 0x42b17218, v4
	v_cndmask_b32_e32 v4, 0x7f800000, v5, vcc_lo
	v_add_f32_e32 v4, 1.0, v4
	v_div_scale_f32 v5, null, v4, v4, v3
	v_div_scale_f32 v8, vcc_lo, v3, v4, v3
	v_rcp_f32_e32 v6, v5
	v_fma_f32 v7, -v5, v6, 1.0
	v_fmac_f32_e32 v6, v7, v6
	v_mul_f32_e32 v7, v8, v6
	v_fma_f32 v9, -v5, v7, v8
	v_fmac_f32_e32 v7, v9, v6
	v_max_f32_e32 v9, v1, v1
	v_fma_f32 v5, -v5, v7, v8
	v_min_f32_e32 v8, 0x40e00000, v9
	v_div_fmas_f32 v5, v5, v6, v7
	v_max_f32_e32 v6, 0xc0e00000, v8
	v_div_fixup_f32 v3, v5, v4, v3
	v_add_f32_e32 v4, 1.0, v6
	v_mul_f32_e32 v3, v4, v3
	s_branch .LBB255_29
.LBB255_26:
	s_mov_b32 s1, 0
                                        ; implicit-def: $vgpr3
	s_cbranch_execnz .LBB255_33
	s_branch .LBB255_34
.LBB255_27:
	s_mov_b32 s3, -1
	s_mov_b32 s1, 0
                                        ; implicit-def: $vgpr3
	s_branch .LBB255_30
.LBB255_28:
	s_mov_b32 s1, -1
                                        ; implicit-def: $vgpr3
.LBB255_29:
	s_mov_b32 s3, 0
.LBB255_30:
	s_and_b32 vcc_lo, exec_lo, s3
	s_cbranch_vccz .LBB255_32
; %bb.31:
	v_mul_f32_e32 v3, 0xbfb8aa3b, v2
	v_cmp_nlt_f32_e32 vcc_lo, 0x42ce8ed0, v2
	v_rndne_f32_e32 v4, v3
	v_fma_f32 v5, 0xbfb8aa3b, v2, -v3
	v_sub_f32_e32 v3, v3, v4
	v_fmamk_f32 v5, v2, 0xb2a5705f, v5
	v_cvt_i32_f32_e32 v4, v4
	v_add_f32_e32 v3, v3, v5
	v_exp_f32_e32 v3, v3
	v_ldexp_f32 v3, v3, v4
	v_cndmask_b32_e32 v3, 0, v3, vcc_lo
	v_cmp_ngt_f32_e32 vcc_lo, 0xc2b17218, v2
	v_cndmask_b32_e32 v3, 0x7f800000, v3, vcc_lo
	v_add_f32_e32 v3, 1.0, v3
	v_div_scale_f32 v4, null, v3, v3, v2
	v_rcp_f32_e32 v5, v4
	v_fma_f32 v6, -v4, v5, 1.0
	v_fmac_f32_e32 v5, v6, v5
	v_div_scale_f32 v6, vcc_lo, v2, v3, v2
	v_mul_f32_e32 v7, v6, v5
	v_fma_f32 v8, -v4, v7, v6
	v_fmac_f32_e32 v7, v8, v5
	v_fma_f32 v4, -v4, v7, v6
	v_div_fmas_f32 v4, v4, v5, v7
	v_div_fixup_f32 v3, v4, v3, v2
	v_mul_f32_e32 v3, v1, v3
.LBB255_32:
	s_branch .LBB255_34
.LBB255_33:
	s_cmp_lg_u32 s2, 1
	s_mov_b32 s0, -1
	s_cselect_b32 s1, -1, 0
.LBB255_34:
	s_andn2_b32 vcc_lo, exec_lo, s1
	s_cbranch_vccz .LBB255_36
; %bb.35:
	s_andn2_b32 vcc_lo, exec_lo, s0
	s_cbranch_vccz .LBB255_37
	s_branch .LBB255_42
.LBB255_36:
	v_mul_f32_e32 v3, v2, v1
	s_cbranch_execnz .LBB255_42
.LBB255_37:
	v_mul_f32_e32 v3, 0x3d372713, v2
	v_mul_f32_e32 v4, 0x3f4c422a, v2
	v_fma_f32 v3, v2, v3, 1.0
	v_mul_f32_e32 v3, v4, v3
                                        ; implicit-def: $vgpr4
	v_cmp_ngt_f32_e64 s0, 0x3f200000, |v3|
	s_and_saveexec_b32 s1, s0
	s_xor_b32 s0, exec_lo, s1
	s_cbranch_execz .LBB255_39
; %bb.38:
	v_add_f32_e64 v4, |v3|, |v3|
	v_mul_f32_e32 v5, 0x3fb8aa3b, v4
	v_cmp_ngt_f32_e32 vcc_lo, 0xc2ce8ed0, v4
	v_rndne_f32_e32 v6, v5
	v_fma_f32 v7, 0x3fb8aa3b, v4, -v5
	v_sub_f32_e32 v5, v5, v6
	v_fmamk_f32 v7, v4, 0x32a5705f, v7
	v_cvt_i32_f32_e32 v6, v6
	v_add_f32_e32 v5, v5, v7
	v_exp_f32_e32 v5, v5
	v_ldexp_f32 v5, v5, v6
	v_cndmask_b32_e32 v5, 0, v5, vcc_lo
	v_cmp_nlt_f32_e32 vcc_lo, 0x42b17218, v4
	v_cndmask_b32_e32 v4, 0x7f800000, v5, vcc_lo
	v_add_f32_e32 v4, 1.0, v4
	v_rcp_f32_e32 v4, v4
	v_fma_f32 v4, v4, -2.0, 1.0
.LBB255_39:
	s_andn2_saveexec_b32 s0, s0
	s_cbranch_execz .LBB255_41
; %bb.40:
	v_mul_f32_e32 v4, v3, v3
	s_mov_b32 s1, 0xbbbac73d
	v_fmaak_f32 v5, s1, v4, 0x3ca908c9
	v_fmaak_f32 v5, v4, v5, 0xbd5c1c4e
	;; [unrolled: 1-line block ×4, first 2 shown]
	v_mul_f32_e64 v5, |v3|, v5
	v_fma_f32 v4, v4, v5, |v3|
.LBB255_41:
	s_or_b32 exec_lo, exec_lo, s0
	v_bfi_b32 v3, 0x7fffffff, v4, v3
	v_mul_f32_e32 v2, 0.5, v2
	v_add_f32_e32 v3, 1.0, v3
	v_mul_f32_e32 v2, v2, v3
	v_mul_f32_e32 v3, v1, v2
.LBB255_42:
	v_mov_b32_e32 v1, v3
.LBB255_43:
	s_load_dwordx2 s[0:1], s[4:5], 0x38
	s_mul_i32 s2, s22, s10
	s_mul_i32 s3, s26, s8
	s_add_i32 s2, s2, s6
	v_lshlrev_b32_e32 v0, 2, v0
	s_add_i32 s2, s2, s3
	s_mov_b32 s3, 0
	s_lshl_b64 s[2:3], s[2:3], 2
	s_waitcnt lgkmcnt(0)
	s_add_u32 s0, s0, s2
	s_addc_u32 s1, s1, s3
	global_store_dword v0, v1, s[0:1]
.LBB255_44:
	s_endpgm
	.section	.rodata,"a",@progbits
	.p2align	6, 0x0
	.amdhsa_kernel _ZL13mul_mat_vec_qIL9ggml_type21ELi1ELb1ELb0EEvPKvS2_PKi31ggml_cuda_mm_fusion_args_devicePfj15HIP_vector_typeIjLj3EEjjjS8_jjjS8_jjjj
		.amdhsa_group_segment_fixed_size 0
		.amdhsa_private_segment_fixed_size 0
		.amdhsa_kernarg_size 144
		.amdhsa_user_sgpr_count 6
		.amdhsa_user_sgpr_private_segment_buffer 1
		.amdhsa_user_sgpr_dispatch_ptr 0
		.amdhsa_user_sgpr_queue_ptr 0
		.amdhsa_user_sgpr_kernarg_segment_ptr 1
		.amdhsa_user_sgpr_dispatch_id 0
		.amdhsa_user_sgpr_flat_scratch_init 0
		.amdhsa_user_sgpr_private_segment_size 0
		.amdhsa_wavefront_size32 1
		.amdhsa_uses_dynamic_stack 0
		.amdhsa_system_sgpr_private_segment_wavefront_offset 0
		.amdhsa_system_sgpr_workgroup_id_x 1
		.amdhsa_system_sgpr_workgroup_id_y 1
		.amdhsa_system_sgpr_workgroup_id_z 1
		.amdhsa_system_sgpr_workgroup_info 0
		.amdhsa_system_vgpr_workitem_id 1
		.amdhsa_next_free_vgpr 58
		.amdhsa_next_free_sgpr 40
		.amdhsa_reserve_vcc 1
		.amdhsa_reserve_flat_scratch 0
		.amdhsa_float_round_mode_32 0
		.amdhsa_float_round_mode_16_64 0
		.amdhsa_float_denorm_mode_32 3
		.amdhsa_float_denorm_mode_16_64 3
		.amdhsa_dx10_clamp 1
		.amdhsa_ieee_mode 1
		.amdhsa_fp16_overflow 0
		.amdhsa_workgroup_processor_mode 1
		.amdhsa_memory_ordered 1
		.amdhsa_forward_progress 1
		.amdhsa_shared_vgpr_count 0
		.amdhsa_exception_fp_ieee_invalid_op 0
		.amdhsa_exception_fp_denorm_src 0
		.amdhsa_exception_fp_ieee_div_zero 0
		.amdhsa_exception_fp_ieee_overflow 0
		.amdhsa_exception_fp_ieee_underflow 0
		.amdhsa_exception_fp_ieee_inexact 0
		.amdhsa_exception_int_div_zero 0
	.end_amdhsa_kernel
	.section	.text._ZL13mul_mat_vec_qIL9ggml_type21ELi1ELb1ELb0EEvPKvS2_PKi31ggml_cuda_mm_fusion_args_devicePfj15HIP_vector_typeIjLj3EEjjjS8_jjjS8_jjjj,"axG",@progbits,_ZL13mul_mat_vec_qIL9ggml_type21ELi1ELb1ELb0EEvPKvS2_PKi31ggml_cuda_mm_fusion_args_devicePfj15HIP_vector_typeIjLj3EEjjjS8_jjjS8_jjjj,comdat
.Lfunc_end255:
	.size	_ZL13mul_mat_vec_qIL9ggml_type21ELi1ELb1ELb0EEvPKvS2_PKi31ggml_cuda_mm_fusion_args_devicePfj15HIP_vector_typeIjLj3EEjjjS8_jjjS8_jjjj, .Lfunc_end255-_ZL13mul_mat_vec_qIL9ggml_type21ELi1ELb1ELb0EEvPKvS2_PKi31ggml_cuda_mm_fusion_args_devicePfj15HIP_vector_typeIjLj3EEjjjS8_jjjS8_jjjj
                                        ; -- End function
	.set _ZL13mul_mat_vec_qIL9ggml_type21ELi1ELb1ELb0EEvPKvS2_PKi31ggml_cuda_mm_fusion_args_devicePfj15HIP_vector_typeIjLj3EEjjjS8_jjjS8_jjjj.num_vgpr, 58
	.set _ZL13mul_mat_vec_qIL9ggml_type21ELi1ELb1ELb0EEvPKvS2_PKi31ggml_cuda_mm_fusion_args_devicePfj15HIP_vector_typeIjLj3EEjjjS8_jjjS8_jjjj.num_agpr, 0
	.set _ZL13mul_mat_vec_qIL9ggml_type21ELi1ELb1ELb0EEvPKvS2_PKi31ggml_cuda_mm_fusion_args_devicePfj15HIP_vector_typeIjLj3EEjjjS8_jjjS8_jjjj.numbered_sgpr, 40
	.set _ZL13mul_mat_vec_qIL9ggml_type21ELi1ELb1ELb0EEvPKvS2_PKi31ggml_cuda_mm_fusion_args_devicePfj15HIP_vector_typeIjLj3EEjjjS8_jjjS8_jjjj.num_named_barrier, 0
	.set _ZL13mul_mat_vec_qIL9ggml_type21ELi1ELb1ELb0EEvPKvS2_PKi31ggml_cuda_mm_fusion_args_devicePfj15HIP_vector_typeIjLj3EEjjjS8_jjjS8_jjjj.private_seg_size, 0
	.set _ZL13mul_mat_vec_qIL9ggml_type21ELi1ELb1ELb0EEvPKvS2_PKi31ggml_cuda_mm_fusion_args_devicePfj15HIP_vector_typeIjLj3EEjjjS8_jjjS8_jjjj.uses_vcc, 1
	.set _ZL13mul_mat_vec_qIL9ggml_type21ELi1ELb1ELb0EEvPKvS2_PKi31ggml_cuda_mm_fusion_args_devicePfj15HIP_vector_typeIjLj3EEjjjS8_jjjS8_jjjj.uses_flat_scratch, 0
	.set _ZL13mul_mat_vec_qIL9ggml_type21ELi1ELb1ELb0EEvPKvS2_PKi31ggml_cuda_mm_fusion_args_devicePfj15HIP_vector_typeIjLj3EEjjjS8_jjjS8_jjjj.has_dyn_sized_stack, 0
	.set _ZL13mul_mat_vec_qIL9ggml_type21ELi1ELb1ELb0EEvPKvS2_PKi31ggml_cuda_mm_fusion_args_devicePfj15HIP_vector_typeIjLj3EEjjjS8_jjjS8_jjjj.has_recursion, 0
	.set _ZL13mul_mat_vec_qIL9ggml_type21ELi1ELb1ELb0EEvPKvS2_PKi31ggml_cuda_mm_fusion_args_devicePfj15HIP_vector_typeIjLj3EEjjjS8_jjjS8_jjjj.has_indirect_call, 0
	.section	.AMDGPU.csdata,"",@progbits
; Kernel info:
; codeLenInByte = 6808
; TotalNumSgprs: 42
; NumVgprs: 58
; ScratchSize: 0
; MemoryBound: 0
; FloatMode: 240
; IeeeMode: 1
; LDSByteSize: 0 bytes/workgroup (compile time only)
; SGPRBlocks: 0
; VGPRBlocks: 7
; NumSGPRsForWavesPerEU: 42
; NumVGPRsForWavesPerEU: 58
; Occupancy: 16
; WaveLimiterHint : 0
; COMPUTE_PGM_RSRC2:SCRATCH_EN: 0
; COMPUTE_PGM_RSRC2:USER_SGPR: 6
; COMPUTE_PGM_RSRC2:TRAP_HANDLER: 0
; COMPUTE_PGM_RSRC2:TGID_X_EN: 1
; COMPUTE_PGM_RSRC2:TGID_Y_EN: 1
; COMPUTE_PGM_RSRC2:TGID_Z_EN: 1
; COMPUTE_PGM_RSRC2:TIDIG_COMP_CNT: 1
	.section	.text._ZL13mul_mat_vec_qIL9ggml_type21ELi1ELb0ELb0EEvPKvS2_PKi31ggml_cuda_mm_fusion_args_devicePfj15HIP_vector_typeIjLj3EEjjjS8_jjjS8_jjjj,"axG",@progbits,_ZL13mul_mat_vec_qIL9ggml_type21ELi1ELb0ELb0EEvPKvS2_PKi31ggml_cuda_mm_fusion_args_devicePfj15HIP_vector_typeIjLj3EEjjjS8_jjjS8_jjjj,comdat
	.globl	_ZL13mul_mat_vec_qIL9ggml_type21ELi1ELb0ELb0EEvPKvS2_PKi31ggml_cuda_mm_fusion_args_devicePfj15HIP_vector_typeIjLj3EEjjjS8_jjjS8_jjjj ; -- Begin function _ZL13mul_mat_vec_qIL9ggml_type21ELi1ELb0ELb0EEvPKvS2_PKi31ggml_cuda_mm_fusion_args_devicePfj15HIP_vector_typeIjLj3EEjjjS8_jjjS8_jjjj
	.p2align	8
	.type	_ZL13mul_mat_vec_qIL9ggml_type21ELi1ELb0ELb0EEvPKvS2_PKi31ggml_cuda_mm_fusion_args_devicePfj15HIP_vector_typeIjLj3EEjjjS8_jjjS8_jjjj,@function
_ZL13mul_mat_vec_qIL9ggml_type21ELi1ELb0ELb0EEvPKvS2_PKi31ggml_cuda_mm_fusion_args_devicePfj15HIP_vector_typeIjLj3EEjjjS8_jjjS8_jjjj: ; @_ZL13mul_mat_vec_qIL9ggml_type21ELi1ELb0ELb0EEvPKvS2_PKi31ggml_cuda_mm_fusion_args_devicePfj15HIP_vector_typeIjLj3EEjjjS8_jjjS8_jjjj
; %bb.0:
	s_clause 0x1
	s_load_dwordx2 s[0:1], s[4:5], 0x10
	s_load_dwordx4 s[16:19], s[4:5], 0x40
	s_mov_b32 s10, s7
	s_waitcnt lgkmcnt(0)
	s_cmp_lg_u64 s[0:1], 0
	s_cselect_b32 s7, -1, 0
	s_cmp_eq_u64 s[0:1], 0
	s_cbranch_scc1 .LBB256_5
; %bb.1:
	s_mov_b32 s11, 0
	s_lshl_b64 s[2:3], s[10:11], 2
	s_add_u32 s0, s0, s2
	s_addc_u32 s1, s1, s3
	s_load_dword s20, s[0:1], 0x0
	s_clause 0x1
	s_load_dwordx4 s[0:3], s[4:5], 0x68
	s_load_dword s21, s[4:5], 0x50
	s_cbranch_execnz .LBB256_3
.LBB256_2:
	s_load_dwordx2 s[12:13], s[4:5], 0x5c
	s_waitcnt lgkmcnt(0)
	s_mul_hi_u32 s9, s12, s10
	s_add_i32 s9, s10, s9
	s_lshr_b32 s20, s9, s13
.LBB256_3:
	s_load_dword s11, s[4:5], 0x78
	s_andn2_b32 vcc_lo, exec_lo, s7
	s_cbranch_vccnz .LBB256_6
; %bb.4:
	s_mul_hi_u32 s7, s17, s10
	s_add_i32 s7, s10, s7
	s_lshr_b32 s7, s7, s18
	s_mul_i32 s7, s7, s19
	s_sub_i32 s17, s10, s7
	s_branch .LBB256_7
.LBB256_5:
                                        ; implicit-def: $sgpr20
	s_clause 0x1
	s_load_dwordx4 s[0:3], s[4:5], 0x68
	s_load_dword s21, s[4:5], 0x50
	s_branch .LBB256_2
.LBB256_6:
	s_mov_b32 s17, s10
.LBB256_7:
	s_load_dwordx4 s[12:15], s[4:5], 0x80
	v_lshl_or_b32 v2, v1, 5, v0
	v_mov_b32_e32 v5, 0
	s_lshr_b32 s9, s16, 8
	s_mov_b32 s7, exec_lo
	v_lshrrev_b32_e32 v4, 3, v2
	v_cmpx_gt_u32_e64 s9, v4
	s_cbranch_execz .LBB256_11
; %bb.8:
	v_lshrrev_b32_e32 v2, 3, v2
	s_waitcnt lgkmcnt(0)
	s_mul_i32 s1, s17, s1
	v_and_b32_e32 v6, 7, v0
	s_mul_hi_u32 s17, s1, 36
	s_mul_i32 s16, s1, 36
	s_mul_i32 s1, s13, s8
	v_mad_u64_u32 v[2:3], null, 0x120, v2, s[16:17]
	s_load_dwordx4 s[16:19], s[4:5], 0x0
	v_lshlrev_b32_e32 v5, 1, v0
	s_mul_i32 s21, s21, s6
	v_mov_b32_e32 v7, 0
	v_and_b32_e32 v11, 14, v5
	v_mad_u64_u32 v[2:3], null, s1, 36, v[2:3]
	s_mul_hi_u32 s1, s3, s8
	s_mul_i32 s3, s20, s0
	s_add_i32 s1, s8, s1
	v_lshlrev_b32_e32 v10, 1, v11
	s_lshr_b32 s0, s1, s11
	v_bfe_u32 v8, v5, 2, 2
	v_mad_u64_u32 v[2:3], null, v6, 36, v[2:3]
	s_mul_i32 s0, s0, s12
	v_and_b32_e32 v9, 4, v10
	v_lshlrev_b32_e32 v10, 1, v10
	v_lshlrev_b32_e32 v11, 1, v11
	v_mov_b32_e32 v5, 0
	s_add_i32 s0, s0, s21
	s_waitcnt lgkmcnt(0)
	v_add_co_u32 v2, vcc_lo, s18, v2
	v_add_co_ci_u32_e64 v3, null, s19, v3, vcc_lo
	s_add_i32 s3, s3, s0
	v_add_co_u32 v2, vcc_lo, v2, 32
	v_add_co_ci_u32_e64 v3, null, 0, v3, vcc_lo
	s_mov_b32 s1, 0
.LBB256_9:                              ; =>This Inner Loop Header: Depth=1
	v_add_nc_u32_e32 v12, s3, v4
	s_getpc_b64 s[12:13]
	s_add_u32 s12, s12, _ZL9iq3s_grid@rel32@lo+4
	s_addc_u32 s13, s13, _ZL9iq3s_grid@rel32@hi+12
	v_add_nc_u32_e32 v4, 4, v4
	v_mad_i64_i32 v[12:13], null, 0x6e, v12, s[16:17]
	v_add_co_u32 v14, vcc_lo, v12, v10
	v_add_co_ci_u32_e64 v15, null, 0, v13, vcc_lo
	v_add_co_u32 v16, vcc_lo, v12, v6
	v_add_co_ci_u32_e64 v17, null, 0, v13, vcc_lo
	;; [unrolled: 2-line block ×4, first 2 shown]
	s_clause 0x4
	global_load_dword v18, v[18:19], off offset:74
	global_load_dwordx2 v[14:15], v[14:15], off offset:2
	global_load_ubyte v16, v[16:17], off offset:66
	global_load_ubyte v20, v[20:21], off offset:106
	global_load_ushort v21, v[12:13], off
	s_waitcnt vmcnt(4)
	v_and_b32_e32 v23, 0xff, v18
	s_waitcnt vmcnt(3)
	v_and_b32_e32 v13, 0xff, v14
	s_waitcnt vmcnt(2)
	v_lshlrev_b32_e32 v17, 8, v16
	v_bfe_u32 v19, v14, 8, 8
	v_lshlrev_b32_e32 v22, 7, v16
	v_lshlrev_b32_e32 v24, 21, v18
	;; [unrolled: 1-line block ×3, first 2 shown]
	v_bfe_u32 v28, v14, 16, 8
	v_lshrrev_b32_e32 v14, 24, v14
	v_lshlrev_b32_e32 v30, 5, v16
	v_lshrrev_b32_e32 v31, 1, v18
	v_lshrrev_b32_e32 v35, 15, v18
	;; [unrolled: 1-line block ×4, first 2 shown]
	v_and_or_b32 v13, 0x100, v17, v13
	v_and_or_b32 v17, 0x100, v22, v19
	v_lshl_or_b32 v19, v23, 7, v24
	v_lshrrev_b32_e32 v12, 16, v18
	v_lshrrev_b32_e32 v25, 2, v18
	;; [unrolled: 1-line block ×3, first 2 shown]
	v_lshlrev_b32_e32 v29, 6, v16
	v_lshrrev_b32_e32 v32, 11, v18
	v_lshrrev_b32_e32 v33, 10, v18
	;; [unrolled: 1-line block ×12, first 2 shown]
	v_lshl_or_b32 v23, v23, 3, v26
	v_and_or_b32 v14, 0x100, v30, v14
	v_and_b32_e32 v26, 0x180, v31
	v_bfe_i32 v30, v35, 0, 1
	v_bfe_i32 v35, v42, 0, 1
	v_cmp_ne_u16_e32 vcc_lo, 0, v51
	v_and_b32_e32 v42, 0x1800180, v19
	v_bfe_u32 v19, v19, 24, 1
	v_and_b32_e32 v37, 0xff, v15
	v_lshlrev_b32_e32 v38, 4, v16
	v_bfe_u32 v45, v15, 16, 8
	v_lshlrev_b32_e32 v46, 2, v16
	v_bfe_i32 v22, v25, 0, 1
	v_and_or_b32 v25, 0x100, v29, v28
	v_and_b32_e32 v29, 0x180, v34
	v_lshl_or_b32 v34, v12, 21, v41
	v_lshl_or_b32 v12, v12, 17, v43
	v_bfe_i32 v41, v18, 0, 1
	v_cndmask_b32_e64 v18, 0, -1, vcc_lo
	v_and_b32_e32 v43, 0x1800180, v23
	v_bfe_u32 v23, v23, 24, 1
	v_cmp_ne_u16_sdwa s0, v26, v7 src0_sel:BYTE_1 src1_sel:DWORD
	v_cmp_ne_u16_e32 vcc_lo, 0, v19
	v_bfe_u32 v39, v15, 8, 8
	v_lshlrev_b32_e32 v40, 3, v16
	v_lshrrev_b32_e32 v15, 24, v15
	v_lshlrev_b32_e32 v16, 1, v16
	v_bfe_i32 v24, v27, 0, 1
	v_bfe_i32 v27, v32, 0, 1
	;; [unrolled: 1-line block ×3, first 2 shown]
	v_and_or_b32 v32, 0x100, v38, v37
	v_bfe_i32 v36, v44, 0, 1
	v_and_or_b32 v37, 0x100, v46, v45
	v_lshrrev_b16 v44, 7, v26
	v_cndmask_b32_e64 v26, 0, -1, s0
	v_cmp_ne_u16_sdwa s0, v29, v7 src0_sel:BYTE_1 src1_sel:DWORD
	v_and_b32_e32 v46, 0x1800180, v34
	v_bfe_u32 v34, v34, 24, 1
	v_cndmask_b32_e64 v19, 0, -1, vcc_lo
	v_cmp_ne_u16_e32 vcc_lo, 0, v23
	v_and_or_b32 v15, 0x100, v16, v15
	v_lshl_or_b32 v16, v48, 21, v47
	v_lshrrev_b16 v45, 7, v29
	v_cndmask_b32_e64 v29, 0, -1, s0
	v_and_b32_e32 v47, 0x1800180, v12
	v_bfe_u32 v12, v12, 24, 1
	v_cmp_ne_u16_sdwa s0, v42, v7 src0_sel:BYTE_1 src1_sel:DWORD
	v_cndmask_b32_e64 v23, 0, -1, vcc_lo
	v_cmp_ne_u16_e32 vcc_lo, 0, v34
	v_bfe_i32 v28, v33, 0, 1
	v_and_or_b32 v33, 0x100, v40, v39
	v_bfe_i32 v38, v49, 0, 1
	v_lshrrev_b16 v39, 8, v50
	v_and_b32_e32 v48, 0x1800180, v16
	v_bfe_u32 v16, v16, 24, 1
	v_lshlrev_b16 v49, 8, v18
	v_lshrrev_b16 v18, 7, v42
	v_cndmask_b32_e64 v42, 0, -1, s0
	v_cmp_ne_u16_sdwa s0, v43, v7 src0_sel:BYTE_1 src1_sel:DWORD
	v_cndmask_b32_e64 v34, 0, -1, vcc_lo
	v_cmp_ne_u16_e32 vcc_lo, 0, v12
	v_lshrrev_b16 v40, 7, v50
	v_bfe_i32 v39, v39, 0, 1
	v_lshrrev_b16 v50, 7, v43
	v_cndmask_b32_e64 v43, 0, -1, s0
	v_cmp_ne_u16_sdwa s0, v46, v7 src0_sel:BYTE_1 src1_sel:DWORD
	v_cndmask_b32_e64 v12, 0, -1, vcc_lo
	v_cmp_ne_u16_e32 vcc_lo, 0, v16
	v_lshlrev_b16 v27, 8, v27
	v_lshlrev_b16 v30, 8, v30
	v_bfe_i32 v40, v40, 0, 1
	v_bfe_i32 v44, v44, 0, 1
	v_lshlrev_b16 v26, 8, v26
	v_bfe_i32 v45, v45, 0, 1
	v_lshlrev_b16 v29, 8, v29
	v_lshrrev_b16 v53, 7, v46
	v_cndmask_b32_e64 v46, 0, -1, s0
	v_cmp_ne_u16_sdwa s0, v47, v7 src0_sel:BYTE_1 src1_sel:DWORD
	v_cndmask_b32_e64 v16, 0, -1, vcc_lo
	v_lshlrev_b16 v39, 8, v39
	v_bfe_i32 v18, v18, 0, 1
	v_lshlrev_b16 v42, 8, v42
	v_lshlrev_b16 v57, 8, v19
	v_or_b32_sdwa v51, v28, v27 dst_sel:WORD_1 dst_unused:UNUSED_PAD src0_sel:BYTE_0 src1_sel:DWORD
	v_or_b32_sdwa v52, v31, v30 dst_sel:WORD_1 dst_unused:UNUSED_PAD src0_sel:BYTE_0 src1_sel:DWORD
	v_lshrrev_b16 v54, 7, v47
	v_cndmask_b32_e64 v47, 0, -1, s0
	v_cmp_ne_u16_sdwa s0, v48, v7 src0_sel:BYTE_1 src1_sel:DWORD
	v_or_b32_sdwa v56, v41, v49 dst_sel:WORD_1 dst_unused:UNUSED_PAD src0_sel:BYTE_0 src1_sel:DWORD
	v_bfe_i32 v19, v50, 0, 1
	v_lshlrev_b16 v43, 8, v43
	v_lshlrev_b16 v23, 8, v23
	v_or_b32_sdwa v50, v44, v26 dst_sel:DWORD dst_unused:UNUSED_PAD src0_sel:BYTE_0 src1_sel:DWORD
	v_or_b32_sdwa v58, v45, v29 dst_sel:DWORD dst_unused:UNUSED_PAD src0_sel:BYTE_0 src1_sel:DWORD
	v_bfe_i32 v53, v53, 0, 1
	v_lshlrev_b16 v46, 8, v46
	v_lshlrev_b16 v34, 8, v34
	;; [unrolled: 1-line block ×4, first 2 shown]
	v_or_b32_sdwa v12, v40, v39 dst_sel:DWORD dst_unused:UNUSED_PAD src0_sel:BYTE_0 src1_sel:DWORD
	v_or_b32_sdwa v16, v18, v42 dst_sel:DWORD dst_unused:UNUSED_PAD src0_sel:BYTE_0 src1_sel:DWORD
	v_or_b32_sdwa v61, v22, v57 dst_sel:WORD_1 dst_unused:UNUSED_PAD src0_sel:BYTE_0 src1_sel:DWORD
	v_lshrrev_b16 v55, 7, v48
	v_cndmask_b32_e64 v48, 0, -1, s0
	v_bfe_i32 v54, v54, 0, 1
	v_lshlrev_b16 v47, 8, v47
	v_or_b32_sdwa v50, v50, v51 dst_sel:DWORD dst_unused:UNUSED_PAD src0_sel:WORD_0 src1_sel:DWORD
	v_or_b32_sdwa v51, v19, v43 dst_sel:DWORD dst_unused:UNUSED_PAD src0_sel:BYTE_0 src1_sel:DWORD
	v_or_b32_sdwa v52, v58, v52 dst_sel:DWORD dst_unused:UNUSED_PAD src0_sel:WORD_0 src1_sel:DWORD
	v_or_b32_sdwa v58, v24, v23 dst_sel:WORD_1 dst_unused:UNUSED_PAD src0_sel:BYTE_0 src1_sel:DWORD
	v_or_b32_sdwa v56, v12, v56 dst_sel:DWORD dst_unused:UNUSED_PAD src0_sel:WORD_0 src1_sel:DWORD
	v_or_b32_sdwa v12, v53, v46 dst_sel:DWORD dst_unused:UNUSED_PAD src0_sel:BYTE_0 src1_sel:DWORD
	v_or_b32_sdwa v16, v16, v61 dst_sel:DWORD dst_unused:UNUSED_PAD src0_sel:WORD_0 src1_sel:DWORD
	v_or_b32_sdwa v61, v35, v34 dst_sel:WORD_1 dst_unused:UNUSED_PAD src0_sel:BYTE_0 src1_sel:DWORD
	v_bfe_i32 v55, v55, 0, 1
	v_lshlrev_b16 v48, 8, v48
	v_or_b32_sdwa v51, v51, v58 dst_sel:DWORD dst_unused:UNUSED_PAD src0_sel:WORD_0 src1_sel:DWORD
	v_or_b32_sdwa v58, v54, v47 dst_sel:DWORD dst_unused:UNUSED_PAD src0_sel:BYTE_0 src1_sel:DWORD
	v_or_b32_sdwa v61, v12, v61 dst_sel:DWORD dst_unused:UNUSED_PAD src0_sel:WORD_0 src1_sel:DWORD
	v_or_b32_sdwa v12, v36, v59 dst_sel:WORD_1 dst_unused:UNUSED_PAD src0_sel:BYTE_0 src1_sel:DWORD
	v_or_b32_sdwa v62, v38, v60 dst_sel:WORD_1 dst_unused:UNUSED_PAD src0_sel:BYTE_0 src1_sel:DWORD
	v_lshlrev_b32_e32 v14, 2, v14
	v_lshlrev_b32_e32 v15, 2, v15
	v_lshlrev_b16 v18, 8, v18
	v_or_b32_sdwa v58, v58, v12 dst_sel:DWORD dst_unused:UNUSED_PAD src0_sel:WORD_0 src1_sel:DWORD
	v_or_b32_sdwa v12, v55, v48 dst_sel:DWORD dst_unused:UNUSED_PAD src0_sel:BYTE_0 src1_sel:DWORD
	v_lshlrev_b16 v19, 8, v19
	v_lshlrev_b16 v22, 8, v22
	;; [unrolled: 1-line block ×4, first 2 shown]
	v_or_b32_sdwa v62, v12, v62 dst_sel:DWORD dst_unused:UNUSED_PAD src0_sel:WORD_0 src1_sel:DWORD
	v_lshlrev_b32_e32 v12, 2, v13
	v_lshlrev_b32_e32 v13, 2, v17
	v_lshlrev_b32_e32 v17, 2, v25
	v_lshlrev_b32_e32 v25, 2, v32
	v_lshlrev_b32_e32 v32, 2, v33
	v_lshlrev_b32_e32 v33, 2, v37
	s_clause 0x7
	global_load_dword v12, v12, s[12:13]
	global_load_dword v13, v13, s[12:13]
	;; [unrolled: 1-line block ×8, first 2 shown]
	v_lshlrev_b16 v31, 8, v31
	v_lshlrev_b16 v35, 8, v35
	;; [unrolled: 1-line block ×5, first 2 shown]
	s_waitcnt vmcnt(9)
	v_lshrrev_b32_e32 v20, v9, v20
	v_cmp_le_u32_e64 s0, s9, v4
	s_or_b32 s1, s0, s1
	s_waitcnt vmcnt(7)
	v_xor_b32_e32 v63, v12, v16
	s_waitcnt vmcnt(6)
	v_xor_b32_e32 v51, v13, v51
	;; [unrolled: 2-line block ×4, first 2 shown]
	v_lshlrev_b16 v16, 8, v40
	v_lshlrev_b16 v17, 8, v44
	;; [unrolled: 1-line block ×6, first 2 shown]
	s_waitcnt vmcnt(2)
	v_xor_b32_e32 v32, v32, v58
	v_and_b32_e32 v54, 0xffffff00, v63
	v_lshlrev_b16 v55, 8, v63
	v_lshlrev_b16 v58, 8, v51
	global_load_dwordx4 v[12:15], v[2:3], off offset:-32
	v_xor_b32_e32 v25, v25, v61
	v_sub_nc_i16 v42, v54, v42 clamp
	v_and_b32_e32 v54, 0xffffff00, v50
	v_sub_nc_i16 v55, v55, v18 clamp
	v_lshlrev_b16 v18, 8, v50
	v_sub_nc_i16 v58, v58, v19 clamp
	v_lshlrev_b16 v19, 8, v52
	s_waitcnt vmcnt(2)
	v_xor_b32_e32 v33, v33, v62
	s_waitcnt vmcnt(1)
	v_xor_b32_e32 v37, v37, v56
	v_sub_nc_i16 v26, v54, v26 clamp
	v_and_b32_e32 v54, 0xffffff00, v25
	v_sub_nc_i16 v61, v18, v17 clamp
	v_lshlrev_b16 v17, 8, v25
	v_and_b32_e32 v18, 0xffffff00, v32
	v_sub_nc_i16 v40, v19, v40 clamp
	v_lshlrev_b16 v19, 8, v32
	v_sub_nc_i16 v46, v54, v46 clamp
	v_and_b32_e32 v54, 0xffffff00, v33
	v_sub_nc_i16 v44, v17, v44 clamp
	v_lshlrev_b16 v17, 8, v33
	v_sub_nc_i16 v47, v18, v47 clamp
	v_and_b32_e32 v18, 0xffffff00, v37
	v_sub_nc_i16 v45, v19, v45 clamp
	v_lshlrev_b16 v19, 8, v37
	v_and_b32_e32 v56, 0xffffff00, v51
	v_sub_nc_i16 v48, v54, v48 clamp
	v_sub_nc_i16 v53, v17, v53 clamp
	;; [unrolled: 1-line block ×4, first 2 shown]
	global_load_dwordx4 v[16:19], v[2:3], off offset:-16
	v_sub_nc_i16 v43, v56, v43 clamp
	v_and_b32_e32 v56, 0xffffff00, v52
	v_perm_b32 v42, v55, v42, 0xc0c0105
	v_lshrrev_b32_e32 v51, 16, v51
	v_lshrrev_b32_e32 v50, 16, v50
	v_perm_b32 v43, v58, v43, 0xc0c0105
	v_sub_nc_i16 v29, v56, v29 clamp
	v_lshrrev_b32_e32 v56, 16, v63
	v_and_b32_e32 v58, 0xffffff00, v51
	v_lshlrev_b16 v51, 8, v51
	v_lshrrev_b32_e32 v52, 16, v52
	v_lshrrev_b32_e32 v25, 16, v25
	v_and_b32_e32 v55, 0xffffff00, v56
	v_lshlrev_b16 v56, 8, v56
	v_sub_nc_i16 v23, v58, v23 clamp
	v_and_b32_e32 v58, 0xffffff00, v50
	v_lshlrev_b16 v50, 8, v50
	v_sub_nc_i16 v55, v55, v57 clamp
	global_load_dword v57, v[2:3], off
	v_sub_nc_i16 v22, v56, v22 clamp
	v_sub_nc_i16 v24, v51, v24 clamp
	v_mov_b32_e32 v56, 0
	v_and_b32_e32 v51, 0xffffff00, v52
	v_lshlrev_b16 v52, 8, v52
	v_perm_b32 v22, v22, v55, 0xc0c0105
	v_sub_nc_i16 v27, v58, v27 clamp
	v_sub_nc_i16 v28, v50, v28 clamp
	v_perm_b32 v23, v24, v23, 0xc0c0105
	v_lshrrev_b32_e32 v32, 16, v32
	v_lshl_or_b32 v22, v22, 16, v42
	v_perm_b32 v26, v61, v26, 0xc0c0105
	v_and_b32_e32 v61, 0xffffff00, v25
	v_lshlrev_b16 v25, 8, v25
	v_sub_nc_i16 v30, v51, v30 clamp
	v_sub_nc_i16 v31, v52, v31 clamp
	v_perm_b32 v27, v28, v27, 0xc0c0105
	v_lshl_or_b32 v23, v23, 16, v43
	v_lshrrev_b32_e32 v33, 16, v33
	v_and_b32_e32 v58, 0xffffff00, v32
	v_lshlrev_b16 v32, 8, v32
	v_perm_b32 v29, v40, v29, 0xc0c0105
	v_sub_nc_i16 v34, v61, v34 clamp
	v_sub_nc_i16 v25, v25, v35 clamp
	v_lshl_or_b32 v26, v27, 16, v26
	v_lshrrev_b32_e32 v37, 16, v37
	v_and_b32_e32 v50, 0xffffff00, v33
	v_lshlrev_b16 v33, 8, v33
	v_perm_b32 v44, v44, v46, 0xc0c0105
	v_perm_b32 v35, v45, v47, 0xc0c0105
	v_sub_nc_i16 v45, v58, v59 clamp
	v_sub_nc_i16 v32, v32, v36 clamp
	v_and_b32_e32 v40, 0xffffff00, v37
	v_lshlrev_b16 v37, 8, v37
	v_perm_b32 v24, v53, v48, 0xc0c0105
	v_add_co_u32 v2, vcc_lo, 0x480, v2
	v_add_co_ci_u32_e64 v3, null, 0, v3, vcc_lo
	s_waitcnt vmcnt(2)
	v_dot4c_i32_i8 v56, v22, v13
	v_perm_b32 v22, v31, v30, 0xc0c0105
	v_sub_nc_i16 v13, v50, v60 clamp
	v_cvt_f32_f16_e32 v12, v12
	v_dot4c_i32_i8 v56, v23, v14
	v_perm_b32 v23, v25, v34, 0xc0c0105
	v_lshl_or_b32 v22, v22, 16, v29
	v_sub_nc_i16 v14, v33, v38 clamp
	v_perm_b32 v25, v32, v45, 0xc0c0105
	v_dot4c_i32_i8 v56, v26, v15
	v_lshl_or_b32 v23, v23, 16, v44
	v_sub_nc_i16 v15, v40, v49 clamp
	v_perm_b32 v13, v14, v13, 0xc0c0105
	v_lshl_or_b32 v14, v25, 16, v35
	v_lshl_or_b32 v13, v13, 16, v24
	s_waitcnt vmcnt(1)
	v_dot4c_i32_i8 v56, v22, v16
	v_sub_nc_i16 v16, v37, v41 clamp
	v_dot4c_i32_i8 v56, v23, v17
	v_perm_b32 v17, v54, v39, 0xc0c0105
	v_perm_b32 v15, v16, v15, 0xc0c0105
	v_dot4c_i32_i8 v56, v14, v18
	v_lshlrev_b32_e32 v14, 1, v20
	v_lshl_or_b32 v15, v15, 16, v17
	v_dot4c_i32_i8 v56, v13, v19
	v_and_or_b32 v13, v14, 30, 1
	v_cvt_f32_f16_e32 v14, v21
	s_waitcnt vmcnt(0)
	v_dot4c_i32_i8 v56, v15, v57
	v_mul_f32_e32 v12, v14, v12
	v_mul_lo_u32 v13, v56, v13
	v_cvt_f32_i32_e32 v13, v13
	v_fmac_f32_e32 v5, v12, v13
	s_andn2_b32 exec_lo, exec_lo, s1
	s_cbranch_execnz .LBB256_9
; %bb.10:
	s_or_b32 exec_lo, exec_lo, s1
.LBB256_11:
	s_or_b32 exec_lo, exec_lo, s7
	s_waitcnt lgkmcnt(0)
	; wave barrier
	buffer_gl0_inv
	s_mov_b32 s0, exec_lo
	v_cmpx_eq_u32_e32 0, v1
	s_cbranch_execz .LBB256_14
; %bb.12:
	v_mbcnt_lo_u32_b32 v1, -1, 0
	v_xor_b32_e32 v2, 16, v1
	v_xor_b32_e32 v3, 8, v1
	;; [unrolled: 1-line block ×3, first 2 shown]
	v_cmp_gt_i32_e32 vcc_lo, 32, v2
	v_cndmask_b32_e32 v2, v1, v2, vcc_lo
	v_cmp_gt_i32_e32 vcc_lo, 32, v3
	v_lshlrev_b32_e32 v2, 2, v2
	v_cndmask_b32_e32 v3, v1, v3, vcc_lo
	v_cmp_gt_i32_e32 vcc_lo, 32, v4
	ds_bpermute_b32 v2, v2, v5
	v_lshlrev_b32_e32 v3, 2, v3
	v_cndmask_b32_e32 v4, v1, v4, vcc_lo
	v_lshlrev_b32_e32 v4, 2, v4
	s_waitcnt lgkmcnt(0)
	v_add_f32_e32 v2, v5, v2
	ds_bpermute_b32 v3, v3, v2
	s_waitcnt lgkmcnt(0)
	v_add_f32_e32 v2, v2, v3
	ds_bpermute_b32 v3, v4, v2
	v_xor_b32_e32 v4, 2, v1
	v_cmp_gt_i32_e32 vcc_lo, 32, v4
	v_cndmask_b32_e32 v4, v1, v4, vcc_lo
	v_lshlrev_b32_e32 v4, 2, v4
	s_waitcnt lgkmcnt(0)
	v_add_f32_e32 v2, v2, v3
	ds_bpermute_b32 v3, v4, v2
	v_xor_b32_e32 v4, 1, v1
	v_cmp_gt_i32_e32 vcc_lo, 32, v4
	v_cndmask_b32_e32 v1, v1, v4, vcc_lo
	v_cmp_eq_u32_e32 vcc_lo, 0, v0
	v_lshlrev_b32_e32 v4, 2, v1
	s_waitcnt lgkmcnt(0)
	v_add_f32_e32 v1, v2, v3
	ds_bpermute_b32 v2, v4, v1
	s_and_b32 exec_lo, exec_lo, vcc_lo
	s_cbranch_execz .LBB256_14
; %bb.13:
	s_load_dwordx2 s[0:1], s[4:5], 0x38
	s_mul_i32 s2, s2, s10
	s_mul_i32 s3, s14, s8
	s_add_i32 s2, s2, s6
	s_waitcnt lgkmcnt(0)
	v_add_f32_e32 v0, v1, v2
	s_add_i32 s2, s2, s3
	s_mov_b32 s3, 0
	v_mov_b32_e32 v1, 0
	s_lshl_b64 s[2:3], s[2:3], 2
	s_add_u32 s0, s0, s2
	s_addc_u32 s1, s1, s3
	global_store_dword v1, v0, s[0:1]
.LBB256_14:
	s_endpgm
	.section	.rodata,"a",@progbits
	.p2align	6, 0x0
	.amdhsa_kernel _ZL13mul_mat_vec_qIL9ggml_type21ELi1ELb0ELb0EEvPKvS2_PKi31ggml_cuda_mm_fusion_args_devicePfj15HIP_vector_typeIjLj3EEjjjS8_jjjS8_jjjj
		.amdhsa_group_segment_fixed_size 0
		.amdhsa_private_segment_fixed_size 0
		.amdhsa_kernarg_size 144
		.amdhsa_user_sgpr_count 6
		.amdhsa_user_sgpr_private_segment_buffer 1
		.amdhsa_user_sgpr_dispatch_ptr 0
		.amdhsa_user_sgpr_queue_ptr 0
		.amdhsa_user_sgpr_kernarg_segment_ptr 1
		.amdhsa_user_sgpr_dispatch_id 0
		.amdhsa_user_sgpr_flat_scratch_init 0
		.amdhsa_user_sgpr_private_segment_size 0
		.amdhsa_wavefront_size32 1
		.amdhsa_uses_dynamic_stack 0
		.amdhsa_system_sgpr_private_segment_wavefront_offset 0
		.amdhsa_system_sgpr_workgroup_id_x 1
		.amdhsa_system_sgpr_workgroup_id_y 1
		.amdhsa_system_sgpr_workgroup_id_z 1
		.amdhsa_system_sgpr_workgroup_info 0
		.amdhsa_system_vgpr_workitem_id 1
		.amdhsa_next_free_vgpr 64
		.amdhsa_next_free_sgpr 22
		.amdhsa_reserve_vcc 1
		.amdhsa_reserve_flat_scratch 0
		.amdhsa_float_round_mode_32 0
		.amdhsa_float_round_mode_16_64 0
		.amdhsa_float_denorm_mode_32 3
		.amdhsa_float_denorm_mode_16_64 3
		.amdhsa_dx10_clamp 1
		.amdhsa_ieee_mode 1
		.amdhsa_fp16_overflow 0
		.amdhsa_workgroup_processor_mode 1
		.amdhsa_memory_ordered 1
		.amdhsa_forward_progress 1
		.amdhsa_shared_vgpr_count 0
		.amdhsa_exception_fp_ieee_invalid_op 0
		.amdhsa_exception_fp_denorm_src 0
		.amdhsa_exception_fp_ieee_div_zero 0
		.amdhsa_exception_fp_ieee_overflow 0
		.amdhsa_exception_fp_ieee_underflow 0
		.amdhsa_exception_fp_ieee_inexact 0
		.amdhsa_exception_int_div_zero 0
	.end_amdhsa_kernel
	.section	.text._ZL13mul_mat_vec_qIL9ggml_type21ELi1ELb0ELb0EEvPKvS2_PKi31ggml_cuda_mm_fusion_args_devicePfj15HIP_vector_typeIjLj3EEjjjS8_jjjS8_jjjj,"axG",@progbits,_ZL13mul_mat_vec_qIL9ggml_type21ELi1ELb0ELb0EEvPKvS2_PKi31ggml_cuda_mm_fusion_args_devicePfj15HIP_vector_typeIjLj3EEjjjS8_jjjS8_jjjj,comdat
.Lfunc_end256:
	.size	_ZL13mul_mat_vec_qIL9ggml_type21ELi1ELb0ELb0EEvPKvS2_PKi31ggml_cuda_mm_fusion_args_devicePfj15HIP_vector_typeIjLj3EEjjjS8_jjjS8_jjjj, .Lfunc_end256-_ZL13mul_mat_vec_qIL9ggml_type21ELi1ELb0ELb0EEvPKvS2_PKi31ggml_cuda_mm_fusion_args_devicePfj15HIP_vector_typeIjLj3EEjjjS8_jjjS8_jjjj
                                        ; -- End function
	.set _ZL13mul_mat_vec_qIL9ggml_type21ELi1ELb0ELb0EEvPKvS2_PKi31ggml_cuda_mm_fusion_args_devicePfj15HIP_vector_typeIjLj3EEjjjS8_jjjS8_jjjj.num_vgpr, 64
	.set _ZL13mul_mat_vec_qIL9ggml_type21ELi1ELb0ELb0EEvPKvS2_PKi31ggml_cuda_mm_fusion_args_devicePfj15HIP_vector_typeIjLj3EEjjjS8_jjjS8_jjjj.num_agpr, 0
	.set _ZL13mul_mat_vec_qIL9ggml_type21ELi1ELb0ELb0EEvPKvS2_PKi31ggml_cuda_mm_fusion_args_devicePfj15HIP_vector_typeIjLj3EEjjjS8_jjjS8_jjjj.numbered_sgpr, 22
	.set _ZL13mul_mat_vec_qIL9ggml_type21ELi1ELb0ELb0EEvPKvS2_PKi31ggml_cuda_mm_fusion_args_devicePfj15HIP_vector_typeIjLj3EEjjjS8_jjjS8_jjjj.num_named_barrier, 0
	.set _ZL13mul_mat_vec_qIL9ggml_type21ELi1ELb0ELb0EEvPKvS2_PKi31ggml_cuda_mm_fusion_args_devicePfj15HIP_vector_typeIjLj3EEjjjS8_jjjS8_jjjj.private_seg_size, 0
	.set _ZL13mul_mat_vec_qIL9ggml_type21ELi1ELb0ELb0EEvPKvS2_PKi31ggml_cuda_mm_fusion_args_devicePfj15HIP_vector_typeIjLj3EEjjjS8_jjjS8_jjjj.uses_vcc, 1
	.set _ZL13mul_mat_vec_qIL9ggml_type21ELi1ELb0ELb0EEvPKvS2_PKi31ggml_cuda_mm_fusion_args_devicePfj15HIP_vector_typeIjLj3EEjjjS8_jjjS8_jjjj.uses_flat_scratch, 0
	.set _ZL13mul_mat_vec_qIL9ggml_type21ELi1ELb0ELb0EEvPKvS2_PKi31ggml_cuda_mm_fusion_args_devicePfj15HIP_vector_typeIjLj3EEjjjS8_jjjS8_jjjj.has_dyn_sized_stack, 0
	.set _ZL13mul_mat_vec_qIL9ggml_type21ELi1ELb0ELb0EEvPKvS2_PKi31ggml_cuda_mm_fusion_args_devicePfj15HIP_vector_typeIjLj3EEjjjS8_jjjS8_jjjj.has_recursion, 0
	.set _ZL13mul_mat_vec_qIL9ggml_type21ELi1ELb0ELb0EEvPKvS2_PKi31ggml_cuda_mm_fusion_args_devicePfj15HIP_vector_typeIjLj3EEjjjS8_jjjS8_jjjj.has_indirect_call, 0
	.section	.AMDGPU.csdata,"",@progbits
; Kernel info:
; codeLenInByte = 3220
; TotalNumSgprs: 24
; NumVgprs: 64
; ScratchSize: 0
; MemoryBound: 0
; FloatMode: 240
; IeeeMode: 1
; LDSByteSize: 0 bytes/workgroup (compile time only)
; SGPRBlocks: 0
; VGPRBlocks: 7
; NumSGPRsForWavesPerEU: 24
; NumVGPRsForWavesPerEU: 64
; Occupancy: 16
; WaveLimiterHint : 0
; COMPUTE_PGM_RSRC2:SCRATCH_EN: 0
; COMPUTE_PGM_RSRC2:USER_SGPR: 6
; COMPUTE_PGM_RSRC2:TRAP_HANDLER: 0
; COMPUTE_PGM_RSRC2:TGID_X_EN: 1
; COMPUTE_PGM_RSRC2:TGID_Y_EN: 1
; COMPUTE_PGM_RSRC2:TGID_Z_EN: 1
; COMPUTE_PGM_RSRC2:TIDIG_COMP_CNT: 1
	.section	.text._ZL13mul_mat_vec_qIL9ggml_type21ELi2ELb0ELb0EEvPKvS2_PKi31ggml_cuda_mm_fusion_args_devicePfj15HIP_vector_typeIjLj3EEjjjS8_jjjS8_jjjj,"axG",@progbits,_ZL13mul_mat_vec_qIL9ggml_type21ELi2ELb0ELb0EEvPKvS2_PKi31ggml_cuda_mm_fusion_args_devicePfj15HIP_vector_typeIjLj3EEjjjS8_jjjS8_jjjj,comdat
	.globl	_ZL13mul_mat_vec_qIL9ggml_type21ELi2ELb0ELb0EEvPKvS2_PKi31ggml_cuda_mm_fusion_args_devicePfj15HIP_vector_typeIjLj3EEjjjS8_jjjS8_jjjj ; -- Begin function _ZL13mul_mat_vec_qIL9ggml_type21ELi2ELb0ELb0EEvPKvS2_PKi31ggml_cuda_mm_fusion_args_devicePfj15HIP_vector_typeIjLj3EEjjjS8_jjjS8_jjjj
	.p2align	8
	.type	_ZL13mul_mat_vec_qIL9ggml_type21ELi2ELb0ELb0EEvPKvS2_PKi31ggml_cuda_mm_fusion_args_devicePfj15HIP_vector_typeIjLj3EEjjjS8_jjjS8_jjjj,@function
_ZL13mul_mat_vec_qIL9ggml_type21ELi2ELb0ELb0EEvPKvS2_PKi31ggml_cuda_mm_fusion_args_devicePfj15HIP_vector_typeIjLj3EEjjjS8_jjjS8_jjjj: ; @_ZL13mul_mat_vec_qIL9ggml_type21ELi2ELb0ELb0EEvPKvS2_PKi31ggml_cuda_mm_fusion_args_devicePfj15HIP_vector_typeIjLj3EEjjjS8_jjjS8_jjjj
; %bb.0:
	s_clause 0x5
	s_load_dword s9, s[4:5], 0x40
	s_load_dwordx4 s[0:3], s[4:5], 0x50
	s_load_dword s11, s[4:5], 0x60
	s_load_dwordx4 s[12:15], s[4:5], 0x68
	;; [unrolled: 2-line block ×3, first 2 shown]
	v_lshl_or_b32 v2, v1, 5, v0
	v_mov_b32_e32 v8, 0
	v_mov_b32_e32 v10, 0
	v_lshrrev_b32_e32 v9, 3, v2
	s_waitcnt lgkmcnt(0)
	s_lshr_b32 s10, s9, 8
	s_mov_b32 s9, exec_lo
	v_cmpx_gt_u32_e64 s10, v9
	s_cbranch_execz .LBB257_4
; %bb.1:
	s_mul_i32 s13, s13, s7
	s_load_dwordx4 s[20:23], s[4:5], 0x0
	s_mul_hi_u32 s27, s13, 36
	s_mul_i32 s26, s13, 36
	s_mul_i32 s17, s17, s8
	v_mad_u64_u32 v[2:3], null, 0x120, v9, s[26:27]
	v_and_b32_e32 v11, 7, v0
	v_lshlrev_b32_e32 v6, 1, v0
	s_mul_hi_u32 s3, s3, s7
	s_mul_hi_u32 s15, s15, s8
	s_add_i32 s3, s7, s3
	s_add_i32 s15, s8, s15
	v_mad_u64_u32 v[2:3], null, s17, 36, v[2:3]
	s_mul_i32 s13, s17, 36
	s_lshr_b32 s3, s3, s11
	v_and_b32_e32 v7, 14, v6
	s_mul_hi_u32 s19, s17, 36
	s_lshr_b32 s11, s15, s24
	s_mul_i32 s3, s3, s12
	v_mad_u64_u32 v[4:5], null, v11, 36, v[2:3]
	s_waitcnt lgkmcnt(0)
	s_add_u32 s12, s22, s13
	s_addc_u32 s13, s23, s19
	s_add_u32 s12, s12, s26
	s_addc_u32 s13, s13, s27
	v_lshlrev_b32_e32 v8, 1, v7
	v_mad_u64_u32 v[2:3], null, v11, 36, s[12:13]
	v_add_co_u32 v4, vcc_lo, s22, v4
	v_add_co_ci_u32_e64 v5, null, s23, v5, vcc_lo
	s_mul_i32 s0, s0, s6
	v_add_co_u32 v4, vcc_lo, v4, 32
	v_mov_b32_e32 v12, 0
	v_bfe_u32 v13, v6, 2, 2
	v_and_b32_e32 v14, 4, v8
	v_lshl_add_u32 v15, v9, 3, s1
	v_add_co_ci_u32_e64 v5, null, 0, v5, vcc_lo
	v_lshlrev_b32_e32 v16, 1, v8
	v_lshlrev_b32_e32 v17, 1, v7
	v_mov_b32_e32 v10, 0
	v_mov_b32_e32 v8, 0
	s_mul_i32 s11, s11, s16
	s_add_i32 s3, s3, s0
	s_add_i32 s11, s11, s3
	s_mov_b32 s3, 0
.LBB257_2:                              ; =>This Inner Loop Header: Depth=1
	v_add_nc_u32_e32 v6, s11, v9
	s_getpc_b64 s[0:1]
	s_add_u32 s0, s0, _ZL9iq3s_grid@rel32@lo+4
	s_addc_u32 s1, s1, _ZL9iq3s_grid@rel32@hi+12
	v_add_nc_u32_e32 v9, 4, v9
	v_mad_i64_i32 v[6:7], null, 0x6e, v6, s[20:21]
	v_add_co_u32 v18, vcc_lo, v6, v16
	v_add_co_ci_u32_e64 v19, null, 0, v7, vcc_lo
	global_load_dwordx2 v[23:24], v[18:19], off offset:2
	v_add_co_u32 v18, vcc_lo, v6, v11
	v_add_co_ci_u32_e64 v19, null, 0, v7, vcc_lo
	global_load_ubyte v25, v[18:19], off offset:66
	v_add_co_u32 v18, vcc_lo, v6, v17
	v_add_co_ci_u32_e64 v19, null, 0, v7, vcc_lo
	global_load_dword v26, v[18:19], off offset:74
	s_waitcnt vmcnt(2)
	v_and_b32_e32 v18, 0xff, v23
	s_waitcnt vmcnt(1)
	v_lshlrev_b32_e32 v19, 8, v25
	v_lshlrev_b32_e32 v20, 7, v25
	v_and_or_b32 v18, 0x100, v19, v18
	v_bfe_u32 v19, v23, 8, 8
	s_waitcnt vmcnt(0)
	v_lshlrev_b32_e32 v21, 21, v26
	v_lshrrev_b32_e32 v22, 16, v26
	v_lshlrev_b32_e32 v18, 2, v18
	v_and_or_b32 v19, 0x100, v20, v19
	v_and_b32_e32 v20, 0xff, v26
	global_load_dword v18, v18, s[0:1]
	v_lshlrev_b32_e32 v19, 2, v19
	v_lshl_or_b32 v21, v20, 7, v21
	global_load_dword v19, v19, s[0:1]
	v_and_b32_e32 v27, 0x1800180, v21
	v_bfe_u32 v21, v21, 24, 1
	v_cmp_ne_u16_sdwa s12, v27, v12 src0_sel:BYTE_1 src1_sel:DWORD
	v_cmp_ne_u16_e32 vcc_lo, 0, v21
	v_lshrrev_b16 v21, 7, v27
	v_lshrrev_b32_e32 v27, 2, v26
	v_cndmask_b32_e64 v28, 0, -1, s12
	v_cndmask_b32_e64 v30, 0, -1, vcc_lo
	v_bfe_i32 v21, v21, 0, 1
	v_bfe_i32 v27, v27, 0, 1
	v_lshlrev_b16 v28, 8, v28
	v_lshlrev_b16 v30, 8, v30
	v_or_b32_sdwa v29, v21, v28 dst_sel:DWORD dst_unused:UNUSED_PAD src0_sel:BYTE_0 src1_sel:DWORD
	v_or_b32_sdwa v31, v27, v30 dst_sel:WORD_1 dst_unused:UNUSED_PAD src0_sel:BYTE_0 src1_sel:DWORD
	v_lshlrev_b16 v21, 8, v21
	v_lshlrev_b16 v27, 8, v27
	v_or_b32_sdwa v29, v29, v31 dst_sel:DWORD dst_unused:UNUSED_PAD src0_sel:WORD_0 src1_sel:DWORD
	v_lshlrev_b32_e32 v31, 17, v26
	v_lshl_or_b32 v20, v20, 3, v31
	v_and_b32_e32 v31, 0x1800180, v20
	v_bfe_u32 v20, v20, 24, 1
	v_cmp_ne_u16_sdwa s12, v31, v12 src0_sel:BYTE_1 src1_sel:DWORD
	v_cmp_ne_u16_e32 vcc_lo, 0, v20
	v_lshrrev_b16 v20, 7, v31
	v_lshrrev_b32_e32 v31, 6, v26
	v_cndmask_b32_e64 v32, 0, -1, s12
	v_cndmask_b32_e64 v34, 0, -1, vcc_lo
	v_bfe_i32 v20, v20, 0, 1
	v_bfe_i32 v31, v31, 0, 1
	v_lshlrev_b16 v32, 8, v32
	v_lshlrev_b16 v34, 8, v34
	v_or_b32_sdwa v33, v20, v32 dst_sel:DWORD dst_unused:UNUSED_PAD src0_sel:BYTE_0 src1_sel:DWORD
	v_or_b32_sdwa v35, v31, v34 dst_sel:WORD_1 dst_unused:UNUSED_PAD src0_sel:BYTE_0 src1_sel:DWORD
	v_lshlrev_b16 v20, 8, v20
	v_or_b32_sdwa v33, v33, v35 dst_sel:DWORD dst_unused:UNUSED_PAD src0_sel:WORD_0 src1_sel:DWORD
	s_waitcnt vmcnt(1)
	v_xor_b32_e32 v18, v18, v29
	v_lshrrev_b32_e32 v29, 16, v18
	v_and_b32_e32 v35, 0xffffff00, v18
	v_lshlrev_b16 v18, 8, v18
	s_waitcnt vmcnt(0)
	v_xor_b32_e32 v19, v19, v33
	v_lshrrev_b32_e32 v33, 14, v26
	v_sub_nc_i16 v28, v35, v28 clamp
	v_sub_nc_i16 v18, v18, v21 clamp
	v_and_b32_e32 v21, 0xffffff00, v29
	v_bfe_i32 v33, v33, 0, 1
	v_perm_b32 v18, v18, v28, 0xc0c0105
	v_lshlrev_b16 v28, 8, v29
	v_sub_nc_i16 v21, v21, v30 clamp
	v_sub_nc_i16 v27, v28, v27 clamp
	v_lshrrev_b32_e32 v28, 10, v26
	v_perm_b32 v21, v27, v21, 0xc0c0105
	v_and_b32_e32 v27, 0xffffff00, v19
	v_bfe_i32 v28, v28, 0, 1
	v_lshl_or_b32 v18, v21, 16, v18
	v_lshrrev_b32_e32 v21, 16, v19
	v_lshlrev_b16 v19, 8, v19
	v_sub_nc_i16 v27, v27, v32 clamp
	v_lshrrev_b32_e32 v32, 15, v26
	v_sub_nc_i16 v19, v19, v20 clamp
	v_and_b32_e32 v20, 0xffffff00, v21
	v_lshlrev_b16 v21, 8, v21
	v_bfe_i32 v32, v32, 0, 1
	v_perm_b32 v19, v19, v27, 0xc0c0105
	v_lshlrev_b16 v27, 8, v31
	v_sub_nc_i16 v20, v20, v34 clamp
	v_lshlrev_b16 v32, 8, v32
	v_sub_nc_i16 v21, v21, v27 clamp
	v_lshrrev_b32_e32 v27, 11, v26
	v_or_b32_sdwa v36, v33, v32 dst_sel:WORD_1 dst_unused:UNUSED_PAD src0_sel:BYTE_0 src1_sel:DWORD
	v_perm_b32 v20, v21, v20, 0xc0c0105
	v_lshlrev_b32_e32 v21, 6, v25
	v_bfe_i32 v27, v27, 0, 1
	v_lshl_or_b32 v19, v20, 16, v19
	v_bfe_u32 v20, v23, 16, 8
	v_lshlrev_b16 v27, 8, v27
	v_and_or_b32 v20, 0x100, v21, v20
	v_lshrrev_b32_e32 v21, 24, v23
	v_lshlrev_b32_e32 v23, 5, v25
	v_or_b32_sdwa v31, v28, v27 dst_sel:WORD_1 dst_unused:UNUSED_PAD src0_sel:BYTE_0 src1_sel:DWORD
	v_lshlrev_b16 v28, 8, v28
	v_lshlrev_b32_e32 v20, 2, v20
	v_and_or_b32 v21, 0x100, v23, v21
	v_lshrrev_b32_e32 v23, 1, v26
	global_load_dword v20, v20, s[0:1]
	v_lshlrev_b32_e32 v21, 2, v21
	v_and_b32_e32 v23, 0x180, v23
	global_load_dword v21, v21, s[0:1]
	v_cmp_ne_u16_sdwa s12, v23, v12 src0_sel:BYTE_1 src1_sel:DWORD
	v_lshrrev_b16 v23, 7, v23
	v_cndmask_b32_e64 v29, 0, -1, s12
	v_bfe_i32 v23, v23, 0, 1
	v_lshlrev_b16 v29, 8, v29
	v_or_b32_sdwa v30, v23, v29 dst_sel:DWORD dst_unused:UNUSED_PAD src0_sel:BYTE_0 src1_sel:DWORD
	v_lshlrev_b16 v23, 8, v23
	v_or_b32_sdwa v30, v30, v31 dst_sel:DWORD dst_unused:UNUSED_PAD src0_sel:WORD_0 src1_sel:DWORD
	v_lshrrev_b32_e32 v31, 5, v26
	v_and_b32_e32 v31, 0x180, v31
	v_cmp_ne_u16_sdwa s12, v31, v12 src0_sel:BYTE_1 src1_sel:DWORD
	v_lshrrev_b16 v31, 7, v31
	v_cndmask_b32_e64 v34, 0, -1, s12
	v_bfe_i32 v31, v31, 0, 1
	v_lshlrev_b16 v34, 8, v34
	v_or_b32_sdwa v35, v31, v34 dst_sel:DWORD dst_unused:UNUSED_PAD src0_sel:BYTE_0 src1_sel:DWORD
	v_or_b32_sdwa v35, v35, v36 dst_sel:DWORD dst_unused:UNUSED_PAD src0_sel:WORD_0 src1_sel:DWORD
	s_waitcnt vmcnt(1)
	v_xor_b32_e32 v20, v20, v30
	v_lshrrev_b32_e32 v30, 16, v20
	v_and_b32_e32 v36, 0xffffff00, v20
	v_lshlrev_b16 v20, 8, v20
	s_waitcnt vmcnt(0)
	v_xor_b32_e32 v21, v21, v35
	v_sub_nc_i16 v29, v36, v29 clamp
	v_sub_nc_i16 v20, v20, v23 clamp
	v_and_b32_e32 v23, 0xffffff00, v30
	v_perm_b32 v20, v20, v29, 0xc0c0105
	v_sub_nc_i16 v23, v23, v27 clamp
	v_lshlrev_b16 v27, 8, v30
	v_sub_nc_i16 v27, v27, v28 clamp
	v_lshlrev_b16 v28, 8, v31
	v_perm_b32 v23, v27, v23, 0xc0c0105
	v_and_b32_e32 v27, 0xffffff00, v21
	v_lshl_or_b32 v20, v23, 16, v20
	v_lshrrev_b32_e32 v23, 16, v21
	v_lshlrev_b16 v21, 8, v21
	v_sub_nc_i16 v27, v27, v34 clamp
	v_sub_nc_i16 v21, v21, v28 clamp
	v_lshlrev_b16 v28, 8, v33
	v_perm_b32 v21, v21, v27, 0xc0c0105
	v_and_b32_e32 v27, 0xffffff00, v23
	v_lshlrev_b16 v23, 8, v23
	v_sub_nc_i16 v27, v27, v32 clamp
	v_sub_nc_i16 v23, v23, v28 clamp
	v_lshlrev_b32_e32 v28, 3, v25
	v_perm_b32 v23, v23, v27, 0xc0c0105
	v_lshlrev_b32_e32 v27, 4, v25
	v_lshl_or_b32 v21, v23, 16, v21
	v_and_b32_e32 v23, 0xff, v24
	v_and_or_b32 v23, 0x100, v27, v23
	v_bfe_u32 v27, v24, 8, 8
	v_lshlrev_b32_e32 v23, 2, v23
	v_and_or_b32 v27, 0x100, v28, v27
	v_lshrrev_b32_e32 v28, 9, v26
	global_load_dword v23, v23, s[0:1]
	v_lshlrev_b32_e32 v27, 2, v27
	v_lshl_or_b32 v28, v22, 21, v28
	global_load_dword v27, v27, s[0:1]
	v_and_b32_e32 v29, 0x1800180, v28
	v_bfe_u32 v28, v28, 24, 1
	v_cmp_ne_u16_sdwa s12, v29, v12 src0_sel:BYTE_1 src1_sel:DWORD
	v_cmp_ne_u16_e32 vcc_lo, 0, v28
	v_lshrrev_b16 v28, 7, v29
	v_lshrrev_b32_e32 v29, 18, v26
	v_cndmask_b32_e64 v30, 0, -1, s12
	v_cndmask_b32_e64 v32, 0, -1, vcc_lo
	v_bfe_i32 v28, v28, 0, 1
	v_bfe_i32 v29, v29, 0, 1
	v_lshlrev_b16 v30, 8, v30
	v_lshlrev_b16 v32, 8, v32
	v_or_b32_sdwa v31, v28, v30 dst_sel:DWORD dst_unused:UNUSED_PAD src0_sel:BYTE_0 src1_sel:DWORD
	v_or_b32_sdwa v33, v29, v32 dst_sel:WORD_1 dst_unused:UNUSED_PAD src0_sel:BYTE_0 src1_sel:DWORD
	v_lshlrev_b16 v28, 8, v28
	v_lshlrev_b16 v29, 8, v29
	v_or_b32_sdwa v31, v31, v33 dst_sel:DWORD dst_unused:UNUSED_PAD src0_sel:WORD_0 src1_sel:DWORD
	v_lshrrev_b32_e32 v33, 13, v26
	v_lshl_or_b32 v22, v22, 17, v33
	v_and_b32_e32 v33, 0x1800180, v22
	v_bfe_u32 v22, v22, 24, 1
	v_cmp_ne_u16_sdwa s12, v33, v12 src0_sel:BYTE_1 src1_sel:DWORD
	v_cmp_ne_u16_e32 vcc_lo, 0, v22
	v_lshrrev_b16 v22, 7, v33
	v_lshrrev_b32_e32 v33, 22, v26
	v_cndmask_b32_e64 v36, 0, -1, vcc_lo
	v_bfe_i32 v34, v22, 0, 1
	v_cndmask_b32_e64 v22, 0, -1, s12
	v_bfe_i32 v33, v33, 0, 1
	v_lshlrev_b16 v36, 8, v36
	v_lshlrev_b16 v35, 8, v22
	v_or_b32_sdwa v37, v33, v36 dst_sel:WORD_1 dst_unused:UNUSED_PAD src0_sel:BYTE_0 src1_sel:DWORD
	v_or_b32_sdwa v22, v34, v35 dst_sel:DWORD dst_unused:UNUSED_PAD src0_sel:BYTE_0 src1_sel:DWORD
	v_or_b32_sdwa v37, v22, v37 dst_sel:DWORD dst_unused:UNUSED_PAD src0_sel:WORD_0 src1_sel:DWORD
	s_waitcnt vmcnt(1)
	v_xor_b32_e32 v22, v23, v31
	v_lshrrev_b32_e32 v23, 16, v22
	v_and_b32_e32 v31, 0xffffff00, v22
	v_lshlrev_b16 v22, 8, v22
	v_sub_nc_i16 v30, v31, v30 clamp
	v_sub_nc_i16 v22, v22, v28 clamp
	v_and_b32_e32 v28, 0xffffff00, v23
	v_lshlrev_b16 v23, 8, v23
	v_perm_b32 v22, v22, v30, 0xc0c0105
	v_sub_nc_i16 v28, v28, v32 clamp
	v_sub_nc_i16 v23, v23, v29 clamp
	v_lshlrev_b16 v29, 8, v34
	v_lshrrev_b32_e32 v34, 31, v26
	v_perm_b32 v23, v23, v28, 0xc0c0105
	v_lshl_or_b32 v22, v23, 16, v22
	s_waitcnt vmcnt(0)
	v_xor_b32_e32 v23, v27, v37
	v_mov_b32_e32 v37, 0
	v_lshrrev_b32_e32 v27, 16, v23
	v_and_b32_e32 v28, 0xffffff00, v23
	v_lshlrev_b16 v23, 8, v23
	v_sub_nc_i16 v28, v28, v35 clamp
	v_sub_nc_i16 v23, v23, v29 clamp
	v_lshlrev_b16 v29, 8, v33
	v_perm_b32 v23, v23, v28, 0xc0c0105
	v_and_b32_e32 v28, 0xffffff00, v27
	v_lshlrev_b16 v27, 8, v27
	v_sub_nc_i16 v28, v28, v36 clamp
	v_sub_nc_i16 v27, v27, v29 clamp
	v_perm_b32 v27, v27, v28, 0xc0c0105
	v_lshlrev_b32_e32 v28, 2, v25
	v_lshlrev_b32_e32 v25, 1, v25
	v_lshl_or_b32 v23, v27, 16, v23
	v_bfe_u32 v27, v24, 16, 8
	v_lshrrev_b32_e32 v24, 24, v24
	v_and_or_b32 v27, 0x100, v28, v27
	v_and_or_b32 v24, 0x100, v25, v24
	v_lshrrev_b32_e32 v28, 24, v26
	v_lshlrev_b32_e32 v27, 2, v27
	v_lshlrev_b32_e32 v24, 2, v24
	s_clause 0x1
	global_load_dword v27, v27, s[0:1]
	global_load_dword v25, v24, s[0:1]
	v_lshrrev_b32_e32 v24, 17, v26
	v_lshl_or_b32 v24, v28, 21, v24
	v_and_b32_e32 v28, 0x1800180, v24
	v_bfe_u32 v24, v24, 24, 1
	v_cmp_ne_u16_sdwa s0, v28, v12 src0_sel:BYTE_1 src1_sel:DWORD
	v_cmp_ne_u16_e32 vcc_lo, 0, v24
	v_lshrrev_b16 v24, 7, v28
	v_lshrrev_b32_e32 v28, 26, v26
	v_cndmask_b32_e64 v29, 0, -1, s0
	v_cndmask_b32_e64 v31, 0, -1, vcc_lo
	v_bfe_i32 v24, v24, 0, 1
	v_bfe_i32 v28, v28, 0, 1
	v_cmp_ne_u16_e32 vcc_lo, 0, v34
	v_lshlrev_b16 v29, 8, v29
	v_lshlrev_b16 v31, 8, v31
	v_cndmask_b32_e64 v35, 0, -1, vcc_lo
	v_or_b32_sdwa v30, v24, v29 dst_sel:DWORD dst_unused:UNUSED_PAD src0_sel:BYTE_0 src1_sel:DWORD
	v_or_b32_sdwa v32, v28, v31 dst_sel:WORD_1 dst_unused:UNUSED_PAD src0_sel:BYTE_0 src1_sel:DWORD
	v_lshlrev_b16 v24, 8, v24
	v_lshlrev_b16 v28, 8, v28
	;; [unrolled: 1-line block ×3, first 2 shown]
	v_or_b32_sdwa v30, v30, v32 dst_sel:DWORD dst_unused:UNUSED_PAD src0_sel:WORD_0 src1_sel:DWORD
	v_lshrrev_b32_e32 v32, 21, v26
	v_lshrrev_b32_e32 v26, 30, v26
	v_lshrrev_b16 v33, 8, v32
	v_lshrrev_b16 v32, 7, v32
	v_bfe_i32 v26, v26, 0, 1
	v_bfe_i32 v33, v33, 0, 1
	;; [unrolled: 1-line block ×3, first 2 shown]
	v_or_b32_sdwa v36, v26, v35 dst_sel:WORD_1 dst_unused:UNUSED_PAD src0_sel:BYTE_0 src1_sel:DWORD
	v_lshlrev_b16 v26, 8, v26
	v_lshlrev_b16 v33, 8, v33
	v_or_b32_sdwa v34, v32, v33 dst_sel:DWORD dst_unused:UNUSED_PAD src0_sel:BYTE_0 src1_sel:DWORD
	v_or_b32_sdwa v34, v34, v36 dst_sel:DWORD dst_unused:UNUSED_PAD src0_sel:WORD_0 src1_sel:DWORD
	s_waitcnt vmcnt(1)
	v_xor_b32_e32 v27, v27, v30
	s_waitcnt vmcnt(0)
	v_xor_b32_e32 v25, v25, v34
	v_lshrrev_b32_e32 v30, 16, v27
	v_and_b32_e32 v36, 0xffffff00, v27
	v_lshlrev_b16 v27, 8, v27
	v_sub_nc_i16 v29, v36, v29 clamp
	v_sub_nc_i16 v24, v27, v24 clamp
	v_and_b32_e32 v27, 0xffffff00, v30
	v_perm_b32 v24, v24, v29, 0xc0c0105
	v_lshlrev_b16 v29, 8, v30
	v_sub_nc_i16 v27, v27, v31 clamp
	v_sub_nc_i16 v28, v29, v28 clamp
	v_lshlrev_b16 v29, 8, v32
	v_perm_b32 v27, v28, v27, 0xc0c0105
	v_and_b32_e32 v28, 0xffffff00, v25
	v_lshl_or_b32 v24, v27, 16, v24
	v_lshrrev_b32_e32 v27, 16, v25
	v_lshlrev_b16 v25, 8, v25
	v_sub_nc_i16 v28, v28, v33 clamp
	v_sub_nc_i16 v25, v25, v29 clamp
	v_perm_b32 v25, v25, v28, 0xc0c0105
	v_and_b32_e32 v28, 0xffffff00, v27
	v_lshlrev_b16 v27, 8, v27
	v_sub_nc_i16 v28, v28, v35 clamp
	v_sub_nc_i16 v26, v27, v26 clamp
	v_perm_b32 v26, v26, v28, 0xc0c0105
	v_lshl_or_b32 v25, v26, 16, v25
	v_add_co_u32 v26, vcc_lo, v6, v13
	v_add_co_ci_u32_e64 v27, null, 0, v7, vcc_lo
	s_clause 0x1
	global_load_ushort v6, v[6:7], off
	global_load_ubyte v26, v[26:27], off offset:106
	s_waitcnt vmcnt(1)
	v_cvt_f32_f16_e32 v36, v6
	s_waitcnt vmcnt(0)
	v_lshrrev_b32_e32 v26, v14, v26
	v_lshlrev_b32_e32 v26, 1, v26
	v_and_or_b32 v35, v26, 30, 1
	s_clause 0x2
	global_load_dwordx4 v[26:29], v[4:5], off offset:-32
	global_load_dword v6, v[4:5], off
	global_load_dwordx4 v[30:33], v[4:5], off offset:-16
	v_add_co_u32 v4, vcc_lo, 0x480, v4
	v_add_co_ci_u32_e64 v5, null, 0, v5, vcc_lo
	v_cmp_le_u32_e32 vcc_lo, s10, v9
	s_or_b32 s3, vcc_lo, s3
	s_waitcnt vmcnt(2)
	v_dot4c_i32_i8 v37, v18, v27
	v_dot4c_i32_i8 v37, v19, v28
	;; [unrolled: 1-line block ×3, first 2 shown]
	s_waitcnt vmcnt(0)
	v_dot4c_i32_i8 v37, v21, v30
	v_dot4c_i32_i8 v37, v22, v31
	;; [unrolled: 1-line block ×5, first 2 shown]
	v_mad_u64_u32 v[6:7], null, v15, 36, v[2:3]
	s_clause 0x2
	global_load_dwordx4 v[27:30], v[6:7], off
	global_load_dword v38, v[6:7], off offset:32
	global_load_dwordx4 v[31:34], v[6:7], off offset:16
	v_mov_b32_e32 v6, 0
	v_mul_lo_u32 v7, v37, v35
	v_add_nc_u32_e32 v15, 32, v15
	v_cvt_f32_i32_e32 v7, v7
	s_waitcnt vmcnt(2)
	v_dot4c_i32_i8 v6, v18, v28
	v_cvt_f32_f16_e32 v18, v27
	v_dot4c_i32_i8 v6, v19, v29
	v_cvt_f32_f16_e32 v19, v26
	v_mul_f32_e32 v18, v36, v18
	v_dot4c_i32_i8 v6, v20, v30
	v_mul_f32_e32 v19, v36, v19
	s_waitcnt vmcnt(0)
	v_dot4c_i32_i8 v6, v21, v31
	v_fmac_f32_e32 v10, v19, v7
	v_dot4c_i32_i8 v6, v22, v32
	v_dot4c_i32_i8 v6, v23, v33
	v_dot4c_i32_i8 v6, v24, v34
	v_dot4c_i32_i8 v6, v25, v38
	v_mul_lo_u32 v6, v6, v35
	v_cvt_f32_i32_e32 v6, v6
	v_fmac_f32_e32 v8, v18, v6
	s_andn2_b32 exec_lo, exec_lo, s3
	s_cbranch_execnz .LBB257_2
; %bb.3:
	s_or_b32 exec_lo, exec_lo, s3
.LBB257_4:
	s_or_b32 exec_lo, exec_lo, s9
	s_mov_b32 s1, 0
	; wave barrier
	buffer_gl0_inv
	s_mov_b32 s0, exec_lo
	v_cmpx_eq_u32_e32 0, v1
	s_cbranch_execz .LBB257_9
; %bb.5:
	v_mbcnt_lo_u32_b32 v5, -1, 0
	s_load_dwordx2 s[4:5], s[4:5], 0x38
	s_mul_i32 s0, s14, s7
	s_mul_i32 s3, s18, s8
	s_add_i32 s0, s0, s6
	v_xor_b32_e32 v1, 16, v5
	v_xor_b32_e32 v2, 8, v5
	;; [unrolled: 1-line block ×3, first 2 shown]
	s_add_i32 s0, s0, s3
	s_lshl_b64 s[0:1], s[0:1], 2
	v_cmp_gt_i32_e32 vcc_lo, 32, v1
	v_cndmask_b32_e32 v1, v5, v1, vcc_lo
	v_cmp_gt_i32_e32 vcc_lo, 32, v2
	v_lshlrev_b32_e32 v1, 2, v1
	v_cndmask_b32_e32 v2, v5, v2, vcc_lo
	s_waitcnt lgkmcnt(0)
	s_add_u32 s0, s4, s0
	s_addc_u32 s1, s5, s1
	ds_bpermute_b32 v3, v1, v10
	v_lshlrev_b32_e32 v2, 2, v2
	s_waitcnt lgkmcnt(0)
	v_add_f32_e32 v4, v10, v3
	v_xor_b32_e32 v3, 4, v5
	ds_bpermute_b32 v6, v2, v4
	v_cmp_gt_i32_e32 vcc_lo, 32, v3
	v_cndmask_b32_e32 v3, v5, v3, vcc_lo
	v_lshlrev_b32_e32 v3, 2, v3
	s_waitcnt lgkmcnt(0)
	v_add_f32_e32 v6, v4, v6
	v_xor_b32_e32 v4, 2, v5
	ds_bpermute_b32 v7, v3, v6
	v_cmp_gt_i32_e32 vcc_lo, 32, v4
	v_cndmask_b32_e32 v4, v5, v4, vcc_lo
	v_cmp_gt_i32_e32 vcc_lo, 32, v9
	v_lshlrev_b32_e32 v4, 2, v4
	v_cndmask_b32_e32 v5, v5, v9, vcc_lo
	v_cmp_eq_u32_e32 vcc_lo, 0, v0
	v_lshlrev_b32_e32 v5, 2, v5
	s_waitcnt lgkmcnt(0)
	v_add_f32_e32 v6, v6, v7
	ds_bpermute_b32 v7, v4, v6
	s_waitcnt lgkmcnt(0)
	v_add_f32_e32 v6, v6, v7
	ds_bpermute_b32 v7, v5, v6
	s_and_saveexec_b32 s3, vcc_lo
	s_cbranch_execz .LBB257_7
; %bb.6:
	s_waitcnt lgkmcnt(0)
	v_add_f32_e32 v0, v6, v7
	v_mov_b32_e32 v6, 0
	global_store_dword v6, v0, s[0:1]
.LBB257_7:
	s_or_b32 exec_lo, exec_lo, s3
	ds_bpermute_b32 v0, v1, v8
	s_waitcnt lgkmcnt(0)
	v_add_f32_e32 v0, v8, v0
	ds_bpermute_b32 v1, v2, v0
	s_waitcnt lgkmcnt(0)
	v_add_f32_e32 v0, v0, v1
	;; [unrolled: 3-line block ×4, first 2 shown]
	ds_bpermute_b32 v1, v5, v0
	s_and_b32 exec_lo, exec_lo, vcc_lo
	s_cbranch_execz .LBB257_9
; %bb.8:
	s_mov_b32 s3, 0
	s_waitcnt lgkmcnt(0)
	v_add_f32_e32 v0, v0, v1
	s_lshl_b64 s[2:3], s[2:3], 2
	v_mov_b32_e32 v1, 0
	s_add_u32 s0, s0, s2
	s_addc_u32 s1, s1, s3
	global_store_dword v1, v0, s[0:1]
.LBB257_9:
	s_endpgm
	.section	.rodata,"a",@progbits
	.p2align	6, 0x0
	.amdhsa_kernel _ZL13mul_mat_vec_qIL9ggml_type21ELi2ELb0ELb0EEvPKvS2_PKi31ggml_cuda_mm_fusion_args_devicePfj15HIP_vector_typeIjLj3EEjjjS8_jjjS8_jjjj
		.amdhsa_group_segment_fixed_size 0
		.amdhsa_private_segment_fixed_size 0
		.amdhsa_kernarg_size 144
		.amdhsa_user_sgpr_count 6
		.amdhsa_user_sgpr_private_segment_buffer 1
		.amdhsa_user_sgpr_dispatch_ptr 0
		.amdhsa_user_sgpr_queue_ptr 0
		.amdhsa_user_sgpr_kernarg_segment_ptr 1
		.amdhsa_user_sgpr_dispatch_id 0
		.amdhsa_user_sgpr_flat_scratch_init 0
		.amdhsa_user_sgpr_private_segment_size 0
		.amdhsa_wavefront_size32 1
		.amdhsa_uses_dynamic_stack 0
		.amdhsa_system_sgpr_private_segment_wavefront_offset 0
		.amdhsa_system_sgpr_workgroup_id_x 1
		.amdhsa_system_sgpr_workgroup_id_y 1
		.amdhsa_system_sgpr_workgroup_id_z 1
		.amdhsa_system_sgpr_workgroup_info 0
		.amdhsa_system_vgpr_workitem_id 1
		.amdhsa_next_free_vgpr 39
		.amdhsa_next_free_sgpr 28
		.amdhsa_reserve_vcc 1
		.amdhsa_reserve_flat_scratch 0
		.amdhsa_float_round_mode_32 0
		.amdhsa_float_round_mode_16_64 0
		.amdhsa_float_denorm_mode_32 3
		.amdhsa_float_denorm_mode_16_64 3
		.amdhsa_dx10_clamp 1
		.amdhsa_ieee_mode 1
		.amdhsa_fp16_overflow 0
		.amdhsa_workgroup_processor_mode 1
		.amdhsa_memory_ordered 1
		.amdhsa_forward_progress 1
		.amdhsa_shared_vgpr_count 0
		.amdhsa_exception_fp_ieee_invalid_op 0
		.amdhsa_exception_fp_denorm_src 0
		.amdhsa_exception_fp_ieee_div_zero 0
		.amdhsa_exception_fp_ieee_overflow 0
		.amdhsa_exception_fp_ieee_underflow 0
		.amdhsa_exception_fp_ieee_inexact 0
		.amdhsa_exception_int_div_zero 0
	.end_amdhsa_kernel
	.section	.text._ZL13mul_mat_vec_qIL9ggml_type21ELi2ELb0ELb0EEvPKvS2_PKi31ggml_cuda_mm_fusion_args_devicePfj15HIP_vector_typeIjLj3EEjjjS8_jjjS8_jjjj,"axG",@progbits,_ZL13mul_mat_vec_qIL9ggml_type21ELi2ELb0ELb0EEvPKvS2_PKi31ggml_cuda_mm_fusion_args_devicePfj15HIP_vector_typeIjLj3EEjjjS8_jjjS8_jjjj,comdat
.Lfunc_end257:
	.size	_ZL13mul_mat_vec_qIL9ggml_type21ELi2ELb0ELb0EEvPKvS2_PKi31ggml_cuda_mm_fusion_args_devicePfj15HIP_vector_typeIjLj3EEjjjS8_jjjS8_jjjj, .Lfunc_end257-_ZL13mul_mat_vec_qIL9ggml_type21ELi2ELb0ELb0EEvPKvS2_PKi31ggml_cuda_mm_fusion_args_devicePfj15HIP_vector_typeIjLj3EEjjjS8_jjjS8_jjjj
                                        ; -- End function
	.set _ZL13mul_mat_vec_qIL9ggml_type21ELi2ELb0ELb0EEvPKvS2_PKi31ggml_cuda_mm_fusion_args_devicePfj15HIP_vector_typeIjLj3EEjjjS8_jjjS8_jjjj.num_vgpr, 39
	.set _ZL13mul_mat_vec_qIL9ggml_type21ELi2ELb0ELb0EEvPKvS2_PKi31ggml_cuda_mm_fusion_args_devicePfj15HIP_vector_typeIjLj3EEjjjS8_jjjS8_jjjj.num_agpr, 0
	.set _ZL13mul_mat_vec_qIL9ggml_type21ELi2ELb0ELb0EEvPKvS2_PKi31ggml_cuda_mm_fusion_args_devicePfj15HIP_vector_typeIjLj3EEjjjS8_jjjS8_jjjj.numbered_sgpr, 28
	.set _ZL13mul_mat_vec_qIL9ggml_type21ELi2ELb0ELb0EEvPKvS2_PKi31ggml_cuda_mm_fusion_args_devicePfj15HIP_vector_typeIjLj3EEjjjS8_jjjS8_jjjj.num_named_barrier, 0
	.set _ZL13mul_mat_vec_qIL9ggml_type21ELi2ELb0ELb0EEvPKvS2_PKi31ggml_cuda_mm_fusion_args_devicePfj15HIP_vector_typeIjLj3EEjjjS8_jjjS8_jjjj.private_seg_size, 0
	.set _ZL13mul_mat_vec_qIL9ggml_type21ELi2ELb0ELb0EEvPKvS2_PKi31ggml_cuda_mm_fusion_args_devicePfj15HIP_vector_typeIjLj3EEjjjS8_jjjS8_jjjj.uses_vcc, 1
	.set _ZL13mul_mat_vec_qIL9ggml_type21ELi2ELb0ELb0EEvPKvS2_PKi31ggml_cuda_mm_fusion_args_devicePfj15HIP_vector_typeIjLj3EEjjjS8_jjjS8_jjjj.uses_flat_scratch, 0
	.set _ZL13mul_mat_vec_qIL9ggml_type21ELi2ELb0ELb0EEvPKvS2_PKi31ggml_cuda_mm_fusion_args_devicePfj15HIP_vector_typeIjLj3EEjjjS8_jjjS8_jjjj.has_dyn_sized_stack, 0
	.set _ZL13mul_mat_vec_qIL9ggml_type21ELi2ELb0ELb0EEvPKvS2_PKi31ggml_cuda_mm_fusion_args_devicePfj15HIP_vector_typeIjLj3EEjjjS8_jjjS8_jjjj.has_recursion, 0
	.set _ZL13mul_mat_vec_qIL9ggml_type21ELi2ELb0ELb0EEvPKvS2_PKi31ggml_cuda_mm_fusion_args_devicePfj15HIP_vector_typeIjLj3EEjjjS8_jjjS8_jjjj.has_indirect_call, 0
	.section	.AMDGPU.csdata,"",@progbits
; Kernel info:
; codeLenInByte = 3368
; TotalNumSgprs: 30
; NumVgprs: 39
; ScratchSize: 0
; MemoryBound: 0
; FloatMode: 240
; IeeeMode: 1
; LDSByteSize: 0 bytes/workgroup (compile time only)
; SGPRBlocks: 0
; VGPRBlocks: 4
; NumSGPRsForWavesPerEU: 30
; NumVGPRsForWavesPerEU: 39
; Occupancy: 16
; WaveLimiterHint : 0
; COMPUTE_PGM_RSRC2:SCRATCH_EN: 0
; COMPUTE_PGM_RSRC2:USER_SGPR: 6
; COMPUTE_PGM_RSRC2:TRAP_HANDLER: 0
; COMPUTE_PGM_RSRC2:TGID_X_EN: 1
; COMPUTE_PGM_RSRC2:TGID_Y_EN: 1
; COMPUTE_PGM_RSRC2:TGID_Z_EN: 1
; COMPUTE_PGM_RSRC2:TIDIG_COMP_CNT: 1
	.section	.text._ZL13mul_mat_vec_qIL9ggml_type21ELi3ELb0ELb0EEvPKvS2_PKi31ggml_cuda_mm_fusion_args_devicePfj15HIP_vector_typeIjLj3EEjjjS8_jjjS8_jjjj,"axG",@progbits,_ZL13mul_mat_vec_qIL9ggml_type21ELi3ELb0ELb0EEvPKvS2_PKi31ggml_cuda_mm_fusion_args_devicePfj15HIP_vector_typeIjLj3EEjjjS8_jjjS8_jjjj,comdat
	.globl	_ZL13mul_mat_vec_qIL9ggml_type21ELi3ELb0ELb0EEvPKvS2_PKi31ggml_cuda_mm_fusion_args_devicePfj15HIP_vector_typeIjLj3EEjjjS8_jjjS8_jjjj ; -- Begin function _ZL13mul_mat_vec_qIL9ggml_type21ELi3ELb0ELb0EEvPKvS2_PKi31ggml_cuda_mm_fusion_args_devicePfj15HIP_vector_typeIjLj3EEjjjS8_jjjS8_jjjj
	.p2align	8
	.type	_ZL13mul_mat_vec_qIL9ggml_type21ELi3ELb0ELb0EEvPKvS2_PKi31ggml_cuda_mm_fusion_args_devicePfj15HIP_vector_typeIjLj3EEjjjS8_jjjS8_jjjj,@function
_ZL13mul_mat_vec_qIL9ggml_type21ELi3ELb0ELb0EEvPKvS2_PKi31ggml_cuda_mm_fusion_args_devicePfj15HIP_vector_typeIjLj3EEjjjS8_jjjS8_jjjj: ; @_ZL13mul_mat_vec_qIL9ggml_type21ELi3ELb0ELb0EEvPKvS2_PKi31ggml_cuda_mm_fusion_args_devicePfj15HIP_vector_typeIjLj3EEjjjS8_jjjS8_jjjj
; %bb.0:
	s_clause 0x5
	s_load_dword s9, s[4:5], 0x40
	s_load_dwordx4 s[0:3], s[4:5], 0x50
	s_load_dword s24, s[4:5], 0x60
	s_load_dwordx4 s[12:15], s[4:5], 0x68
	;; [unrolled: 2-line block ×3, first 2 shown]
	v_lshl_or_b32 v2, v1, 5, v0
	v_mov_b32_e32 v8, 0
	v_mov_b32_e32 v9, 0
	;; [unrolled: 1-line block ×3, first 2 shown]
	v_lshrrev_b32_e32 v10, 3, v2
	s_waitcnt lgkmcnt(0)
	s_lshr_b32 s10, s9, 8
	s_mov_b32 s9, exec_lo
	v_cmpx_gt_u32_e64 s10, v10
	s_cbranch_execz .LBB258_4
; %bb.1:
	s_mul_i32 s13, s13, s7
	s_load_dwordx4 s[20:23], s[4:5], 0x0
	s_mul_hi_u32 s27, s13, 36
	s_mul_i32 s26, s13, 36
	s_mul_i32 s17, s17, s8
	v_mad_u64_u32 v[2:3], null, 0x120, v10, s[26:27]
	v_and_b32_e32 v12, 7, v0
	v_lshlrev_b32_e32 v6, 1, v0
	s_mul_hi_u32 s3, s3, s7
	s_mul_hi_u32 s15, s15, s8
	s_add_i32 s3, s7, s3
	s_add_i32 s15, s8, s15
	v_mad_u64_u32 v[2:3], null, s17, 36, v[2:3]
	s_mul_i32 s25, s17, 36
	s_lshr_b32 s3, s3, s24
	v_and_b32_e32 v7, 14, v6
	s_mul_hi_u32 s19, s17, 36
	s_lshr_b32 s11, s15, s11
	s_mul_i32 s3, s3, s12
	v_mad_u64_u32 v[4:5], null, v12, 36, v[2:3]
	s_waitcnt lgkmcnt(0)
	s_add_u32 s12, s22, s25
	s_addc_u32 s13, s23, s19
	s_add_u32 s12, s12, s26
	s_addc_u32 s13, s13, s27
	v_lshlrev_b32_e32 v8, 1, v7
	v_lshlrev_b32_e32 v9, 3, v10
	v_add_co_u32 v4, vcc_lo, s22, v4
	v_add_co_ci_u32_e64 v5, null, s23, v5, vcc_lo
	v_mad_u64_u32 v[2:3], null, v12, 36, s[12:13]
	v_add_co_u32 v4, vcc_lo, v4, 16
	s_mul_i32 s0, s0, s6
	v_mov_b32_e32 v13, 0
	v_bfe_u32 v14, v6, 2, 2
	v_and_b32_e32 v15, 4, v8
	v_add_nc_u32_e32 v16, s1, v9
	v_lshl_add_u32 v17, s1, 1, v9
	v_add_co_ci_u32_e64 v5, null, 0, v5, vcc_lo
	v_lshlrev_b32_e32 v18, 1, v8
	v_lshlrev_b32_e32 v19, 1, v7
	v_mov_b32_e32 v8, 0
	v_mov_b32_e32 v11, 0
	;; [unrolled: 1-line block ×3, first 2 shown]
	s_mul_i32 s11, s11, s16
	s_add_i32 s3, s3, s0
	s_add_i32 s11, s11, s3
	s_mov_b32 s3, 0
.LBB258_2:                              ; =>This Inner Loop Header: Depth=1
	v_add_nc_u32_e32 v6, s11, v10
	s_getpc_b64 s[0:1]
	s_add_u32 s0, s0, _ZL9iq3s_grid@rel32@lo+4
	s_addc_u32 s1, s1, _ZL9iq3s_grid@rel32@hi+12
	v_add_nc_u32_e32 v10, 4, v10
	v_mad_i64_i32 v[6:7], null, 0x6e, v6, s[20:21]
	v_add_co_u32 v20, vcc_lo, v6, v18
	v_add_co_ci_u32_e64 v21, null, 0, v7, vcc_lo
	global_load_dwordx2 v[25:26], v[20:21], off offset:2
	v_add_co_u32 v20, vcc_lo, v6, v12
	v_add_co_ci_u32_e64 v21, null, 0, v7, vcc_lo
	global_load_ubyte v27, v[20:21], off offset:66
	v_add_co_u32 v20, vcc_lo, v6, v19
	v_add_co_ci_u32_e64 v21, null, 0, v7, vcc_lo
	global_load_dword v28, v[20:21], off offset:74
	s_waitcnt vmcnt(2)
	v_and_b32_e32 v20, 0xff, v25
	s_waitcnt vmcnt(1)
	v_lshlrev_b32_e32 v21, 8, v27
	v_lshlrev_b32_e32 v22, 7, v27
	v_and_or_b32 v20, 0x100, v21, v20
	v_bfe_u32 v21, v25, 8, 8
	s_waitcnt vmcnt(0)
	v_lshlrev_b32_e32 v23, 21, v28
	v_lshrrev_b32_e32 v24, 16, v28
	v_lshlrev_b32_e32 v20, 2, v20
	v_and_or_b32 v21, 0x100, v22, v21
	v_and_b32_e32 v22, 0xff, v28
	global_load_dword v20, v20, s[0:1]
	v_lshlrev_b32_e32 v21, 2, v21
	v_lshl_or_b32 v23, v22, 7, v23
	global_load_dword v21, v21, s[0:1]
	v_and_b32_e32 v29, 0x1800180, v23
	v_bfe_u32 v23, v23, 24, 1
	v_cmp_ne_u16_sdwa s12, v29, v13 src0_sel:BYTE_1 src1_sel:DWORD
	v_cmp_ne_u16_e32 vcc_lo, 0, v23
	v_lshrrev_b16 v23, 7, v29
	v_lshrrev_b32_e32 v29, 2, v28
	v_cndmask_b32_e64 v30, 0, -1, s12
	v_cndmask_b32_e64 v32, 0, -1, vcc_lo
	v_bfe_i32 v23, v23, 0, 1
	v_bfe_i32 v29, v29, 0, 1
	v_lshlrev_b16 v30, 8, v30
	v_lshlrev_b16 v32, 8, v32
	v_or_b32_sdwa v31, v23, v30 dst_sel:DWORD dst_unused:UNUSED_PAD src0_sel:BYTE_0 src1_sel:DWORD
	v_or_b32_sdwa v33, v29, v32 dst_sel:WORD_1 dst_unused:UNUSED_PAD src0_sel:BYTE_0 src1_sel:DWORD
	v_lshlrev_b16 v23, 8, v23
	v_lshlrev_b16 v29, 8, v29
	v_or_b32_sdwa v31, v31, v33 dst_sel:DWORD dst_unused:UNUSED_PAD src0_sel:WORD_0 src1_sel:DWORD
	v_lshlrev_b32_e32 v33, 17, v28
	v_lshl_or_b32 v22, v22, 3, v33
	v_and_b32_e32 v33, 0x1800180, v22
	v_bfe_u32 v22, v22, 24, 1
	v_cmp_ne_u16_sdwa s12, v33, v13 src0_sel:BYTE_1 src1_sel:DWORD
	v_cmp_ne_u16_e32 vcc_lo, 0, v22
	v_lshrrev_b16 v22, 7, v33
	v_lshrrev_b32_e32 v33, 6, v28
	v_cndmask_b32_e64 v34, 0, -1, s12
	v_cndmask_b32_e64 v36, 0, -1, vcc_lo
	v_bfe_i32 v22, v22, 0, 1
	v_bfe_i32 v33, v33, 0, 1
	v_lshlrev_b16 v34, 8, v34
	v_lshlrev_b16 v36, 8, v36
	v_or_b32_sdwa v35, v22, v34 dst_sel:DWORD dst_unused:UNUSED_PAD src0_sel:BYTE_0 src1_sel:DWORD
	v_or_b32_sdwa v37, v33, v36 dst_sel:WORD_1 dst_unused:UNUSED_PAD src0_sel:BYTE_0 src1_sel:DWORD
	v_lshlrev_b16 v22, 8, v22
	v_or_b32_sdwa v35, v35, v37 dst_sel:DWORD dst_unused:UNUSED_PAD src0_sel:WORD_0 src1_sel:DWORD
	s_waitcnt vmcnt(1)
	v_xor_b32_e32 v20, v20, v31
	v_lshrrev_b32_e32 v31, 16, v20
	v_and_b32_e32 v37, 0xffffff00, v20
	v_lshlrev_b16 v20, 8, v20
	s_waitcnt vmcnt(0)
	v_xor_b32_e32 v21, v21, v35
	v_lshrrev_b32_e32 v35, 14, v28
	v_sub_nc_i16 v30, v37, v30 clamp
	v_sub_nc_i16 v20, v20, v23 clamp
	v_and_b32_e32 v23, 0xffffff00, v31
	v_bfe_i32 v35, v35, 0, 1
	v_perm_b32 v20, v20, v30, 0xc0c0105
	v_lshlrev_b16 v30, 8, v31
	v_sub_nc_i16 v23, v23, v32 clamp
	v_sub_nc_i16 v29, v30, v29 clamp
	v_lshrrev_b32_e32 v30, 10, v28
	v_perm_b32 v23, v29, v23, 0xc0c0105
	v_and_b32_e32 v29, 0xffffff00, v21
	v_bfe_i32 v30, v30, 0, 1
	v_lshl_or_b32 v20, v23, 16, v20
	v_lshrrev_b32_e32 v23, 16, v21
	v_lshlrev_b16 v21, 8, v21
	v_sub_nc_i16 v29, v29, v34 clamp
	v_lshrrev_b32_e32 v34, 15, v28
	v_sub_nc_i16 v21, v21, v22 clamp
	v_and_b32_e32 v22, 0xffffff00, v23
	v_lshlrev_b16 v23, 8, v23
	v_bfe_i32 v34, v34, 0, 1
	v_perm_b32 v21, v21, v29, 0xc0c0105
	v_lshlrev_b16 v29, 8, v33
	v_sub_nc_i16 v22, v22, v36 clamp
	v_lshlrev_b16 v34, 8, v34
	v_sub_nc_i16 v23, v23, v29 clamp
	v_lshrrev_b32_e32 v29, 11, v28
	v_or_b32_sdwa v38, v35, v34 dst_sel:WORD_1 dst_unused:UNUSED_PAD src0_sel:BYTE_0 src1_sel:DWORD
	v_perm_b32 v22, v23, v22, 0xc0c0105
	v_lshlrev_b32_e32 v23, 6, v27
	v_bfe_i32 v29, v29, 0, 1
	v_lshl_or_b32 v21, v22, 16, v21
	v_bfe_u32 v22, v25, 16, 8
	v_lshlrev_b16 v29, 8, v29
	v_and_or_b32 v22, 0x100, v23, v22
	v_lshrrev_b32_e32 v23, 24, v25
	v_lshlrev_b32_e32 v25, 5, v27
	v_or_b32_sdwa v33, v30, v29 dst_sel:WORD_1 dst_unused:UNUSED_PAD src0_sel:BYTE_0 src1_sel:DWORD
	v_lshlrev_b16 v30, 8, v30
	v_lshlrev_b32_e32 v22, 2, v22
	v_and_or_b32 v23, 0x100, v25, v23
	v_lshrrev_b32_e32 v25, 1, v28
	global_load_dword v22, v22, s[0:1]
	v_lshlrev_b32_e32 v23, 2, v23
	v_and_b32_e32 v25, 0x180, v25
	global_load_dword v23, v23, s[0:1]
	v_cmp_ne_u16_sdwa s12, v25, v13 src0_sel:BYTE_1 src1_sel:DWORD
	v_lshrrev_b16 v25, 7, v25
	v_cndmask_b32_e64 v31, 0, -1, s12
	v_bfe_i32 v25, v25, 0, 1
	v_lshlrev_b16 v31, 8, v31
	v_or_b32_sdwa v32, v25, v31 dst_sel:DWORD dst_unused:UNUSED_PAD src0_sel:BYTE_0 src1_sel:DWORD
	v_lshlrev_b16 v25, 8, v25
	v_or_b32_sdwa v32, v32, v33 dst_sel:DWORD dst_unused:UNUSED_PAD src0_sel:WORD_0 src1_sel:DWORD
	v_lshrrev_b32_e32 v33, 5, v28
	v_and_b32_e32 v33, 0x180, v33
	v_cmp_ne_u16_sdwa s12, v33, v13 src0_sel:BYTE_1 src1_sel:DWORD
	v_lshrrev_b16 v33, 7, v33
	v_cndmask_b32_e64 v36, 0, -1, s12
	v_bfe_i32 v33, v33, 0, 1
	v_lshlrev_b16 v36, 8, v36
	v_or_b32_sdwa v37, v33, v36 dst_sel:DWORD dst_unused:UNUSED_PAD src0_sel:BYTE_0 src1_sel:DWORD
	v_or_b32_sdwa v37, v37, v38 dst_sel:DWORD dst_unused:UNUSED_PAD src0_sel:WORD_0 src1_sel:DWORD
	s_waitcnt vmcnt(1)
	v_xor_b32_e32 v22, v22, v32
	v_lshrrev_b32_e32 v32, 16, v22
	v_and_b32_e32 v38, 0xffffff00, v22
	v_lshlrev_b16 v22, 8, v22
	s_waitcnt vmcnt(0)
	v_xor_b32_e32 v23, v23, v37
	v_sub_nc_i16 v31, v38, v31 clamp
	v_sub_nc_i16 v22, v22, v25 clamp
	v_and_b32_e32 v25, 0xffffff00, v32
	v_perm_b32 v22, v22, v31, 0xc0c0105
	v_sub_nc_i16 v25, v25, v29 clamp
	v_lshlrev_b16 v29, 8, v32
	v_sub_nc_i16 v29, v29, v30 clamp
	v_lshlrev_b16 v30, 8, v33
	v_perm_b32 v25, v29, v25, 0xc0c0105
	v_and_b32_e32 v29, 0xffffff00, v23
	v_lshl_or_b32 v22, v25, 16, v22
	v_lshrrev_b32_e32 v25, 16, v23
	v_lshlrev_b16 v23, 8, v23
	v_sub_nc_i16 v29, v29, v36 clamp
	v_sub_nc_i16 v23, v23, v30 clamp
	v_lshlrev_b16 v30, 8, v35
	v_perm_b32 v23, v23, v29, 0xc0c0105
	v_and_b32_e32 v29, 0xffffff00, v25
	v_lshlrev_b16 v25, 8, v25
	v_sub_nc_i16 v29, v29, v34 clamp
	v_sub_nc_i16 v25, v25, v30 clamp
	v_lshlrev_b32_e32 v30, 3, v27
	v_perm_b32 v25, v25, v29, 0xc0c0105
	v_lshlrev_b32_e32 v29, 4, v27
	v_lshl_or_b32 v23, v25, 16, v23
	v_and_b32_e32 v25, 0xff, v26
	v_and_or_b32 v25, 0x100, v29, v25
	v_bfe_u32 v29, v26, 8, 8
	v_lshlrev_b32_e32 v25, 2, v25
	v_and_or_b32 v29, 0x100, v30, v29
	v_lshrrev_b32_e32 v30, 9, v28
	global_load_dword v25, v25, s[0:1]
	v_lshlrev_b32_e32 v29, 2, v29
	v_lshl_or_b32 v30, v24, 21, v30
	global_load_dword v29, v29, s[0:1]
	v_and_b32_e32 v31, 0x1800180, v30
	v_bfe_u32 v30, v30, 24, 1
	v_cmp_ne_u16_sdwa s12, v31, v13 src0_sel:BYTE_1 src1_sel:DWORD
	v_cmp_ne_u16_e32 vcc_lo, 0, v30
	v_lshrrev_b16 v30, 7, v31
	v_lshrrev_b32_e32 v31, 18, v28
	v_cndmask_b32_e64 v32, 0, -1, s12
	v_cndmask_b32_e64 v34, 0, -1, vcc_lo
	v_bfe_i32 v30, v30, 0, 1
	v_bfe_i32 v31, v31, 0, 1
	v_lshlrev_b16 v32, 8, v32
	v_lshlrev_b16 v34, 8, v34
	v_or_b32_sdwa v33, v30, v32 dst_sel:DWORD dst_unused:UNUSED_PAD src0_sel:BYTE_0 src1_sel:DWORD
	v_or_b32_sdwa v35, v31, v34 dst_sel:WORD_1 dst_unused:UNUSED_PAD src0_sel:BYTE_0 src1_sel:DWORD
	v_lshlrev_b16 v30, 8, v30
	v_lshlrev_b16 v31, 8, v31
	v_or_b32_sdwa v33, v33, v35 dst_sel:DWORD dst_unused:UNUSED_PAD src0_sel:WORD_0 src1_sel:DWORD
	v_lshrrev_b32_e32 v35, 13, v28
	v_lshl_or_b32 v24, v24, 17, v35
	v_and_b32_e32 v35, 0x1800180, v24
	v_bfe_u32 v24, v24, 24, 1
	v_cmp_ne_u16_sdwa s12, v35, v13 src0_sel:BYTE_1 src1_sel:DWORD
	v_cmp_ne_u16_e32 vcc_lo, 0, v24
	v_lshrrev_b16 v24, 7, v35
	v_lshrrev_b32_e32 v35, 22, v28
	v_cndmask_b32_e64 v38, 0, -1, vcc_lo
	v_bfe_i32 v36, v24, 0, 1
	v_cndmask_b32_e64 v24, 0, -1, s12
	v_bfe_i32 v35, v35, 0, 1
	v_lshlrev_b16 v38, 8, v38
	v_lshlrev_b16 v37, 8, v24
	v_or_b32_sdwa v39, v35, v38 dst_sel:WORD_1 dst_unused:UNUSED_PAD src0_sel:BYTE_0 src1_sel:DWORD
	v_or_b32_sdwa v24, v36, v37 dst_sel:DWORD dst_unused:UNUSED_PAD src0_sel:BYTE_0 src1_sel:DWORD
	v_or_b32_sdwa v39, v24, v39 dst_sel:DWORD dst_unused:UNUSED_PAD src0_sel:WORD_0 src1_sel:DWORD
	s_waitcnt vmcnt(1)
	v_xor_b32_e32 v24, v25, v33
	v_lshrrev_b32_e32 v25, 16, v24
	v_and_b32_e32 v33, 0xffffff00, v24
	v_lshlrev_b16 v24, 8, v24
	v_sub_nc_i16 v32, v33, v32 clamp
	v_sub_nc_i16 v24, v24, v30 clamp
	v_and_b32_e32 v30, 0xffffff00, v25
	v_lshlrev_b16 v25, 8, v25
	v_perm_b32 v24, v24, v32, 0xc0c0105
	v_sub_nc_i16 v30, v30, v34 clamp
	v_sub_nc_i16 v25, v25, v31 clamp
	v_lshlrev_b16 v31, 8, v36
	v_lshrrev_b32_e32 v36, 31, v28
	v_perm_b32 v25, v25, v30, 0xc0c0105
	v_lshl_or_b32 v24, v25, 16, v24
	s_waitcnt vmcnt(0)
	v_xor_b32_e32 v25, v29, v39
	v_mov_b32_e32 v39, 0
	v_lshrrev_b32_e32 v29, 16, v25
	v_and_b32_e32 v30, 0xffffff00, v25
	v_lshlrev_b16 v25, 8, v25
	v_sub_nc_i16 v30, v30, v37 clamp
	v_sub_nc_i16 v25, v25, v31 clamp
	v_lshlrev_b16 v31, 8, v35
	v_perm_b32 v25, v25, v30, 0xc0c0105
	v_and_b32_e32 v30, 0xffffff00, v29
	v_lshlrev_b16 v29, 8, v29
	v_sub_nc_i16 v30, v30, v38 clamp
	v_sub_nc_i16 v29, v29, v31 clamp
	v_perm_b32 v29, v29, v30, 0xc0c0105
	v_lshlrev_b32_e32 v30, 2, v27
	v_lshlrev_b32_e32 v27, 1, v27
	v_lshl_or_b32 v25, v29, 16, v25
	v_bfe_u32 v29, v26, 16, 8
	v_lshrrev_b32_e32 v26, 24, v26
	v_and_or_b32 v29, 0x100, v30, v29
	v_and_or_b32 v26, 0x100, v27, v26
	v_lshrrev_b32_e32 v30, 24, v28
	v_lshlrev_b32_e32 v29, 2, v29
	v_lshlrev_b32_e32 v26, 2, v26
	s_clause 0x1
	global_load_dword v29, v29, s[0:1]
	global_load_dword v27, v26, s[0:1]
	v_lshrrev_b32_e32 v26, 17, v28
	v_lshl_or_b32 v26, v30, 21, v26
	v_and_b32_e32 v30, 0x1800180, v26
	v_bfe_u32 v26, v26, 24, 1
	v_cmp_ne_u16_sdwa s0, v30, v13 src0_sel:BYTE_1 src1_sel:DWORD
	v_cmp_ne_u16_e32 vcc_lo, 0, v26
	v_lshrrev_b16 v26, 7, v30
	v_lshrrev_b32_e32 v30, 26, v28
	v_cndmask_b32_e64 v31, 0, -1, s0
	v_cndmask_b32_e64 v33, 0, -1, vcc_lo
	v_bfe_i32 v26, v26, 0, 1
	v_bfe_i32 v30, v30, 0, 1
	v_cmp_ne_u16_e32 vcc_lo, 0, v36
	v_lshlrev_b16 v31, 8, v31
	v_lshlrev_b16 v33, 8, v33
	v_cndmask_b32_e64 v37, 0, -1, vcc_lo
	v_or_b32_sdwa v32, v26, v31 dst_sel:DWORD dst_unused:UNUSED_PAD src0_sel:BYTE_0 src1_sel:DWORD
	v_or_b32_sdwa v34, v30, v33 dst_sel:WORD_1 dst_unused:UNUSED_PAD src0_sel:BYTE_0 src1_sel:DWORD
	v_lshlrev_b16 v26, 8, v26
	v_lshlrev_b16 v30, 8, v30
	;; [unrolled: 1-line block ×3, first 2 shown]
	v_or_b32_sdwa v32, v32, v34 dst_sel:DWORD dst_unused:UNUSED_PAD src0_sel:WORD_0 src1_sel:DWORD
	v_lshrrev_b32_e32 v34, 21, v28
	v_lshrrev_b32_e32 v28, 30, v28
	v_lshrrev_b16 v35, 8, v34
	v_lshrrev_b16 v34, 7, v34
	v_bfe_i32 v28, v28, 0, 1
	v_bfe_i32 v35, v35, 0, 1
	;; [unrolled: 1-line block ×3, first 2 shown]
	v_or_b32_sdwa v38, v28, v37 dst_sel:WORD_1 dst_unused:UNUSED_PAD src0_sel:BYTE_0 src1_sel:DWORD
	v_lshlrev_b16 v28, 8, v28
	v_lshlrev_b16 v35, 8, v35
	v_or_b32_sdwa v36, v34, v35 dst_sel:DWORD dst_unused:UNUSED_PAD src0_sel:BYTE_0 src1_sel:DWORD
	v_or_b32_sdwa v36, v36, v38 dst_sel:DWORD dst_unused:UNUSED_PAD src0_sel:WORD_0 src1_sel:DWORD
	s_waitcnt vmcnt(1)
	v_xor_b32_e32 v29, v29, v32
	s_waitcnt vmcnt(0)
	v_xor_b32_e32 v27, v27, v36
	v_lshrrev_b32_e32 v32, 16, v29
	v_and_b32_e32 v38, 0xffffff00, v29
	v_lshlrev_b16 v29, 8, v29
	v_sub_nc_i16 v31, v38, v31 clamp
	v_sub_nc_i16 v26, v29, v26 clamp
	v_and_b32_e32 v29, 0xffffff00, v32
	v_perm_b32 v26, v26, v31, 0xc0c0105
	v_lshlrev_b16 v31, 8, v32
	v_sub_nc_i16 v29, v29, v33 clamp
	v_sub_nc_i16 v30, v31, v30 clamp
	v_lshlrev_b16 v31, 8, v34
	v_perm_b32 v29, v30, v29, 0xc0c0105
	v_and_b32_e32 v30, 0xffffff00, v27
	v_lshl_or_b32 v26, v29, 16, v26
	v_lshrrev_b32_e32 v29, 16, v27
	v_lshlrev_b16 v27, 8, v27
	v_sub_nc_i16 v30, v30, v35 clamp
	v_sub_nc_i16 v27, v27, v31 clamp
	v_perm_b32 v27, v27, v30, 0xc0c0105
	v_and_b32_e32 v30, 0xffffff00, v29
	v_lshlrev_b16 v29, 8, v29
	v_sub_nc_i16 v30, v30, v37 clamp
	v_sub_nc_i16 v28, v29, v28 clamp
	v_perm_b32 v28, v28, v30, 0xc0c0105
	v_lshl_or_b32 v27, v28, 16, v27
	v_add_co_u32 v28, vcc_lo, v6, v14
	v_add_co_ci_u32_e64 v29, null, 0, v7, vcc_lo
	s_clause 0x1
	global_load_ushort v6, v[6:7], off
	global_load_ubyte v28, v[28:29], off offset:106
	s_waitcnt vmcnt(1)
	v_cvt_f32_f16_e32 v38, v6
	s_waitcnt vmcnt(0)
	v_lshrrev_b32_e32 v28, v15, v28
	v_lshlrev_b32_e32 v28, 1, v28
	v_and_or_b32 v37, v28, 30, 1
	s_clause 0x2
	global_load_dwordx4 v[28:31], v[4:5], off offset:-16
	global_load_dword v6, v[4:5], off offset:16
	global_load_dwordx4 v[32:35], v[4:5], off
	v_add_co_u32 v4, vcc_lo, 0x480, v4
	v_add_co_ci_u32_e64 v5, null, 0, v5, vcc_lo
	v_cmp_le_u32_e32 vcc_lo, s10, v10
	s_or_b32 s3, vcc_lo, s3
	s_waitcnt vmcnt(2)
	v_dot4c_i32_i8 v39, v20, v29
	v_cvt_f32_f16_e32 v28, v28
	v_dot4c_i32_i8 v39, v21, v30
	v_mul_f32_e32 v28, v38, v28
	v_dot4c_i32_i8 v39, v22, v31
	s_waitcnt vmcnt(0)
	v_dot4c_i32_i8 v39, v23, v32
	v_dot4c_i32_i8 v39, v24, v33
	;; [unrolled: 1-line block ×5, first 2 shown]
	v_mad_u64_u32 v[6:7], null, v16, 36, v[2:3]
	s_clause 0x2
	global_load_dwordx4 v[29:32], v[6:7], off
	global_load_dword v40, v[6:7], off offset:32
	global_load_dwordx4 v[33:36], v[6:7], off offset:16
	v_mov_b32_e32 v6, 0
	v_mul_lo_u32 v7, v39, v37
	v_add_nc_u32_e32 v16, 32, v16
	v_cvt_f32_i32_e32 v7, v7
	v_fmac_f32_e32 v11, v28, v7
	s_waitcnt vmcnt(2)
	v_dot4c_i32_i8 v6, v20, v30
	v_cvt_f32_f16_e32 v29, v29
	v_dot4c_i32_i8 v6, v21, v31
	v_mul_f32_e32 v29, v38, v29
	v_dot4c_i32_i8 v6, v22, v32
	s_waitcnt vmcnt(0)
	v_dot4c_i32_i8 v6, v23, v33
	v_dot4c_i32_i8 v6, v24, v34
	;; [unrolled: 1-line block ×5, first 2 shown]
	v_mul_lo_u32 v6, v6, v37
	v_cvt_f32_i32_e32 v6, v6
	v_fmac_f32_e32 v9, v29, v6
	v_mad_u64_u32 v[6:7], null, v17, 36, v[2:3]
	s_clause 0x2
	global_load_dwordx4 v[28:31], v[6:7], off
	global_load_dword v36, v[6:7], off offset:32
	global_load_dwordx4 v[32:35], v[6:7], off offset:16
	v_mov_b32_e32 v6, 0
	v_add_nc_u32_e32 v17, 32, v17
	s_waitcnt vmcnt(2)
	v_dot4c_i32_i8 v6, v20, v29
	v_cvt_f32_f16_e32 v7, v28
	v_dot4c_i32_i8 v6, v21, v30
	v_mul_f32_e32 v7, v38, v7
	v_dot4c_i32_i8 v6, v22, v31
	s_waitcnt vmcnt(0)
	v_dot4c_i32_i8 v6, v23, v32
	v_dot4c_i32_i8 v6, v24, v33
	;; [unrolled: 1-line block ×5, first 2 shown]
	v_mul_lo_u32 v6, v6, v37
	v_cvt_f32_i32_e32 v6, v6
	v_fmac_f32_e32 v8, v7, v6
	s_andn2_b32 exec_lo, exec_lo, s3
	s_cbranch_execnz .LBB258_2
; %bb.3:
	s_or_b32 exec_lo, exec_lo, s3
.LBB258_4:
	s_or_b32 exec_lo, exec_lo, s9
	s_mov_b32 s1, 0
	; wave barrier
	buffer_gl0_inv
	s_mov_b32 s0, exec_lo
	v_cmpx_eq_u32_e32 0, v1
	s_cbranch_execz .LBB258_11
; %bb.5:
	v_mbcnt_lo_u32_b32 v5, -1, 0
	s_load_dwordx2 s[4:5], s[4:5], 0x38
	s_mul_i32 s0, s14, s7
	s_mul_i32 s3, s18, s8
	s_add_i32 s0, s0, s6
	v_xor_b32_e32 v1, 16, v5
	v_xor_b32_e32 v2, 8, v5
	v_xor_b32_e32 v10, 1, v5
	s_add_i32 s0, s0, s3
	s_lshl_b64 s[0:1], s[0:1], 2
	v_cmp_gt_i32_e32 vcc_lo, 32, v1
	v_cndmask_b32_e32 v1, v5, v1, vcc_lo
	v_cmp_gt_i32_e32 vcc_lo, 32, v2
	v_lshlrev_b32_e32 v1, 2, v1
	v_cndmask_b32_e32 v2, v5, v2, vcc_lo
	s_waitcnt lgkmcnt(0)
	s_add_u32 s0, s4, s0
	s_addc_u32 s1, s5, s1
	ds_bpermute_b32 v3, v1, v11
	v_lshlrev_b32_e32 v2, 2, v2
	s_waitcnt lgkmcnt(0)
	v_add_f32_e32 v4, v11, v3
	v_xor_b32_e32 v3, 4, v5
	ds_bpermute_b32 v6, v2, v4
	v_cmp_gt_i32_e32 vcc_lo, 32, v3
	v_cndmask_b32_e32 v3, v5, v3, vcc_lo
	v_lshlrev_b32_e32 v3, 2, v3
	s_waitcnt lgkmcnt(0)
	v_add_f32_e32 v6, v4, v6
	v_xor_b32_e32 v4, 2, v5
	ds_bpermute_b32 v7, v3, v6
	v_cmp_gt_i32_e32 vcc_lo, 32, v4
	v_cndmask_b32_e32 v4, v5, v4, vcc_lo
	v_cmp_gt_i32_e32 vcc_lo, 32, v10
	v_lshlrev_b32_e32 v4, 2, v4
	v_cndmask_b32_e32 v5, v5, v10, vcc_lo
	v_cmp_eq_u32_e32 vcc_lo, 0, v0
	v_lshlrev_b32_e32 v5, 2, v5
	s_waitcnt lgkmcnt(0)
	v_add_f32_e32 v6, v6, v7
	ds_bpermute_b32 v7, v4, v6
	s_waitcnt lgkmcnt(0)
	v_add_f32_e32 v6, v6, v7
	ds_bpermute_b32 v7, v5, v6
	s_and_saveexec_b32 s3, vcc_lo
	s_cbranch_execz .LBB258_7
; %bb.6:
	s_waitcnt lgkmcnt(0)
	v_add_f32_e32 v0, v6, v7
	v_mov_b32_e32 v6, 0
	global_store_dword v6, v0, s[0:1]
.LBB258_7:
	s_or_b32 exec_lo, exec_lo, s3
	ds_bpermute_b32 v0, v1, v9
	s_waitcnt lgkmcnt(0)
	v_add_f32_e32 v0, v9, v0
	ds_bpermute_b32 v6, v2, v0
	s_waitcnt lgkmcnt(0)
	v_add_f32_e32 v0, v0, v6
	;; [unrolled: 3-line block ×4, first 2 shown]
	ds_bpermute_b32 v6, v5, v0
	s_and_saveexec_b32 s4, vcc_lo
	s_cbranch_execz .LBB258_9
; %bb.8:
	s_mov_b32 s3, 0
	s_waitcnt lgkmcnt(0)
	v_add_f32_e32 v0, v0, v6
	s_lshl_b64 s[6:7], s[2:3], 2
	v_mov_b32_e32 v6, 0
	s_add_u32 s6, s0, s6
	s_addc_u32 s7, s1, s7
	global_store_dword v6, v0, s[6:7]
.LBB258_9:
	s_or_b32 exec_lo, exec_lo, s4
	ds_bpermute_b32 v0, v1, v8
	s_waitcnt lgkmcnt(0)
	v_add_f32_e32 v0, v8, v0
	ds_bpermute_b32 v1, v2, v0
	s_waitcnt lgkmcnt(0)
	v_add_f32_e32 v0, v0, v1
	;; [unrolled: 3-line block ×4, first 2 shown]
	ds_bpermute_b32 v1, v5, v0
	s_and_b32 exec_lo, exec_lo, vcc_lo
	s_cbranch_execz .LBB258_11
; %bb.10:
	s_lshl_b32 s2, s2, 1
	s_mov_b32 s3, 0
	s_waitcnt lgkmcnt(0)
	v_add_f32_e32 v0, v0, v1
	s_lshl_b64 s[2:3], s[2:3], 2
	v_mov_b32_e32 v1, 0
	s_add_u32 s0, s0, s2
	s_addc_u32 s1, s1, s3
	global_store_dword v1, v0, s[0:1]
.LBB258_11:
	s_endpgm
	.section	.rodata,"a",@progbits
	.p2align	6, 0x0
	.amdhsa_kernel _ZL13mul_mat_vec_qIL9ggml_type21ELi3ELb0ELb0EEvPKvS2_PKi31ggml_cuda_mm_fusion_args_devicePfj15HIP_vector_typeIjLj3EEjjjS8_jjjS8_jjjj
		.amdhsa_group_segment_fixed_size 0
		.amdhsa_private_segment_fixed_size 0
		.amdhsa_kernarg_size 144
		.amdhsa_user_sgpr_count 6
		.amdhsa_user_sgpr_private_segment_buffer 1
		.amdhsa_user_sgpr_dispatch_ptr 0
		.amdhsa_user_sgpr_queue_ptr 0
		.amdhsa_user_sgpr_kernarg_segment_ptr 1
		.amdhsa_user_sgpr_dispatch_id 0
		.amdhsa_user_sgpr_flat_scratch_init 0
		.amdhsa_user_sgpr_private_segment_size 0
		.amdhsa_wavefront_size32 1
		.amdhsa_uses_dynamic_stack 0
		.amdhsa_system_sgpr_private_segment_wavefront_offset 0
		.amdhsa_system_sgpr_workgroup_id_x 1
		.amdhsa_system_sgpr_workgroup_id_y 1
		.amdhsa_system_sgpr_workgroup_id_z 1
		.amdhsa_system_sgpr_workgroup_info 0
		.amdhsa_system_vgpr_workitem_id 1
		.amdhsa_next_free_vgpr 41
		.amdhsa_next_free_sgpr 28
		.amdhsa_reserve_vcc 1
		.amdhsa_reserve_flat_scratch 0
		.amdhsa_float_round_mode_32 0
		.amdhsa_float_round_mode_16_64 0
		.amdhsa_float_denorm_mode_32 3
		.amdhsa_float_denorm_mode_16_64 3
		.amdhsa_dx10_clamp 1
		.amdhsa_ieee_mode 1
		.amdhsa_fp16_overflow 0
		.amdhsa_workgroup_processor_mode 1
		.amdhsa_memory_ordered 1
		.amdhsa_forward_progress 1
		.amdhsa_shared_vgpr_count 0
		.amdhsa_exception_fp_ieee_invalid_op 0
		.amdhsa_exception_fp_denorm_src 0
		.amdhsa_exception_fp_ieee_div_zero 0
		.amdhsa_exception_fp_ieee_overflow 0
		.amdhsa_exception_fp_ieee_underflow 0
		.amdhsa_exception_fp_ieee_inexact 0
		.amdhsa_exception_int_div_zero 0
	.end_amdhsa_kernel
	.section	.text._ZL13mul_mat_vec_qIL9ggml_type21ELi3ELb0ELb0EEvPKvS2_PKi31ggml_cuda_mm_fusion_args_devicePfj15HIP_vector_typeIjLj3EEjjjS8_jjjS8_jjjj,"axG",@progbits,_ZL13mul_mat_vec_qIL9ggml_type21ELi3ELb0ELb0EEvPKvS2_PKi31ggml_cuda_mm_fusion_args_devicePfj15HIP_vector_typeIjLj3EEjjjS8_jjjS8_jjjj,comdat
.Lfunc_end258:
	.size	_ZL13mul_mat_vec_qIL9ggml_type21ELi3ELb0ELb0EEvPKvS2_PKi31ggml_cuda_mm_fusion_args_devicePfj15HIP_vector_typeIjLj3EEjjjS8_jjjS8_jjjj, .Lfunc_end258-_ZL13mul_mat_vec_qIL9ggml_type21ELi3ELb0ELb0EEvPKvS2_PKi31ggml_cuda_mm_fusion_args_devicePfj15HIP_vector_typeIjLj3EEjjjS8_jjjS8_jjjj
                                        ; -- End function
	.set _ZL13mul_mat_vec_qIL9ggml_type21ELi3ELb0ELb0EEvPKvS2_PKi31ggml_cuda_mm_fusion_args_devicePfj15HIP_vector_typeIjLj3EEjjjS8_jjjS8_jjjj.num_vgpr, 41
	.set _ZL13mul_mat_vec_qIL9ggml_type21ELi3ELb0ELb0EEvPKvS2_PKi31ggml_cuda_mm_fusion_args_devicePfj15HIP_vector_typeIjLj3EEjjjS8_jjjS8_jjjj.num_agpr, 0
	.set _ZL13mul_mat_vec_qIL9ggml_type21ELi3ELb0ELb0EEvPKvS2_PKi31ggml_cuda_mm_fusion_args_devicePfj15HIP_vector_typeIjLj3EEjjjS8_jjjS8_jjjj.numbered_sgpr, 28
	.set _ZL13mul_mat_vec_qIL9ggml_type21ELi3ELb0ELb0EEvPKvS2_PKi31ggml_cuda_mm_fusion_args_devicePfj15HIP_vector_typeIjLj3EEjjjS8_jjjS8_jjjj.num_named_barrier, 0
	.set _ZL13mul_mat_vec_qIL9ggml_type21ELi3ELb0ELb0EEvPKvS2_PKi31ggml_cuda_mm_fusion_args_devicePfj15HIP_vector_typeIjLj3EEjjjS8_jjjS8_jjjj.private_seg_size, 0
	.set _ZL13mul_mat_vec_qIL9ggml_type21ELi3ELb0ELb0EEvPKvS2_PKi31ggml_cuda_mm_fusion_args_devicePfj15HIP_vector_typeIjLj3EEjjjS8_jjjS8_jjjj.uses_vcc, 1
	.set _ZL13mul_mat_vec_qIL9ggml_type21ELi3ELb0ELb0EEvPKvS2_PKi31ggml_cuda_mm_fusion_args_devicePfj15HIP_vector_typeIjLj3EEjjjS8_jjjS8_jjjj.uses_flat_scratch, 0
	.set _ZL13mul_mat_vec_qIL9ggml_type21ELi3ELb0ELb0EEvPKvS2_PKi31ggml_cuda_mm_fusion_args_devicePfj15HIP_vector_typeIjLj3EEjjjS8_jjjS8_jjjj.has_dyn_sized_stack, 0
	.set _ZL13mul_mat_vec_qIL9ggml_type21ELi3ELb0ELb0EEvPKvS2_PKi31ggml_cuda_mm_fusion_args_devicePfj15HIP_vector_typeIjLj3EEjjjS8_jjjS8_jjjj.has_recursion, 0
	.set _ZL13mul_mat_vec_qIL9ggml_type21ELi3ELb0ELb0EEvPKvS2_PKi31ggml_cuda_mm_fusion_args_devicePfj15HIP_vector_typeIjLj3EEjjjS8_jjjS8_jjjj.has_indirect_call, 0
	.section	.AMDGPU.csdata,"",@progbits
; Kernel info:
; codeLenInByte = 3616
; TotalNumSgprs: 30
; NumVgprs: 41
; ScratchSize: 0
; MemoryBound: 0
; FloatMode: 240
; IeeeMode: 1
; LDSByteSize: 0 bytes/workgroup (compile time only)
; SGPRBlocks: 0
; VGPRBlocks: 5
; NumSGPRsForWavesPerEU: 30
; NumVGPRsForWavesPerEU: 41
; Occupancy: 16
; WaveLimiterHint : 0
; COMPUTE_PGM_RSRC2:SCRATCH_EN: 0
; COMPUTE_PGM_RSRC2:USER_SGPR: 6
; COMPUTE_PGM_RSRC2:TRAP_HANDLER: 0
; COMPUTE_PGM_RSRC2:TGID_X_EN: 1
; COMPUTE_PGM_RSRC2:TGID_Y_EN: 1
; COMPUTE_PGM_RSRC2:TGID_Z_EN: 1
; COMPUTE_PGM_RSRC2:TIDIG_COMP_CNT: 1
	.section	.text._ZL13mul_mat_vec_qIL9ggml_type21ELi4ELb0ELb0EEvPKvS2_PKi31ggml_cuda_mm_fusion_args_devicePfj15HIP_vector_typeIjLj3EEjjjS8_jjjS8_jjjj,"axG",@progbits,_ZL13mul_mat_vec_qIL9ggml_type21ELi4ELb0ELb0EEvPKvS2_PKi31ggml_cuda_mm_fusion_args_devicePfj15HIP_vector_typeIjLj3EEjjjS8_jjjS8_jjjj,comdat
	.globl	_ZL13mul_mat_vec_qIL9ggml_type21ELi4ELb0ELb0EEvPKvS2_PKi31ggml_cuda_mm_fusion_args_devicePfj15HIP_vector_typeIjLj3EEjjjS8_jjjS8_jjjj ; -- Begin function _ZL13mul_mat_vec_qIL9ggml_type21ELi4ELb0ELb0EEvPKvS2_PKi31ggml_cuda_mm_fusion_args_devicePfj15HIP_vector_typeIjLj3EEjjjS8_jjjS8_jjjj
	.p2align	8
	.type	_ZL13mul_mat_vec_qIL9ggml_type21ELi4ELb0ELb0EEvPKvS2_PKi31ggml_cuda_mm_fusion_args_devicePfj15HIP_vector_typeIjLj3EEjjjS8_jjjS8_jjjj,@function
_ZL13mul_mat_vec_qIL9ggml_type21ELi4ELb0ELb0EEvPKvS2_PKi31ggml_cuda_mm_fusion_args_devicePfj15HIP_vector_typeIjLj3EEjjjS8_jjjS8_jjjj: ; @_ZL13mul_mat_vec_qIL9ggml_type21ELi4ELb0ELb0EEvPKvS2_PKi31ggml_cuda_mm_fusion_args_devicePfj15HIP_vector_typeIjLj3EEjjjS8_jjjS8_jjjj
; %bb.0:
	s_clause 0x5
	s_load_dword s9, s[4:5], 0x40
	s_load_dwordx4 s[0:3], s[4:5], 0x50
	s_load_dword s11, s[4:5], 0x60
	s_load_dwordx4 s[12:15], s[4:5], 0x68
	;; [unrolled: 2-line block ×3, first 2 shown]
	v_lshl_or_b32 v2, v1, 5, v0
	v_mov_b32_e32 v7, 0
	v_mov_b32_e32 v8, 0
	;; [unrolled: 1-line block ×4, first 2 shown]
	v_lshrrev_b32_e32 v10, 3, v2
	s_waitcnt lgkmcnt(0)
	s_lshr_b32 s10, s9, 8
	s_mov_b32 s9, exec_lo
	v_cmpx_gt_u32_e64 s10, v10
	s_cbranch_execz .LBB259_4
; %bb.1:
	s_mul_i32 s13, s13, s7
	s_load_dwordx4 s[20:23], s[4:5], 0x0
	s_mul_hi_u32 s27, s13, 36
	s_mul_i32 s26, s13, 36
	s_mul_i32 s17, s17, s8
	v_mad_u64_u32 v[2:3], null, 0x120, v10, s[26:27]
	v_and_b32_e32 v12, 7, v0
	v_lshlrev_b32_e32 v4, 1, v0
	s_mul_hi_u32 s3, s3, s7
	s_mul_hi_u32 s15, s15, s8
	v_lshlrev_b32_e32 v6, 3, v10
	s_add_i32 s3, s7, s3
	v_mad_u64_u32 v[2:3], null, s17, 36, v[2:3]
	s_add_i32 s15, s8, s15
	s_mul_i32 s25, s17, 36
	s_lshr_b32 s3, s3, s11
	v_and_b32_e32 v9, 14, v4
	s_mul_hi_u32 s19, s17, 36
	s_lshr_b32 s11, s15, s24
	v_mad_u64_u32 v[7:8], null, v12, 36, v[2:3]
	s_mul_i32 s3, s3, s12
	s_waitcnt lgkmcnt(0)
	s_add_u32 s12, s22, s25
	v_bfe_u32 v14, v4, 2, 2
	s_addc_u32 s13, s23, s19
	s_add_u32 s12, s12, s26
	s_addc_u32 s13, s13, s27
	v_mad_u64_u32 v[4:5], null, s1, 3, v[6:7]
	v_add_co_u32 v5, vcc_lo, s22, v7
	v_lshlrev_b32_e32 v11, 1, v9
	v_add_co_ci_u32_e64 v7, null, s23, v8, vcc_lo
	v_mad_u64_u32 v[2:3], null, v12, 36, s[12:13]
	v_add_co_u32 v5, vcc_lo, v5, 16
	s_mul_i32 s0, s0, s6
	v_mov_b32_e32 v13, 0
	v_and_b32_e32 v15, 4, v11
	v_add_nc_u32_e32 v16, s1, v6
	v_lshl_add_u32 v17, s1, 1, v6
	v_add_co_ci_u32_e64 v6, null, 0, v7, vcc_lo
	v_lshlrev_b32_e32 v18, 1, v11
	v_lshlrev_b32_e32 v19, 1, v9
	v_mov_b32_e32 v11, 0
	v_mov_b32_e32 v9, 0
	;; [unrolled: 1-line block ×4, first 2 shown]
	s_mul_i32 s11, s11, s16
	s_add_i32 s3, s3, s0
	s_add_i32 s11, s11, s3
	s_mov_b32 s3, 0
.LBB259_2:                              ; =>This Inner Loop Header: Depth=1
	v_add_nc_u32_e32 v20, s11, v10
	s_getpc_b64 s[0:1]
	s_add_u32 s0, s0, _ZL9iq3s_grid@rel32@lo+4
	s_addc_u32 s1, s1, _ZL9iq3s_grid@rel32@hi+12
	v_mov_b32_e32 v42, 0
	v_mov_b32_e32 v43, 0
	;; [unrolled: 1-line block ×3, first 2 shown]
	v_mad_i64_i32 v[30:31], null, 0x6e, v20, s[20:21]
	v_add_nc_u32_e32 v10, 4, v10
	v_add_co_u32 v20, vcc_lo, v30, v18
	v_add_co_ci_u32_e64 v21, null, 0, v31, vcc_lo
	global_load_dwordx2 v[25:26], v[20:21], off offset:2
	v_add_co_u32 v20, vcc_lo, v30, v12
	v_add_co_ci_u32_e64 v21, null, 0, v31, vcc_lo
	global_load_ubyte v27, v[20:21], off offset:66
	v_add_co_u32 v20, vcc_lo, v30, v19
	v_add_co_ci_u32_e64 v21, null, 0, v31, vcc_lo
	global_load_dword v28, v[20:21], off offset:74
	s_waitcnt vmcnt(2)
	v_and_b32_e32 v20, 0xff, v25
	s_waitcnt vmcnt(1)
	v_lshlrev_b32_e32 v21, 8, v27
	v_lshlrev_b32_e32 v22, 7, v27
	v_and_or_b32 v20, 0x100, v21, v20
	v_bfe_u32 v21, v25, 8, 8
	s_waitcnt vmcnt(0)
	v_lshlrev_b32_e32 v23, 21, v28
	v_lshrrev_b32_e32 v24, 16, v28
	v_lshlrev_b32_e32 v20, 2, v20
	v_and_or_b32 v21, 0x100, v22, v21
	v_and_b32_e32 v22, 0xff, v28
	global_load_dword v20, v20, s[0:1]
	v_lshlrev_b32_e32 v21, 2, v21
	v_lshl_or_b32 v23, v22, 7, v23
	global_load_dword v21, v21, s[0:1]
	v_and_b32_e32 v29, 0x1800180, v23
	v_bfe_u32 v23, v23, 24, 1
	v_cmp_ne_u16_sdwa s12, v29, v13 src0_sel:BYTE_1 src1_sel:DWORD
	v_cmp_ne_u16_e32 vcc_lo, 0, v23
	v_lshrrev_b16 v23, 7, v29
	v_lshrrev_b32_e32 v29, 2, v28
	v_cndmask_b32_e64 v32, 0, -1, s12
	v_cndmask_b32_e64 v34, 0, -1, vcc_lo
	v_bfe_i32 v23, v23, 0, 1
	v_bfe_i32 v29, v29, 0, 1
	v_lshlrev_b16 v32, 8, v32
	v_lshlrev_b16 v34, 8, v34
	v_or_b32_sdwa v33, v23, v32 dst_sel:DWORD dst_unused:UNUSED_PAD src0_sel:BYTE_0 src1_sel:DWORD
	v_or_b32_sdwa v35, v29, v34 dst_sel:WORD_1 dst_unused:UNUSED_PAD src0_sel:BYTE_0 src1_sel:DWORD
	v_lshlrev_b16 v23, 8, v23
	v_lshlrev_b16 v29, 8, v29
	v_or_b32_sdwa v33, v33, v35 dst_sel:DWORD dst_unused:UNUSED_PAD src0_sel:WORD_0 src1_sel:DWORD
	v_lshlrev_b32_e32 v35, 17, v28
	v_lshl_or_b32 v22, v22, 3, v35
	v_and_b32_e32 v35, 0x1800180, v22
	v_bfe_u32 v22, v22, 24, 1
	v_cmp_ne_u16_sdwa s12, v35, v13 src0_sel:BYTE_1 src1_sel:DWORD
	v_cmp_ne_u16_e32 vcc_lo, 0, v22
	v_lshrrev_b16 v22, 7, v35
	v_lshrrev_b32_e32 v35, 6, v28
	v_cndmask_b32_e64 v36, 0, -1, s12
	v_cndmask_b32_e64 v38, 0, -1, vcc_lo
	v_bfe_i32 v22, v22, 0, 1
	v_bfe_i32 v35, v35, 0, 1
	v_lshlrev_b16 v36, 8, v36
	v_lshlrev_b16 v38, 8, v38
	v_or_b32_sdwa v37, v22, v36 dst_sel:DWORD dst_unused:UNUSED_PAD src0_sel:BYTE_0 src1_sel:DWORD
	v_or_b32_sdwa v39, v35, v38 dst_sel:WORD_1 dst_unused:UNUSED_PAD src0_sel:BYTE_0 src1_sel:DWORD
	v_lshlrev_b16 v22, 8, v22
	v_or_b32_sdwa v37, v37, v39 dst_sel:DWORD dst_unused:UNUSED_PAD src0_sel:WORD_0 src1_sel:DWORD
	s_waitcnt vmcnt(1)
	v_xor_b32_e32 v20, v20, v33
	v_lshrrev_b32_e32 v33, 16, v20
	v_and_b32_e32 v39, 0xffffff00, v20
	v_lshlrev_b16 v20, 8, v20
	s_waitcnt vmcnt(0)
	v_xor_b32_e32 v21, v21, v37
	v_lshrrev_b32_e32 v37, 14, v28
	v_sub_nc_i16 v32, v39, v32 clamp
	v_sub_nc_i16 v20, v20, v23 clamp
	v_and_b32_e32 v23, 0xffffff00, v33
	v_bfe_i32 v37, v37, 0, 1
	v_perm_b32 v20, v20, v32, 0xc0c0105
	v_lshlrev_b16 v32, 8, v33
	v_sub_nc_i16 v23, v23, v34 clamp
	v_sub_nc_i16 v29, v32, v29 clamp
	v_lshrrev_b32_e32 v32, 10, v28
	v_perm_b32 v23, v29, v23, 0xc0c0105
	v_and_b32_e32 v29, 0xffffff00, v21
	v_bfe_i32 v32, v32, 0, 1
	v_lshl_or_b32 v20, v23, 16, v20
	v_lshrrev_b32_e32 v23, 16, v21
	v_lshlrev_b16 v21, 8, v21
	v_sub_nc_i16 v29, v29, v36 clamp
	v_lshrrev_b32_e32 v36, 15, v28
	v_sub_nc_i16 v21, v21, v22 clamp
	v_and_b32_e32 v22, 0xffffff00, v23
	v_lshlrev_b16 v23, 8, v23
	v_bfe_i32 v36, v36, 0, 1
	v_perm_b32 v21, v21, v29, 0xc0c0105
	v_lshlrev_b16 v29, 8, v35
	v_sub_nc_i16 v22, v22, v38 clamp
	v_lshlrev_b16 v36, 8, v36
	v_sub_nc_i16 v23, v23, v29 clamp
	v_lshrrev_b32_e32 v29, 11, v28
	v_or_b32_sdwa v40, v37, v36 dst_sel:WORD_1 dst_unused:UNUSED_PAD src0_sel:BYTE_0 src1_sel:DWORD
	v_perm_b32 v22, v23, v22, 0xc0c0105
	v_lshlrev_b32_e32 v23, 6, v27
	v_bfe_i32 v29, v29, 0, 1
	v_lshl_or_b32 v21, v22, 16, v21
	v_bfe_u32 v22, v25, 16, 8
	v_lshlrev_b16 v29, 8, v29
	v_and_or_b32 v22, 0x100, v23, v22
	v_lshrrev_b32_e32 v23, 24, v25
	v_lshlrev_b32_e32 v25, 5, v27
	v_or_b32_sdwa v35, v32, v29 dst_sel:WORD_1 dst_unused:UNUSED_PAD src0_sel:BYTE_0 src1_sel:DWORD
	v_lshlrev_b16 v32, 8, v32
	v_lshlrev_b32_e32 v22, 2, v22
	v_and_or_b32 v23, 0x100, v25, v23
	v_lshrrev_b32_e32 v25, 1, v28
	global_load_dword v22, v22, s[0:1]
	v_lshlrev_b32_e32 v23, 2, v23
	v_and_b32_e32 v25, 0x180, v25
	global_load_dword v23, v23, s[0:1]
	v_cmp_ne_u16_sdwa s12, v25, v13 src0_sel:BYTE_1 src1_sel:DWORD
	v_lshrrev_b16 v25, 7, v25
	v_cndmask_b32_e64 v33, 0, -1, s12
	v_bfe_i32 v25, v25, 0, 1
	v_lshlrev_b16 v33, 8, v33
	v_or_b32_sdwa v34, v25, v33 dst_sel:DWORD dst_unused:UNUSED_PAD src0_sel:BYTE_0 src1_sel:DWORD
	v_lshlrev_b16 v25, 8, v25
	v_or_b32_sdwa v34, v34, v35 dst_sel:DWORD dst_unused:UNUSED_PAD src0_sel:WORD_0 src1_sel:DWORD
	v_lshrrev_b32_e32 v35, 5, v28
	v_and_b32_e32 v35, 0x180, v35
	v_cmp_ne_u16_sdwa s12, v35, v13 src0_sel:BYTE_1 src1_sel:DWORD
	v_lshrrev_b16 v35, 7, v35
	v_cndmask_b32_e64 v38, 0, -1, s12
	v_bfe_i32 v35, v35, 0, 1
	v_lshlrev_b16 v38, 8, v38
	v_or_b32_sdwa v39, v35, v38 dst_sel:DWORD dst_unused:UNUSED_PAD src0_sel:BYTE_0 src1_sel:DWORD
	v_or_b32_sdwa v39, v39, v40 dst_sel:DWORD dst_unused:UNUSED_PAD src0_sel:WORD_0 src1_sel:DWORD
	s_waitcnt vmcnt(1)
	v_xor_b32_e32 v22, v22, v34
	v_lshrrev_b32_e32 v34, 16, v22
	v_and_b32_e32 v40, 0xffffff00, v22
	v_lshlrev_b16 v22, 8, v22
	s_waitcnt vmcnt(0)
	v_xor_b32_e32 v23, v23, v39
	v_sub_nc_i16 v33, v40, v33 clamp
	v_sub_nc_i16 v22, v22, v25 clamp
	v_and_b32_e32 v25, 0xffffff00, v34
	v_perm_b32 v22, v22, v33, 0xc0c0105
	v_sub_nc_i16 v25, v25, v29 clamp
	v_lshlrev_b16 v29, 8, v34
	v_sub_nc_i16 v29, v29, v32 clamp
	v_lshlrev_b16 v32, 8, v35
	v_perm_b32 v25, v29, v25, 0xc0c0105
	v_and_b32_e32 v29, 0xffffff00, v23
	v_lshl_or_b32 v22, v25, 16, v22
	v_lshrrev_b32_e32 v25, 16, v23
	v_lshlrev_b16 v23, 8, v23
	v_sub_nc_i16 v29, v29, v38 clamp
	v_sub_nc_i16 v23, v23, v32 clamp
	v_lshlrev_b16 v32, 8, v37
	v_perm_b32 v23, v23, v29, 0xc0c0105
	v_and_b32_e32 v29, 0xffffff00, v25
	v_lshlrev_b16 v25, 8, v25
	v_sub_nc_i16 v29, v29, v36 clamp
	v_sub_nc_i16 v25, v25, v32 clamp
	v_lshlrev_b32_e32 v32, 3, v27
	v_perm_b32 v25, v25, v29, 0xc0c0105
	v_lshlrev_b32_e32 v29, 4, v27
	v_lshl_or_b32 v23, v25, 16, v23
	v_and_b32_e32 v25, 0xff, v26
	v_and_or_b32 v25, 0x100, v29, v25
	v_bfe_u32 v29, v26, 8, 8
	v_lshlrev_b32_e32 v25, 2, v25
	v_and_or_b32 v29, 0x100, v32, v29
	v_lshrrev_b32_e32 v32, 9, v28
	global_load_dword v25, v25, s[0:1]
	v_lshlrev_b32_e32 v29, 2, v29
	v_lshl_or_b32 v32, v24, 21, v32
	global_load_dword v29, v29, s[0:1]
	v_and_b32_e32 v33, 0x1800180, v32
	v_bfe_u32 v32, v32, 24, 1
	v_cmp_ne_u16_sdwa s12, v33, v13 src0_sel:BYTE_1 src1_sel:DWORD
	v_cmp_ne_u16_e32 vcc_lo, 0, v32
	v_lshrrev_b16 v32, 7, v33
	v_lshrrev_b32_e32 v33, 18, v28
	v_cndmask_b32_e64 v34, 0, -1, s12
	v_cndmask_b32_e64 v36, 0, -1, vcc_lo
	v_bfe_i32 v32, v32, 0, 1
	v_bfe_i32 v33, v33, 0, 1
	v_lshlrev_b16 v34, 8, v34
	v_lshlrev_b16 v36, 8, v36
	v_or_b32_sdwa v35, v32, v34 dst_sel:DWORD dst_unused:UNUSED_PAD src0_sel:BYTE_0 src1_sel:DWORD
	v_or_b32_sdwa v37, v33, v36 dst_sel:WORD_1 dst_unused:UNUSED_PAD src0_sel:BYTE_0 src1_sel:DWORD
	v_lshlrev_b16 v32, 8, v32
	v_lshlrev_b16 v33, 8, v33
	v_or_b32_sdwa v35, v35, v37 dst_sel:DWORD dst_unused:UNUSED_PAD src0_sel:WORD_0 src1_sel:DWORD
	v_lshrrev_b32_e32 v37, 13, v28
	v_lshl_or_b32 v24, v24, 17, v37
	v_and_b32_e32 v37, 0x1800180, v24
	v_bfe_u32 v24, v24, 24, 1
	v_cmp_ne_u16_sdwa s12, v37, v13 src0_sel:BYTE_1 src1_sel:DWORD
	v_cmp_ne_u16_e32 vcc_lo, 0, v24
	v_lshrrev_b16 v24, 7, v37
	v_lshrrev_b32_e32 v37, 22, v28
	v_cndmask_b32_e64 v40, 0, -1, vcc_lo
	v_bfe_i32 v38, v24, 0, 1
	v_cndmask_b32_e64 v24, 0, -1, s12
	v_bfe_i32 v37, v37, 0, 1
	v_lshlrev_b16 v40, 8, v40
	v_lshlrev_b16 v39, 8, v24
	v_or_b32_sdwa v41, v37, v40 dst_sel:WORD_1 dst_unused:UNUSED_PAD src0_sel:BYTE_0 src1_sel:DWORD
	v_or_b32_sdwa v24, v38, v39 dst_sel:DWORD dst_unused:UNUSED_PAD src0_sel:BYTE_0 src1_sel:DWORD
	v_or_b32_sdwa v41, v24, v41 dst_sel:DWORD dst_unused:UNUSED_PAD src0_sel:WORD_0 src1_sel:DWORD
	s_waitcnt vmcnt(1)
	v_xor_b32_e32 v24, v25, v35
	v_lshrrev_b32_e32 v25, 16, v24
	v_and_b32_e32 v35, 0xffffff00, v24
	v_lshlrev_b16 v24, 8, v24
	v_sub_nc_i16 v34, v35, v34 clamp
	v_sub_nc_i16 v24, v24, v32 clamp
	v_and_b32_e32 v32, 0xffffff00, v25
	v_lshlrev_b16 v25, 8, v25
	v_perm_b32 v24, v24, v34, 0xc0c0105
	v_sub_nc_i16 v32, v32, v36 clamp
	v_sub_nc_i16 v25, v25, v33 clamp
	v_lshlrev_b16 v33, 8, v38
	v_lshrrev_b32_e32 v38, 31, v28
	v_perm_b32 v25, v25, v32, 0xc0c0105
	v_lshl_or_b32 v24, v25, 16, v24
	s_waitcnt vmcnt(0)
	v_xor_b32_e32 v25, v29, v41
	v_mov_b32_e32 v41, 0
	v_lshrrev_b32_e32 v29, 16, v25
	v_and_b32_e32 v32, 0xffffff00, v25
	v_lshlrev_b16 v25, 8, v25
	v_sub_nc_i16 v32, v32, v39 clamp
	v_sub_nc_i16 v25, v25, v33 clamp
	v_lshlrev_b16 v33, 8, v37
	v_perm_b32 v25, v25, v32, 0xc0c0105
	v_and_b32_e32 v32, 0xffffff00, v29
	v_lshlrev_b16 v29, 8, v29
	v_sub_nc_i16 v32, v32, v40 clamp
	v_sub_nc_i16 v29, v29, v33 clamp
	v_perm_b32 v29, v29, v32, 0xc0c0105
	v_lshlrev_b32_e32 v32, 2, v27
	v_lshlrev_b32_e32 v27, 1, v27
	v_lshl_or_b32 v25, v29, 16, v25
	v_bfe_u32 v29, v26, 16, 8
	v_lshrrev_b32_e32 v26, 24, v26
	v_and_or_b32 v29, 0x100, v32, v29
	v_and_or_b32 v26, 0x100, v27, v26
	v_lshrrev_b32_e32 v27, 17, v28
	v_lshrrev_b32_e32 v32, 24, v28
	v_lshlrev_b32_e32 v29, 2, v29
	v_lshlrev_b32_e32 v26, 2, v26
	v_lshl_or_b32 v27, v32, 21, v27
	s_clause 0x1
	global_load_dword v29, v29, s[0:1]
	global_load_dword v26, v26, s[0:1]
	v_and_b32_e32 v32, 0x1800180, v27
	v_bfe_u32 v27, v27, 24, 1
	v_cmp_ne_u16_sdwa s0, v32, v13 src0_sel:BYTE_1 src1_sel:DWORD
	v_cmp_ne_u16_e32 vcc_lo, 0, v27
	v_lshrrev_b16 v27, 7, v32
	v_lshrrev_b32_e32 v32, 26, v28
	v_cndmask_b32_e64 v33, 0, -1, s0
	v_cndmask_b32_e64 v35, 0, -1, vcc_lo
	v_bfe_i32 v27, v27, 0, 1
	v_bfe_i32 v32, v32, 0, 1
	v_cmp_ne_u16_e32 vcc_lo, 0, v38
	v_lshlrev_b16 v33, 8, v33
	v_lshlrev_b16 v35, 8, v35
	v_cndmask_b32_e64 v39, 0, -1, vcc_lo
	v_or_b32_sdwa v34, v27, v33 dst_sel:DWORD dst_unused:UNUSED_PAD src0_sel:BYTE_0 src1_sel:DWORD
	v_or_b32_sdwa v36, v32, v35 dst_sel:WORD_1 dst_unused:UNUSED_PAD src0_sel:BYTE_0 src1_sel:DWORD
	v_lshlrev_b16 v27, 8, v27
	v_lshlrev_b16 v32, 8, v32
	;; [unrolled: 1-line block ×3, first 2 shown]
	v_or_b32_sdwa v34, v34, v36 dst_sel:DWORD dst_unused:UNUSED_PAD src0_sel:WORD_0 src1_sel:DWORD
	v_lshrrev_b32_e32 v36, 21, v28
	v_lshrrev_b32_e32 v28, 30, v28
	v_lshrrev_b16 v37, 8, v36
	v_lshrrev_b16 v36, 7, v36
	v_bfe_i32 v28, v28, 0, 1
	v_bfe_i32 v37, v37, 0, 1
	;; [unrolled: 1-line block ×3, first 2 shown]
	v_or_b32_sdwa v40, v28, v39 dst_sel:WORD_1 dst_unused:UNUSED_PAD src0_sel:BYTE_0 src1_sel:DWORD
	v_lshlrev_b16 v28, 8, v28
	v_lshlrev_b16 v37, 8, v37
	v_or_b32_sdwa v38, v36, v37 dst_sel:DWORD dst_unused:UNUSED_PAD src0_sel:BYTE_0 src1_sel:DWORD
	v_or_b32_sdwa v38, v38, v40 dst_sel:DWORD dst_unused:UNUSED_PAD src0_sel:WORD_0 src1_sel:DWORD
	s_waitcnt vmcnt(1)
	v_xor_b32_e32 v29, v29, v34
	s_waitcnt vmcnt(0)
	v_xor_b32_e32 v26, v26, v38
	v_lshrrev_b32_e32 v34, 16, v29
	v_and_b32_e32 v40, 0xffffff00, v29
	v_lshlrev_b16 v29, 8, v29
	v_sub_nc_i16 v33, v40, v33 clamp
	v_sub_nc_i16 v27, v29, v27 clamp
	v_and_b32_e32 v29, 0xffffff00, v34
	v_perm_b32 v27, v27, v33, 0xc0c0105
	v_lshlrev_b16 v33, 8, v34
	v_sub_nc_i16 v29, v29, v35 clamp
	v_sub_nc_i16 v32, v33, v32 clamp
	v_lshlrev_b16 v33, 8, v36
	v_perm_b32 v29, v32, v29, 0xc0c0105
	v_and_b32_e32 v32, 0xffffff00, v26
	v_lshl_or_b32 v27, v29, 16, v27
	v_lshrrev_b32_e32 v29, 16, v26
	v_lshlrev_b16 v26, 8, v26
	v_sub_nc_i16 v32, v32, v37 clamp
	v_sub_nc_i16 v26, v26, v33 clamp
	v_perm_b32 v26, v26, v32, 0xc0c0105
	v_and_b32_e32 v32, 0xffffff00, v29
	v_lshlrev_b16 v29, 8, v29
	v_sub_nc_i16 v32, v32, v39 clamp
	v_sub_nc_i16 v28, v29, v28 clamp
	v_perm_b32 v28, v28, v32, 0xc0c0105
	v_add_co_u32 v32, vcc_lo, v30, v14
	v_add_co_ci_u32_e64 v33, null, 0, v31, vcc_lo
	v_lshl_or_b32 v28, v28, 16, v26
	global_load_ubyte v26, v[32:33], off offset:106
	s_waitcnt vmcnt(0)
	v_lshrrev_b32_e32 v26, v15, v26
	v_lshlrev_b32_e32 v26, 1, v26
	v_and_or_b32 v29, v26, 30, 1
	global_load_ushort v26, v[30:31], off
	s_clause 0x2
	global_load_dwordx4 v[30:33], v[5:6], off offset:-16
	global_load_dword v38, v[5:6], off offset:16
	global_load_dwordx4 v[34:37], v[5:6], off
	v_add_co_u32 v5, vcc_lo, 0x480, v5
	v_add_co_ci_u32_e64 v6, null, 0, v6, vcc_lo
	v_cmp_le_u32_e32 vcc_lo, s10, v10
	s_or_b32 s3, vcc_lo, s3
	s_waitcnt vmcnt(2)
	v_dot4c_i32_i8 v41, v20, v31
	v_cvt_f32_f16_e32 v26, v26
	v_dot4c_i32_i8 v41, v21, v32
	v_dot4c_i32_i8 v41, v22, v33
	s_waitcnt vmcnt(0)
	v_dot4c_i32_i8 v41, v23, v34
	v_dot4c_i32_i8 v41, v24, v35
	v_dot4c_i32_i8 v41, v25, v36
	v_mad_u64_u32 v[35:36], null, v16, 36, v[2:3]
	v_add_nc_u32_e32 v16, 32, v16
	v_dot4c_i32_i8 v41, v27, v37
	v_dot4c_i32_i8 v41, v28, v38
	s_clause 0x2
	global_load_dwordx4 v[31:34], v[35:36], off
	global_load_dword v39, v[35:36], off offset:32
	global_load_dwordx4 v[35:38], v[35:36], off offset:16
	s_waitcnt vmcnt(2)
	v_dot4c_i32_i8 v42, v20, v32
	v_dot4c_i32_i8 v42, v21, v33
	v_dot4c_i32_i8 v42, v22, v34
	s_waitcnt vmcnt(0)
	v_dot4c_i32_i8 v42, v23, v35
	v_dot4c_i32_i8 v42, v24, v36
	v_dot4c_i32_i8 v42, v25, v37
	v_mad_u64_u32 v[36:37], null, v17, 36, v[2:3]
	v_add_nc_u32_e32 v17, 32, v17
	v_dot4c_i32_i8 v42, v27, v38
	v_dot4c_i32_i8 v42, v28, v39
	s_clause 0x2
	global_load_dwordx4 v[32:35], v[36:37], off
	global_load_dword v40, v[36:37], off offset:32
	global_load_dwordx4 v[36:39], v[36:37], off offset:16
	s_waitcnt vmcnt(2)
	v_dot4c_i32_i8 v43, v20, v33
	;; [unrolled: 16-line block ×3, first 2 shown]
	v_mul_lo_u32 v20, v41, v29
	v_dot4c_i32_i8 v45, v21, v35
	v_mul_lo_u32 v21, v42, v29
	v_cvt_f32_i32_e32 v20, v20
	v_dot4c_i32_i8 v45, v22, v36
	v_mul_lo_u32 v22, v43, v29
	v_cvt_f32_i32_e32 v21, v21
	s_waitcnt vmcnt(0)
	v_dot4c_i32_i8 v45, v23, v37
	v_cvt_f32_i32_e32 v22, v22
	v_dot4c_i32_i8 v45, v24, v38
	v_cvt_f32_f16_e32 v24, v31
	v_dot4c_i32_i8 v45, v25, v39
	v_cvt_f32_f16_e32 v25, v32
	v_mul_f32_e32 v24, v26, v24
	v_dot4c_i32_i8 v45, v27, v40
	v_cvt_f32_f16_e32 v27, v33
	v_mul_f32_e32 v25, v26, v25
	v_fmac_f32_e32 v9, v24, v21
	v_dot4c_i32_i8 v45, v28, v44
	v_cvt_f32_f16_e32 v28, v30
	v_mul_f32_e32 v27, v26, v27
	v_fmac_f32_e32 v8, v25, v22
	v_mul_lo_u32 v23, v45, v29
	v_mul_f32_e32 v26, v26, v28
	v_fmac_f32_e32 v11, v26, v20
	v_cvt_f32_i32_e32 v23, v23
	v_fmac_f32_e32 v7, v27, v23
	s_andn2_b32 exec_lo, exec_lo, s3
	s_cbranch_execnz .LBB259_2
; %bb.3:
	s_or_b32 exec_lo, exec_lo, s3
.LBB259_4:
	s_or_b32 exec_lo, exec_lo, s9
	s_mov_b32 s1, 0
	; wave barrier
	buffer_gl0_inv
	s_mov_b32 s0, exec_lo
	v_cmpx_eq_u32_e32 0, v1
	s_cbranch_execz .LBB259_13
; %bb.5:
	v_mbcnt_lo_u32_b32 v5, -1, 0
	s_load_dwordx2 s[4:5], s[4:5], 0x38
	s_mul_i32 s0, s14, s7
	s_mul_i32 s3, s18, s8
	s_add_i32 s0, s0, s6
	v_xor_b32_e32 v1, 16, v5
	v_xor_b32_e32 v2, 8, v5
	s_add_i32 s0, s0, s3
	s_lshl_b64 s[0:1], s[0:1], 2
	v_cmp_gt_i32_e32 vcc_lo, 32, v1
	v_cndmask_b32_e32 v1, v5, v1, vcc_lo
	v_cmp_gt_i32_e32 vcc_lo, 32, v2
	v_lshlrev_b32_e32 v1, 2, v1
	v_cndmask_b32_e32 v2, v5, v2, vcc_lo
	s_waitcnt lgkmcnt(0)
	s_add_u32 s0, s4, s0
	s_addc_u32 s1, s5, s1
	ds_bpermute_b32 v3, v1, v11
	v_lshlrev_b32_e32 v2, 2, v2
	s_waitcnt lgkmcnt(0)
	v_add_f32_e32 v4, v11, v3
	v_xor_b32_e32 v3, 4, v5
	v_xor_b32_e32 v11, 1, v5
	ds_bpermute_b32 v6, v2, v4
	v_cmp_gt_i32_e32 vcc_lo, 32, v3
	v_cndmask_b32_e32 v3, v5, v3, vcc_lo
	v_lshlrev_b32_e32 v3, 2, v3
	s_waitcnt lgkmcnt(0)
	v_add_f32_e32 v6, v4, v6
	v_xor_b32_e32 v4, 2, v5
	ds_bpermute_b32 v10, v3, v6
	v_cmp_gt_i32_e32 vcc_lo, 32, v4
	v_cndmask_b32_e32 v4, v5, v4, vcc_lo
	v_cmp_gt_i32_e32 vcc_lo, 32, v11
	v_lshlrev_b32_e32 v4, 2, v4
	v_cndmask_b32_e32 v5, v5, v11, vcc_lo
	v_cmp_eq_u32_e32 vcc_lo, 0, v0
	v_lshlrev_b32_e32 v5, 2, v5
	s_waitcnt lgkmcnt(0)
	v_add_f32_e32 v6, v6, v10
	ds_bpermute_b32 v10, v4, v6
	s_waitcnt lgkmcnt(0)
	v_add_f32_e32 v6, v6, v10
	ds_bpermute_b32 v10, v5, v6
	s_and_saveexec_b32 s3, vcc_lo
	s_cbranch_execz .LBB259_7
; %bb.6:
	s_waitcnt lgkmcnt(0)
	v_add_f32_e32 v0, v6, v10
	v_mov_b32_e32 v6, 0
	global_store_dword v6, v0, s[0:1]
.LBB259_7:
	s_or_b32 exec_lo, exec_lo, s3
	ds_bpermute_b32 v0, v1, v9
	s_waitcnt lgkmcnt(0)
	v_add_f32_e32 v0, v9, v0
	ds_bpermute_b32 v6, v2, v0
	s_waitcnt lgkmcnt(0)
	v_add_f32_e32 v0, v0, v6
	ds_bpermute_b32 v6, v3, v0
	s_waitcnt lgkmcnt(0)
	v_add_f32_e32 v0, v0, v6
	ds_bpermute_b32 v6, v4, v0
	s_waitcnt lgkmcnt(0)
	v_add_f32_e32 v0, v0, v6
	ds_bpermute_b32 v6, v5, v0
	s_and_saveexec_b32 s4, vcc_lo
	s_cbranch_execz .LBB259_9
; %bb.8:
	s_mov_b32 s3, 0
	s_waitcnt lgkmcnt(0)
	v_add_f32_e32 v0, v0, v6
	s_lshl_b64 s[6:7], s[2:3], 2
	v_mov_b32_e32 v6, 0
	s_add_u32 s6, s0, s6
	s_addc_u32 s7, s1, s7
	global_store_dword v6, v0, s[6:7]
.LBB259_9:
	s_or_b32 exec_lo, exec_lo, s4
	ds_bpermute_b32 v0, v1, v8
	s_waitcnt lgkmcnt(0)
	v_add_f32_e32 v0, v8, v0
	ds_bpermute_b32 v6, v2, v0
	s_waitcnt lgkmcnt(0)
	v_add_f32_e32 v0, v0, v6
	;; [unrolled: 3-line block ×4, first 2 shown]
	ds_bpermute_b32 v6, v5, v0
	s_and_saveexec_b32 s3, vcc_lo
	s_cbranch_execz .LBB259_11
; %bb.10:
	s_lshl_b32 s4, s2, 1
	s_mov_b32 s5, 0
	s_waitcnt lgkmcnt(0)
	v_add_f32_e32 v0, v0, v6
	s_lshl_b64 s[4:5], s[4:5], 2
	v_mov_b32_e32 v6, 0
	s_add_u32 s4, s0, s4
	s_addc_u32 s5, s1, s5
	global_store_dword v6, v0, s[4:5]
.LBB259_11:
	s_or_b32 exec_lo, exec_lo, s3
	ds_bpermute_b32 v0, v1, v7
	s_waitcnt lgkmcnt(0)
	v_add_f32_e32 v0, v7, v0
	ds_bpermute_b32 v1, v2, v0
	s_waitcnt lgkmcnt(0)
	v_add_f32_e32 v0, v0, v1
	;; [unrolled: 3-line block ×4, first 2 shown]
	ds_bpermute_b32 v1, v5, v0
	s_and_b32 exec_lo, exec_lo, vcc_lo
	s_cbranch_execz .LBB259_13
; %bb.12:
	s_mul_i32 s2, s2, 3
	s_mov_b32 s3, 0
	s_waitcnt lgkmcnt(0)
	v_add_f32_e32 v0, v0, v1
	s_lshl_b64 s[2:3], s[2:3], 2
	v_mov_b32_e32 v1, 0
	s_add_u32 s0, s0, s2
	s_addc_u32 s1, s1, s3
	global_store_dword v1, v0, s[0:1]
.LBB259_13:
	s_endpgm
	.section	.rodata,"a",@progbits
	.p2align	6, 0x0
	.amdhsa_kernel _ZL13mul_mat_vec_qIL9ggml_type21ELi4ELb0ELb0EEvPKvS2_PKi31ggml_cuda_mm_fusion_args_devicePfj15HIP_vector_typeIjLj3EEjjjS8_jjjS8_jjjj
		.amdhsa_group_segment_fixed_size 0
		.amdhsa_private_segment_fixed_size 0
		.amdhsa_kernarg_size 144
		.amdhsa_user_sgpr_count 6
		.amdhsa_user_sgpr_private_segment_buffer 1
		.amdhsa_user_sgpr_dispatch_ptr 0
		.amdhsa_user_sgpr_queue_ptr 0
		.amdhsa_user_sgpr_kernarg_segment_ptr 1
		.amdhsa_user_sgpr_dispatch_id 0
		.amdhsa_user_sgpr_flat_scratch_init 0
		.amdhsa_user_sgpr_private_segment_size 0
		.amdhsa_wavefront_size32 1
		.amdhsa_uses_dynamic_stack 0
		.amdhsa_system_sgpr_private_segment_wavefront_offset 0
		.amdhsa_system_sgpr_workgroup_id_x 1
		.amdhsa_system_sgpr_workgroup_id_y 1
		.amdhsa_system_sgpr_workgroup_id_z 1
		.amdhsa_system_sgpr_workgroup_info 0
		.amdhsa_system_vgpr_workitem_id 1
		.amdhsa_next_free_vgpr 46
		.amdhsa_next_free_sgpr 28
		.amdhsa_reserve_vcc 1
		.amdhsa_reserve_flat_scratch 0
		.amdhsa_float_round_mode_32 0
		.amdhsa_float_round_mode_16_64 0
		.amdhsa_float_denorm_mode_32 3
		.amdhsa_float_denorm_mode_16_64 3
		.amdhsa_dx10_clamp 1
		.amdhsa_ieee_mode 1
		.amdhsa_fp16_overflow 0
		.amdhsa_workgroup_processor_mode 1
		.amdhsa_memory_ordered 1
		.amdhsa_forward_progress 1
		.amdhsa_shared_vgpr_count 0
		.amdhsa_exception_fp_ieee_invalid_op 0
		.amdhsa_exception_fp_denorm_src 0
		.amdhsa_exception_fp_ieee_div_zero 0
		.amdhsa_exception_fp_ieee_overflow 0
		.amdhsa_exception_fp_ieee_underflow 0
		.amdhsa_exception_fp_ieee_inexact 0
		.amdhsa_exception_int_div_zero 0
	.end_amdhsa_kernel
	.section	.text._ZL13mul_mat_vec_qIL9ggml_type21ELi4ELb0ELb0EEvPKvS2_PKi31ggml_cuda_mm_fusion_args_devicePfj15HIP_vector_typeIjLj3EEjjjS8_jjjS8_jjjj,"axG",@progbits,_ZL13mul_mat_vec_qIL9ggml_type21ELi4ELb0ELb0EEvPKvS2_PKi31ggml_cuda_mm_fusion_args_devicePfj15HIP_vector_typeIjLj3EEjjjS8_jjjS8_jjjj,comdat
.Lfunc_end259:
	.size	_ZL13mul_mat_vec_qIL9ggml_type21ELi4ELb0ELb0EEvPKvS2_PKi31ggml_cuda_mm_fusion_args_devicePfj15HIP_vector_typeIjLj3EEjjjS8_jjjS8_jjjj, .Lfunc_end259-_ZL13mul_mat_vec_qIL9ggml_type21ELi4ELb0ELb0EEvPKvS2_PKi31ggml_cuda_mm_fusion_args_devicePfj15HIP_vector_typeIjLj3EEjjjS8_jjjS8_jjjj
                                        ; -- End function
	.set _ZL13mul_mat_vec_qIL9ggml_type21ELi4ELb0ELb0EEvPKvS2_PKi31ggml_cuda_mm_fusion_args_devicePfj15HIP_vector_typeIjLj3EEjjjS8_jjjS8_jjjj.num_vgpr, 46
	.set _ZL13mul_mat_vec_qIL9ggml_type21ELi4ELb0ELb0EEvPKvS2_PKi31ggml_cuda_mm_fusion_args_devicePfj15HIP_vector_typeIjLj3EEjjjS8_jjjS8_jjjj.num_agpr, 0
	.set _ZL13mul_mat_vec_qIL9ggml_type21ELi4ELb0ELb0EEvPKvS2_PKi31ggml_cuda_mm_fusion_args_devicePfj15HIP_vector_typeIjLj3EEjjjS8_jjjS8_jjjj.numbered_sgpr, 28
	.set _ZL13mul_mat_vec_qIL9ggml_type21ELi4ELb0ELb0EEvPKvS2_PKi31ggml_cuda_mm_fusion_args_devicePfj15HIP_vector_typeIjLj3EEjjjS8_jjjS8_jjjj.num_named_barrier, 0
	.set _ZL13mul_mat_vec_qIL9ggml_type21ELi4ELb0ELb0EEvPKvS2_PKi31ggml_cuda_mm_fusion_args_devicePfj15HIP_vector_typeIjLj3EEjjjS8_jjjS8_jjjj.private_seg_size, 0
	.set _ZL13mul_mat_vec_qIL9ggml_type21ELi4ELb0ELb0EEvPKvS2_PKi31ggml_cuda_mm_fusion_args_devicePfj15HIP_vector_typeIjLj3EEjjjS8_jjjS8_jjjj.uses_vcc, 1
	.set _ZL13mul_mat_vec_qIL9ggml_type21ELi4ELb0ELb0EEvPKvS2_PKi31ggml_cuda_mm_fusion_args_devicePfj15HIP_vector_typeIjLj3EEjjjS8_jjjS8_jjjj.uses_flat_scratch, 0
	.set _ZL13mul_mat_vec_qIL9ggml_type21ELi4ELb0ELb0EEvPKvS2_PKi31ggml_cuda_mm_fusion_args_devicePfj15HIP_vector_typeIjLj3EEjjjS8_jjjS8_jjjj.has_dyn_sized_stack, 0
	.set _ZL13mul_mat_vec_qIL9ggml_type21ELi4ELb0ELb0EEvPKvS2_PKi31ggml_cuda_mm_fusion_args_devicePfj15HIP_vector_typeIjLj3EEjjjS8_jjjS8_jjjj.has_recursion, 0
	.set _ZL13mul_mat_vec_qIL9ggml_type21ELi4ELb0ELb0EEvPKvS2_PKi31ggml_cuda_mm_fusion_args_devicePfj15HIP_vector_typeIjLj3EEjjjS8_jjjS8_jjjj.has_indirect_call, 0
	.section	.AMDGPU.csdata,"",@progbits
; Kernel info:
; codeLenInByte = 3856
; TotalNumSgprs: 30
; NumVgprs: 46
; ScratchSize: 0
; MemoryBound: 0
; FloatMode: 240
; IeeeMode: 1
; LDSByteSize: 0 bytes/workgroup (compile time only)
; SGPRBlocks: 0
; VGPRBlocks: 5
; NumSGPRsForWavesPerEU: 30
; NumVGPRsForWavesPerEU: 46
; Occupancy: 16
; WaveLimiterHint : 0
; COMPUTE_PGM_RSRC2:SCRATCH_EN: 0
; COMPUTE_PGM_RSRC2:USER_SGPR: 6
; COMPUTE_PGM_RSRC2:TRAP_HANDLER: 0
; COMPUTE_PGM_RSRC2:TGID_X_EN: 1
; COMPUTE_PGM_RSRC2:TGID_Y_EN: 1
; COMPUTE_PGM_RSRC2:TGID_Z_EN: 1
; COMPUTE_PGM_RSRC2:TIDIG_COMP_CNT: 1
	.section	.text._ZL13mul_mat_vec_qIL9ggml_type21ELi5ELb0ELb0EEvPKvS2_PKi31ggml_cuda_mm_fusion_args_devicePfj15HIP_vector_typeIjLj3EEjjjS8_jjjS8_jjjj,"axG",@progbits,_ZL13mul_mat_vec_qIL9ggml_type21ELi5ELb0ELb0EEvPKvS2_PKi31ggml_cuda_mm_fusion_args_devicePfj15HIP_vector_typeIjLj3EEjjjS8_jjjS8_jjjj,comdat
	.globl	_ZL13mul_mat_vec_qIL9ggml_type21ELi5ELb0ELb0EEvPKvS2_PKi31ggml_cuda_mm_fusion_args_devicePfj15HIP_vector_typeIjLj3EEjjjS8_jjjS8_jjjj ; -- Begin function _ZL13mul_mat_vec_qIL9ggml_type21ELi5ELb0ELb0EEvPKvS2_PKi31ggml_cuda_mm_fusion_args_devicePfj15HIP_vector_typeIjLj3EEjjjS8_jjjS8_jjjj
	.p2align	8
	.type	_ZL13mul_mat_vec_qIL9ggml_type21ELi5ELb0ELb0EEvPKvS2_PKi31ggml_cuda_mm_fusion_args_devicePfj15HIP_vector_typeIjLj3EEjjjS8_jjjS8_jjjj,@function
_ZL13mul_mat_vec_qIL9ggml_type21ELi5ELb0ELb0EEvPKvS2_PKi31ggml_cuda_mm_fusion_args_devicePfj15HIP_vector_typeIjLj3EEjjjS8_jjjS8_jjjj: ; @_ZL13mul_mat_vec_qIL9ggml_type21ELi5ELb0ELb0EEvPKvS2_PKi31ggml_cuda_mm_fusion_args_devicePfj15HIP_vector_typeIjLj3EEjjjS8_jjjS8_jjjj
; %bb.0:
	s_clause 0x5
	s_load_dword s9, s[4:5], 0x40
	s_load_dwordx4 s[0:3], s[4:5], 0x50
	s_load_dword s11, s[4:5], 0x60
	s_load_dwordx4 s[12:15], s[4:5], 0x68
	;; [unrolled: 2-line block ×3, first 2 shown]
	v_lshl_or_b32 v2, v1, 5, v0
	v_mov_b32_e32 v7, 0
	v_mov_b32_e32 v8, 0
	;; [unrolled: 1-line block ×4, first 2 shown]
	v_lshrrev_b32_e32 v11, 3, v2
	v_mov_b32_e32 v12, 0
	s_waitcnt lgkmcnt(0)
	s_lshr_b32 s10, s9, 8
	s_mov_b32 s9, exec_lo
	v_cmpx_gt_u32_e64 s10, v11
	s_cbranch_execz .LBB260_4
; %bb.1:
	s_mul_i32 s13, s13, s7
	s_load_dwordx4 s[20:23], s[4:5], 0x0
	s_mul_hi_u32 s27, s13, 36
	s_mul_i32 s26, s13, 36
	s_mul_i32 s17, s17, s8
	v_mad_u64_u32 v[2:3], null, 0x120, v11, s[26:27]
	v_and_b32_e32 v13, 7, v0
	v_lshlrev_b32_e32 v9, 1, v0
	s_mul_hi_u32 s3, s3, s7
	s_mul_hi_u32 s15, s15, s8
	v_lshlrev_b32_e32 v6, 3, v11
	s_add_i32 s3, s7, s3
	v_mad_u64_u32 v[4:5], null, s17, 36, v[2:3]
	s_add_i32 s15, s8, s15
	s_mul_i32 s25, s17, 36
	s_lshr_b32 s3, s3, s11
	v_and_b32_e32 v10, 14, v9
	s_mul_hi_u32 s19, s17, 36
	s_lshr_b32 s11, s15, s24
	v_mad_u64_u32 v[7:8], null, v13, 36, v[4:5]
	s_mul_i32 s3, s3, s12
	s_waitcnt lgkmcnt(0)
	s_add_u32 s12, s22, s25
	s_addc_u32 s13, s23, s19
	s_add_u32 s12, s12, s26
	s_addc_u32 s13, s13, s27
	v_lshlrev_b32_e32 v12, 1, v10
	v_mad_u64_u32 v[4:5], null, s1, 3, v[6:7]
	v_add_co_u32 v5, vcc_lo, s22, v7
	v_add_co_ci_u32_e64 v7, null, s23, v8, vcc_lo
	v_mad_u64_u32 v[2:3], null, v13, 36, s[12:13]
	v_add_co_u32 v5, vcc_lo, v5, 16
	s_mul_i32 s0, s0, s6
	v_mov_b32_e32 v14, 0
	v_bfe_u32 v15, v9, 2, 2
	v_and_b32_e32 v16, 4, v12
	v_add_nc_u32_e32 v17, s1, v6
	v_lshl_add_u32 v18, s1, 2, v6
	v_lshl_add_u32 v19, s1, 1, v6
	v_add_co_ci_u32_e64 v6, null, 0, v7, vcc_lo
	v_lshlrev_b32_e32 v20, 1, v12
	v_lshlrev_b32_e32 v21, 1, v10
	v_mov_b32_e32 v12, 0
	v_mov_b32_e32 v10, 0
	;; [unrolled: 1-line block ×5, first 2 shown]
	s_mul_i32 s11, s11, s16
	s_add_i32 s3, s3, s0
	s_add_i32 s11, s11, s3
	s_mov_b32 s3, 0
.LBB260_2:                              ; =>This Inner Loop Header: Depth=1
	v_add_nc_u32_e32 v22, s11, v11
	s_getpc_b64 s[0:1]
	s_add_u32 s0, s0, _ZL9iq3s_grid@rel32@lo+4
	s_addc_u32 s1, s1, _ZL9iq3s_grid@rel32@hi+12
	v_mov_b32_e32 v44, 0
	v_mov_b32_e32 v45, 0
	;; [unrolled: 1-line block ×3, first 2 shown]
	v_mad_i64_i32 v[32:33], null, 0x6e, v22, s[20:21]
	v_add_nc_u32_e32 v11, 4, v11
	v_add_co_u32 v22, vcc_lo, v32, v20
	v_add_co_ci_u32_e64 v23, null, 0, v33, vcc_lo
	global_load_dwordx2 v[25:26], v[22:23], off offset:2
	v_add_co_u32 v22, vcc_lo, v32, v13
	v_add_co_ci_u32_e64 v23, null, 0, v33, vcc_lo
	global_load_ubyte v29, v[22:23], off offset:66
	v_add_co_u32 v22, vcc_lo, v32, v21
	v_add_co_ci_u32_e64 v23, null, 0, v33, vcc_lo
	global_load_dword v30, v[22:23], off offset:74
	s_waitcnt vmcnt(2)
	v_and_b32_e32 v22, 0xff, v25
	s_waitcnt vmcnt(1)
	v_lshlrev_b32_e32 v23, 8, v29
	v_lshlrev_b32_e32 v24, 7, v29
	v_and_or_b32 v22, 0x100, v23, v22
	v_bfe_u32 v23, v25, 8, 8
	s_waitcnt vmcnt(0)
	v_lshlrev_b32_e32 v28, 21, v30
	v_lshrrev_b32_e32 v27, 16, v30
	v_lshlrev_b32_e32 v22, 2, v22
	v_and_or_b32 v23, 0x100, v24, v23
	v_and_b32_e32 v24, 0xff, v30
	global_load_dword v22, v22, s[0:1]
	v_lshlrev_b32_e32 v23, 2, v23
	v_lshl_or_b32 v28, v24, 7, v28
	global_load_dword v23, v23, s[0:1]
	v_and_b32_e32 v31, 0x1800180, v28
	v_bfe_u32 v28, v28, 24, 1
	v_cmp_ne_u16_sdwa s12, v31, v14 src0_sel:BYTE_1 src1_sel:DWORD
	v_cmp_ne_u16_e32 vcc_lo, 0, v28
	v_lshrrev_b16 v28, 7, v31
	v_lshrrev_b32_e32 v31, 2, v30
	v_cndmask_b32_e64 v34, 0, -1, s12
	v_cndmask_b32_e64 v36, 0, -1, vcc_lo
	v_bfe_i32 v28, v28, 0, 1
	v_bfe_i32 v31, v31, 0, 1
	v_lshlrev_b16 v34, 8, v34
	v_lshlrev_b16 v36, 8, v36
	v_or_b32_sdwa v35, v28, v34 dst_sel:DWORD dst_unused:UNUSED_PAD src0_sel:BYTE_0 src1_sel:DWORD
	v_or_b32_sdwa v37, v31, v36 dst_sel:WORD_1 dst_unused:UNUSED_PAD src0_sel:BYTE_0 src1_sel:DWORD
	v_lshlrev_b16 v28, 8, v28
	v_lshlrev_b16 v31, 8, v31
	v_or_b32_sdwa v35, v35, v37 dst_sel:DWORD dst_unused:UNUSED_PAD src0_sel:WORD_0 src1_sel:DWORD
	v_lshlrev_b32_e32 v37, 17, v30
	v_lshl_or_b32 v24, v24, 3, v37
	v_and_b32_e32 v37, 0x1800180, v24
	v_bfe_u32 v24, v24, 24, 1
	v_cmp_ne_u16_sdwa s12, v37, v14 src0_sel:BYTE_1 src1_sel:DWORD
	v_cmp_ne_u16_e32 vcc_lo, 0, v24
	v_lshrrev_b16 v24, 7, v37
	v_lshrrev_b32_e32 v37, 6, v30
	v_cndmask_b32_e64 v38, 0, -1, s12
	v_cndmask_b32_e64 v40, 0, -1, vcc_lo
	v_bfe_i32 v24, v24, 0, 1
	v_bfe_i32 v37, v37, 0, 1
	v_lshlrev_b16 v38, 8, v38
	v_lshlrev_b16 v40, 8, v40
	v_or_b32_sdwa v39, v24, v38 dst_sel:DWORD dst_unused:UNUSED_PAD src0_sel:BYTE_0 src1_sel:DWORD
	v_or_b32_sdwa v41, v37, v40 dst_sel:WORD_1 dst_unused:UNUSED_PAD src0_sel:BYTE_0 src1_sel:DWORD
	v_lshlrev_b16 v24, 8, v24
	v_or_b32_sdwa v39, v39, v41 dst_sel:DWORD dst_unused:UNUSED_PAD src0_sel:WORD_0 src1_sel:DWORD
	s_waitcnt vmcnt(1)
	v_xor_b32_e32 v22, v22, v35
	v_lshrrev_b32_e32 v35, 16, v22
	v_and_b32_e32 v41, 0xffffff00, v22
	v_lshlrev_b16 v22, 8, v22
	s_waitcnt vmcnt(0)
	v_xor_b32_e32 v23, v23, v39
	v_lshrrev_b32_e32 v39, 14, v30
	v_sub_nc_i16 v34, v41, v34 clamp
	v_sub_nc_i16 v22, v22, v28 clamp
	v_and_b32_e32 v28, 0xffffff00, v35
	v_bfe_i32 v39, v39, 0, 1
	v_perm_b32 v22, v22, v34, 0xc0c0105
	v_lshlrev_b16 v34, 8, v35
	v_sub_nc_i16 v28, v28, v36 clamp
	v_sub_nc_i16 v31, v34, v31 clamp
	v_lshrrev_b32_e32 v34, 10, v30
	v_perm_b32 v28, v31, v28, 0xc0c0105
	v_and_b32_e32 v31, 0xffffff00, v23
	v_bfe_i32 v34, v34, 0, 1
	v_lshl_or_b32 v22, v28, 16, v22
	v_lshrrev_b32_e32 v28, 16, v23
	v_lshlrev_b16 v23, 8, v23
	v_sub_nc_i16 v31, v31, v38 clamp
	v_lshrrev_b32_e32 v38, 15, v30
	v_sub_nc_i16 v23, v23, v24 clamp
	v_and_b32_e32 v24, 0xffffff00, v28
	v_lshlrev_b16 v28, 8, v28
	v_bfe_i32 v38, v38, 0, 1
	v_perm_b32 v23, v23, v31, 0xc0c0105
	v_lshlrev_b16 v31, 8, v37
	v_sub_nc_i16 v24, v24, v40 clamp
	v_lshlrev_b16 v38, 8, v38
	v_sub_nc_i16 v28, v28, v31 clamp
	v_lshrrev_b32_e32 v31, 11, v30
	v_or_b32_sdwa v42, v39, v38 dst_sel:WORD_1 dst_unused:UNUSED_PAD src0_sel:BYTE_0 src1_sel:DWORD
	v_perm_b32 v24, v28, v24, 0xc0c0105
	v_lshlrev_b32_e32 v28, 6, v29
	v_bfe_i32 v31, v31, 0, 1
	v_lshl_or_b32 v23, v24, 16, v23
	v_bfe_u32 v24, v25, 16, 8
	v_lshrrev_b32_e32 v25, 24, v25
	v_lshlrev_b16 v31, 8, v31
	v_and_or_b32 v24, 0x100, v28, v24
	v_lshlrev_b32_e32 v28, 5, v29
	v_or_b32_sdwa v37, v34, v31 dst_sel:WORD_1 dst_unused:UNUSED_PAD src0_sel:BYTE_0 src1_sel:DWORD
	v_lshlrev_b16 v34, 8, v34
	v_lshlrev_b32_e32 v24, 2, v24
	v_and_or_b32 v25, 0x100, v28, v25
	v_lshrrev_b32_e32 v28, 1, v30
	global_load_dword v24, v24, s[0:1]
	v_lshlrev_b32_e32 v25, 2, v25
	v_and_b32_e32 v28, 0x180, v28
	global_load_dword v25, v25, s[0:1]
	v_cmp_ne_u16_sdwa s12, v28, v14 src0_sel:BYTE_1 src1_sel:DWORD
	v_lshrrev_b16 v28, 7, v28
	v_cndmask_b32_e64 v35, 0, -1, s12
	v_bfe_i32 v28, v28, 0, 1
	v_lshlrev_b16 v35, 8, v35
	v_or_b32_sdwa v36, v28, v35 dst_sel:DWORD dst_unused:UNUSED_PAD src0_sel:BYTE_0 src1_sel:DWORD
	v_lshlrev_b16 v28, 8, v28
	v_or_b32_sdwa v36, v36, v37 dst_sel:DWORD dst_unused:UNUSED_PAD src0_sel:WORD_0 src1_sel:DWORD
	v_lshrrev_b32_e32 v37, 5, v30
	v_and_b32_e32 v37, 0x180, v37
	v_cmp_ne_u16_sdwa s12, v37, v14 src0_sel:BYTE_1 src1_sel:DWORD
	v_lshrrev_b16 v37, 7, v37
	v_cndmask_b32_e64 v40, 0, -1, s12
	v_bfe_i32 v37, v37, 0, 1
	v_lshlrev_b16 v40, 8, v40
	v_or_b32_sdwa v41, v37, v40 dst_sel:DWORD dst_unused:UNUSED_PAD src0_sel:BYTE_0 src1_sel:DWORD
	v_or_b32_sdwa v41, v41, v42 dst_sel:DWORD dst_unused:UNUSED_PAD src0_sel:WORD_0 src1_sel:DWORD
	s_waitcnt vmcnt(1)
	v_xor_b32_e32 v24, v24, v36
	v_lshrrev_b32_e32 v36, 16, v24
	v_and_b32_e32 v42, 0xffffff00, v24
	v_lshlrev_b16 v24, 8, v24
	s_waitcnt vmcnt(0)
	v_xor_b32_e32 v25, v25, v41
	v_sub_nc_i16 v35, v42, v35 clamp
	v_sub_nc_i16 v24, v24, v28 clamp
	v_and_b32_e32 v28, 0xffffff00, v36
	v_perm_b32 v24, v24, v35, 0xc0c0105
	v_sub_nc_i16 v28, v28, v31 clamp
	v_lshlrev_b16 v31, 8, v36
	v_sub_nc_i16 v31, v31, v34 clamp
	v_lshlrev_b16 v34, 8, v37
	v_perm_b32 v28, v31, v28, 0xc0c0105
	v_and_b32_e32 v31, 0xffffff00, v25
	v_lshl_or_b32 v24, v28, 16, v24
	v_lshrrev_b32_e32 v28, 16, v25
	v_lshlrev_b16 v25, 8, v25
	v_sub_nc_i16 v31, v31, v40 clamp
	v_sub_nc_i16 v25, v25, v34 clamp
	v_lshlrev_b16 v34, 8, v39
	v_perm_b32 v25, v25, v31, 0xc0c0105
	v_and_b32_e32 v31, 0xffffff00, v28
	v_lshlrev_b16 v28, 8, v28
	v_sub_nc_i16 v31, v31, v38 clamp
	v_sub_nc_i16 v28, v28, v34 clamp
	v_lshlrev_b32_e32 v34, 3, v29
	v_perm_b32 v28, v28, v31, 0xc0c0105
	v_lshlrev_b32_e32 v31, 4, v29
	v_lshl_or_b32 v25, v28, 16, v25
	v_and_b32_e32 v28, 0xff, v26
	v_and_or_b32 v28, 0x100, v31, v28
	v_bfe_u32 v31, v26, 8, 8
	v_lshlrev_b32_e32 v28, 2, v28
	v_and_or_b32 v31, 0x100, v34, v31
	v_lshrrev_b32_e32 v34, 9, v30
	global_load_dword v28, v28, s[0:1]
	v_lshlrev_b32_e32 v31, 2, v31
	v_lshl_or_b32 v34, v27, 21, v34
	global_load_dword v31, v31, s[0:1]
	v_and_b32_e32 v35, 0x1800180, v34
	v_bfe_u32 v34, v34, 24, 1
	v_cmp_ne_u16_sdwa s12, v35, v14 src0_sel:BYTE_1 src1_sel:DWORD
	v_cmp_ne_u16_e32 vcc_lo, 0, v34
	v_lshrrev_b16 v34, 7, v35
	v_lshrrev_b32_e32 v35, 18, v30
	v_cndmask_b32_e64 v36, 0, -1, s12
	v_cndmask_b32_e64 v38, 0, -1, vcc_lo
	v_bfe_i32 v34, v34, 0, 1
	v_bfe_i32 v35, v35, 0, 1
	v_lshlrev_b16 v36, 8, v36
	v_lshlrev_b16 v38, 8, v38
	v_or_b32_sdwa v37, v34, v36 dst_sel:DWORD dst_unused:UNUSED_PAD src0_sel:BYTE_0 src1_sel:DWORD
	v_or_b32_sdwa v39, v35, v38 dst_sel:WORD_1 dst_unused:UNUSED_PAD src0_sel:BYTE_0 src1_sel:DWORD
	v_lshlrev_b16 v34, 8, v34
	v_lshlrev_b16 v35, 8, v35
	v_or_b32_sdwa v37, v37, v39 dst_sel:DWORD dst_unused:UNUSED_PAD src0_sel:WORD_0 src1_sel:DWORD
	v_lshrrev_b32_e32 v39, 13, v30
	v_lshl_or_b32 v27, v27, 17, v39
	v_and_b32_e32 v39, 0x1800180, v27
	v_bfe_u32 v27, v27, 24, 1
	v_cmp_ne_u16_sdwa s12, v39, v14 src0_sel:BYTE_1 src1_sel:DWORD
	v_cmp_ne_u16_e32 vcc_lo, 0, v27
	v_lshrrev_b16 v27, 7, v39
	v_lshrrev_b32_e32 v39, 22, v30
	v_cndmask_b32_e64 v42, 0, -1, vcc_lo
	v_bfe_i32 v40, v27, 0, 1
	v_cndmask_b32_e64 v27, 0, -1, s12
	v_bfe_i32 v39, v39, 0, 1
	v_lshlrev_b16 v42, 8, v42
	v_lshlrev_b16 v41, 8, v27
	v_or_b32_sdwa v43, v39, v42 dst_sel:WORD_1 dst_unused:UNUSED_PAD src0_sel:BYTE_0 src1_sel:DWORD
	v_or_b32_sdwa v27, v40, v41 dst_sel:DWORD dst_unused:UNUSED_PAD src0_sel:BYTE_0 src1_sel:DWORD
	v_or_b32_sdwa v43, v27, v43 dst_sel:DWORD dst_unused:UNUSED_PAD src0_sel:WORD_0 src1_sel:DWORD
	s_waitcnt vmcnt(1)
	v_xor_b32_e32 v27, v28, v37
	v_lshrrev_b32_e32 v28, 16, v27
	v_and_b32_e32 v37, 0xffffff00, v27
	v_lshlrev_b16 v27, 8, v27
	v_sub_nc_i16 v36, v37, v36 clamp
	v_sub_nc_i16 v27, v27, v34 clamp
	v_and_b32_e32 v34, 0xffffff00, v28
	v_lshlrev_b16 v28, 8, v28
	v_perm_b32 v27, v27, v36, 0xc0c0105
	v_sub_nc_i16 v34, v34, v38 clamp
	v_sub_nc_i16 v28, v28, v35 clamp
	v_lshlrev_b16 v35, 8, v40
	v_lshrrev_b32_e32 v40, 31, v30
	v_perm_b32 v28, v28, v34, 0xc0c0105
	v_lshl_or_b32 v27, v28, 16, v27
	s_waitcnt vmcnt(0)
	v_xor_b32_e32 v28, v31, v43
	v_mov_b32_e32 v43, 0
	v_lshrrev_b32_e32 v31, 16, v28
	v_and_b32_e32 v34, 0xffffff00, v28
	v_lshlrev_b16 v28, 8, v28
	v_sub_nc_i16 v34, v34, v41 clamp
	v_sub_nc_i16 v28, v28, v35 clamp
	v_lshlrev_b16 v35, 8, v39
	v_perm_b32 v28, v28, v34, 0xc0c0105
	v_and_b32_e32 v34, 0xffffff00, v31
	v_lshlrev_b16 v31, 8, v31
	v_sub_nc_i16 v34, v34, v42 clamp
	v_sub_nc_i16 v31, v31, v35 clamp
	v_perm_b32 v31, v31, v34, 0xc0c0105
	v_lshlrev_b32_e32 v34, 2, v29
	v_lshlrev_b32_e32 v29, 1, v29
	v_lshl_or_b32 v28, v31, 16, v28
	v_bfe_u32 v31, v26, 16, 8
	v_lshrrev_b32_e32 v26, 24, v26
	v_and_or_b32 v31, 0x100, v34, v31
	v_and_or_b32 v26, 0x100, v29, v26
	v_lshrrev_b32_e32 v29, 17, v30
	v_lshrrev_b32_e32 v34, 24, v30
	v_lshlrev_b32_e32 v31, 2, v31
	v_lshlrev_b32_e32 v26, 2, v26
	v_lshl_or_b32 v29, v34, 21, v29
	s_clause 0x1
	global_load_dword v31, v31, s[0:1]
	global_load_dword v26, v26, s[0:1]
	v_and_b32_e32 v34, 0x1800180, v29
	v_bfe_u32 v29, v29, 24, 1
	v_cmp_ne_u16_sdwa s0, v34, v14 src0_sel:BYTE_1 src1_sel:DWORD
	v_cmp_ne_u16_e32 vcc_lo, 0, v29
	v_lshrrev_b16 v29, 7, v34
	v_lshrrev_b32_e32 v34, 26, v30
	v_cndmask_b32_e64 v35, 0, -1, s0
	v_cndmask_b32_e64 v37, 0, -1, vcc_lo
	v_bfe_i32 v29, v29, 0, 1
	v_bfe_i32 v34, v34, 0, 1
	v_cmp_ne_u16_e32 vcc_lo, 0, v40
	v_lshlrev_b16 v35, 8, v35
	v_lshlrev_b16 v37, 8, v37
	v_cndmask_b32_e64 v41, 0, -1, vcc_lo
	v_or_b32_sdwa v36, v29, v35 dst_sel:DWORD dst_unused:UNUSED_PAD src0_sel:BYTE_0 src1_sel:DWORD
	v_or_b32_sdwa v38, v34, v37 dst_sel:WORD_1 dst_unused:UNUSED_PAD src0_sel:BYTE_0 src1_sel:DWORD
	v_lshlrev_b16 v29, 8, v29
	v_lshlrev_b16 v34, 8, v34
	;; [unrolled: 1-line block ×3, first 2 shown]
	v_or_b32_sdwa v36, v36, v38 dst_sel:DWORD dst_unused:UNUSED_PAD src0_sel:WORD_0 src1_sel:DWORD
	v_lshrrev_b32_e32 v38, 21, v30
	v_lshrrev_b32_e32 v30, 30, v30
	v_lshrrev_b16 v39, 8, v38
	v_lshrrev_b16 v38, 7, v38
	v_bfe_i32 v30, v30, 0, 1
	v_bfe_i32 v39, v39, 0, 1
	;; [unrolled: 1-line block ×3, first 2 shown]
	v_or_b32_sdwa v42, v30, v41 dst_sel:WORD_1 dst_unused:UNUSED_PAD src0_sel:BYTE_0 src1_sel:DWORD
	v_lshlrev_b16 v30, 8, v30
	v_lshlrev_b16 v39, 8, v39
	v_or_b32_sdwa v40, v38, v39 dst_sel:DWORD dst_unused:UNUSED_PAD src0_sel:BYTE_0 src1_sel:DWORD
	v_or_b32_sdwa v40, v40, v42 dst_sel:DWORD dst_unused:UNUSED_PAD src0_sel:WORD_0 src1_sel:DWORD
	s_waitcnt vmcnt(1)
	v_xor_b32_e32 v31, v31, v36
	s_waitcnt vmcnt(0)
	v_xor_b32_e32 v26, v26, v40
	v_lshrrev_b32_e32 v36, 16, v31
	v_and_b32_e32 v42, 0xffffff00, v31
	v_lshlrev_b16 v31, 8, v31
	v_sub_nc_i16 v35, v42, v35 clamp
	v_sub_nc_i16 v29, v31, v29 clamp
	v_and_b32_e32 v31, 0xffffff00, v36
	v_perm_b32 v29, v29, v35, 0xc0c0105
	v_lshlrev_b16 v35, 8, v36
	v_sub_nc_i16 v31, v31, v37 clamp
	v_sub_nc_i16 v34, v35, v34 clamp
	v_lshlrev_b16 v35, 8, v38
	v_perm_b32 v31, v34, v31, 0xc0c0105
	v_and_b32_e32 v34, 0xffffff00, v26
	v_lshl_or_b32 v29, v31, 16, v29
	v_lshrrev_b32_e32 v31, 16, v26
	v_lshlrev_b16 v26, 8, v26
	v_sub_nc_i16 v34, v34, v39 clamp
	v_sub_nc_i16 v26, v26, v35 clamp
	v_perm_b32 v26, v26, v34, 0xc0c0105
	v_and_b32_e32 v34, 0xffffff00, v31
	v_lshlrev_b16 v31, 8, v31
	v_sub_nc_i16 v34, v34, v41 clamp
	v_sub_nc_i16 v30, v31, v30 clamp
	v_mov_b32_e32 v41, 0
	v_perm_b32 v30, v30, v34, 0xc0c0105
	v_add_co_u32 v34, vcc_lo, v32, v15
	v_add_co_ci_u32_e64 v35, null, 0, v33, vcc_lo
	v_lshl_or_b32 v30, v30, 16, v26
	global_load_ubyte v26, v[34:35], off offset:106
	s_waitcnt vmcnt(0)
	v_lshrrev_b32_e32 v26, v16, v26
	v_lshlrev_b32_e32 v26, 1, v26
	v_and_or_b32 v31, v26, 30, 1
	global_load_ushort v26, v[32:33], off
	s_clause 0x2
	global_load_dwordx4 v[32:35], v[5:6], off offset:-16
	global_load_dword v40, v[5:6], off offset:16
	global_load_dwordx4 v[36:39], v[5:6], off
	v_add_co_u32 v5, vcc_lo, 0x480, v5
	v_add_co_ci_u32_e64 v6, null, 0, v6, vcc_lo
	v_cmp_le_u32_e32 vcc_lo, s10, v11
	s_or_b32 s3, vcc_lo, s3
	s_waitcnt vmcnt(2)
	v_dot4c_i32_i8 v41, v22, v33
	v_cvt_f32_f16_e32 v26, v26
	v_cvt_f32_f16_e32 v32, v32
	v_dot4c_i32_i8 v41, v23, v34
	v_mul_f32_e32 v32, v26, v32
	v_dot4c_i32_i8 v41, v24, v35
	s_waitcnt vmcnt(0)
	v_dot4c_i32_i8 v41, v25, v36
	v_dot4c_i32_i8 v41, v27, v37
	v_mad_u64_u32 v[36:37], null, v17, 36, v[2:3]
	v_add_nc_u32_e32 v17, 32, v17
	v_dot4c_i32_i8 v41, v28, v38
	v_dot4c_i32_i8 v41, v29, v39
	;; [unrolled: 1-line block ×3, first 2 shown]
	v_mul_lo_u32 v33, v41, v31
	v_cvt_f32_i32_e32 v33, v33
	v_fmac_f32_e32 v12, v32, v33
	s_clause 0x2
	global_load_dwordx4 v[32:35], v[36:37], off
	global_load_dword v40, v[36:37], off offset:32
	global_load_dwordx4 v[36:39], v[36:37], off offset:16
	s_waitcnt vmcnt(2)
	v_dot4c_i32_i8 v43, v22, v33
	v_dot4c_i32_i8 v43, v23, v34
	v_dot4c_i32_i8 v43, v24, v35
	s_waitcnt vmcnt(0)
	v_dot4c_i32_i8 v43, v25, v36
	v_dot4c_i32_i8 v43, v27, v37
	v_dot4c_i32_i8 v43, v28, v38
	v_mad_u64_u32 v[37:38], null, v19, 36, v[2:3]
	v_add_nc_u32_e32 v19, 32, v19
	v_dot4c_i32_i8 v43, v29, v39
	v_dot4c_i32_i8 v43, v30, v40
	s_clause 0x2
	global_load_dwordx4 v[33:36], v[37:38], off
	global_load_dword v41, v[37:38], off offset:32
	global_load_dwordx4 v[37:40], v[37:38], off offset:16
	s_waitcnt vmcnt(2)
	v_dot4c_i32_i8 v44, v22, v34
	v_dot4c_i32_i8 v44, v23, v35
	v_dot4c_i32_i8 v44, v24, v36
	s_waitcnt vmcnt(0)
	v_dot4c_i32_i8 v44, v25, v37
	v_dot4c_i32_i8 v44, v27, v38
	v_dot4c_i32_i8 v44, v28, v39
	v_mad_u64_u32 v[38:39], null, v4, 36, v[2:3]
	v_add_nc_u32_e32 v4, 32, v4
	v_dot4c_i32_i8 v44, v29, v40
	v_dot4c_i32_i8 v44, v30, v41
	;; [unrolled: 16-line block ×3, first 2 shown]
	s_clause 0x2
	global_load_dwordx4 v[35:38], v[39:40], off
	global_load_dword v46, v[39:40], off offset:32
	global_load_dwordx4 v[39:42], v[39:40], off offset:16
	s_waitcnt vmcnt(2)
	v_dot4c_i32_i8 v47, v22, v36
	v_mul_lo_u32 v22, v43, v31
	v_dot4c_i32_i8 v47, v23, v37
	v_mul_lo_u32 v23, v44, v31
	v_cvt_f32_i32_e32 v22, v22
	v_dot4c_i32_i8 v47, v24, v38
	v_mul_lo_u32 v24, v45, v31
	v_cvt_f32_i32_e32 v23, v23
	s_waitcnt vmcnt(0)
	v_dot4c_i32_i8 v47, v25, v39
	v_cvt_f32_i32_e32 v24, v24
	v_dot4c_i32_i8 v47, v27, v40
	v_cvt_f32_f16_e32 v27, v32
	v_dot4c_i32_i8 v47, v28, v41
	v_cvt_f32_f16_e32 v28, v33
	;; [unrolled: 2-line block ×3, first 2 shown]
	v_mul_f32_e32 v28, v26, v28
	v_dot4c_i32_i8 v47, v30, v46
	v_cvt_f32_f16_e32 v30, v35
	v_mul_f32_e32 v29, v26, v29
	v_fmac_f32_e32 v9, v28, v23
	v_mul_lo_u32 v25, v47, v31
	v_mul_f32_e32 v30, v26, v30
	v_mul_f32_e32 v26, v26, v27
	v_fmac_f32_e32 v8, v29, v24
	v_fmac_f32_e32 v10, v26, v22
	v_cvt_f32_i32_e32 v25, v25
	v_fmac_f32_e32 v7, v30, v25
	s_andn2_b32 exec_lo, exec_lo, s3
	s_cbranch_execnz .LBB260_2
; %bb.3:
	s_or_b32 exec_lo, exec_lo, s3
.LBB260_4:
	s_or_b32 exec_lo, exec_lo, s9
	s_mov_b32 s1, 0
	; wave barrier
	buffer_gl0_inv
	s_mov_b32 s0, exec_lo
	v_cmpx_eq_u32_e32 0, v1
	s_cbranch_execz .LBB260_15
; %bb.5:
	v_mbcnt_lo_u32_b32 v5, -1, 0
	s_load_dwordx2 s[4:5], s[4:5], 0x38
	s_mul_i32 s0, s14, s7
	s_mul_i32 s3, s18, s8
	s_add_i32 s0, s0, s6
	v_xor_b32_e32 v1, 16, v5
	v_xor_b32_e32 v2, 8, v5
	s_add_i32 s0, s0, s3
	s_lshl_b64 s[0:1], s[0:1], 2
	v_cmp_gt_i32_e32 vcc_lo, 32, v1
	v_cndmask_b32_e32 v1, v5, v1, vcc_lo
	v_cmp_gt_i32_e32 vcc_lo, 32, v2
	v_lshlrev_b32_e32 v1, 2, v1
	v_cndmask_b32_e32 v2, v5, v2, vcc_lo
	s_waitcnt lgkmcnt(0)
	s_add_u32 s0, s4, s0
	s_addc_u32 s1, s5, s1
	ds_bpermute_b32 v3, v1, v12
	v_lshlrev_b32_e32 v2, 2, v2
	s_waitcnt lgkmcnt(0)
	v_add_f32_e32 v4, v12, v3
	v_xor_b32_e32 v3, 4, v5
	v_xor_b32_e32 v12, 1, v5
	ds_bpermute_b32 v6, v2, v4
	v_cmp_gt_i32_e32 vcc_lo, 32, v3
	v_cndmask_b32_e32 v3, v5, v3, vcc_lo
	v_lshlrev_b32_e32 v3, 2, v3
	s_waitcnt lgkmcnt(0)
	v_add_f32_e32 v6, v4, v6
	v_xor_b32_e32 v4, 2, v5
	ds_bpermute_b32 v11, v3, v6
	v_cmp_gt_i32_e32 vcc_lo, 32, v4
	v_cndmask_b32_e32 v4, v5, v4, vcc_lo
	v_cmp_gt_i32_e32 vcc_lo, 32, v12
	v_lshlrev_b32_e32 v4, 2, v4
	v_cndmask_b32_e32 v5, v5, v12, vcc_lo
	v_cmp_eq_u32_e32 vcc_lo, 0, v0
	v_lshlrev_b32_e32 v5, 2, v5
	s_waitcnt lgkmcnt(0)
	v_add_f32_e32 v6, v6, v11
	ds_bpermute_b32 v11, v4, v6
	s_waitcnt lgkmcnt(0)
	v_add_f32_e32 v6, v6, v11
	ds_bpermute_b32 v11, v5, v6
	s_and_saveexec_b32 s3, vcc_lo
	s_cbranch_execz .LBB260_7
; %bb.6:
	s_waitcnt lgkmcnt(0)
	v_add_f32_e32 v0, v6, v11
	v_mov_b32_e32 v6, 0
	global_store_dword v6, v0, s[0:1]
.LBB260_7:
	s_or_b32 exec_lo, exec_lo, s3
	ds_bpermute_b32 v0, v1, v10
	s_waitcnt lgkmcnt(0)
	v_add_f32_e32 v0, v10, v0
	ds_bpermute_b32 v6, v2, v0
	s_waitcnt lgkmcnt(0)
	v_add_f32_e32 v0, v0, v6
	;; [unrolled: 3-line block ×4, first 2 shown]
	ds_bpermute_b32 v6, v5, v0
	s_and_saveexec_b32 s4, vcc_lo
	s_cbranch_execz .LBB260_9
; %bb.8:
	s_mov_b32 s3, 0
	s_waitcnt lgkmcnt(0)
	v_add_f32_e32 v0, v0, v6
	s_lshl_b64 s[6:7], s[2:3], 2
	v_mov_b32_e32 v6, 0
	s_add_u32 s6, s0, s6
	s_addc_u32 s7, s1, s7
	global_store_dword v6, v0, s[6:7]
.LBB260_9:
	s_or_b32 exec_lo, exec_lo, s4
	ds_bpermute_b32 v0, v1, v9
	s_waitcnt lgkmcnt(0)
	v_add_f32_e32 v0, v9, v0
	ds_bpermute_b32 v6, v2, v0
	s_waitcnt lgkmcnt(0)
	v_add_f32_e32 v0, v0, v6
	;; [unrolled: 3-line block ×4, first 2 shown]
	ds_bpermute_b32 v6, v5, v0
	s_and_saveexec_b32 s3, vcc_lo
	s_cbranch_execz .LBB260_11
; %bb.10:
	s_lshl_b32 s4, s2, 1
	s_mov_b32 s5, 0
	s_waitcnt lgkmcnt(0)
	v_add_f32_e32 v0, v0, v6
	s_lshl_b64 s[4:5], s[4:5], 2
	v_mov_b32_e32 v6, 0
	s_add_u32 s4, s0, s4
	s_addc_u32 s5, s1, s5
	global_store_dword v6, v0, s[4:5]
.LBB260_11:
	s_or_b32 exec_lo, exec_lo, s3
	ds_bpermute_b32 v0, v1, v8
	s_waitcnt lgkmcnt(0)
	v_add_f32_e32 v0, v8, v0
	ds_bpermute_b32 v6, v2, v0
	s_waitcnt lgkmcnt(0)
	v_add_f32_e32 v0, v0, v6
	;; [unrolled: 3-line block ×4, first 2 shown]
	ds_bpermute_b32 v6, v5, v0
	s_and_saveexec_b32 s3, vcc_lo
	s_cbranch_execz .LBB260_13
; %bb.12:
	s_mul_i32 s4, s2, 3
	s_mov_b32 s5, 0
	s_waitcnt lgkmcnt(0)
	v_add_f32_e32 v0, v0, v6
	s_lshl_b64 s[4:5], s[4:5], 2
	v_mov_b32_e32 v6, 0
	s_add_u32 s4, s0, s4
	s_addc_u32 s5, s1, s5
	global_store_dword v6, v0, s[4:5]
.LBB260_13:
	s_or_b32 exec_lo, exec_lo, s3
	ds_bpermute_b32 v0, v1, v7
	s_waitcnt lgkmcnt(0)
	v_add_f32_e32 v0, v7, v0
	ds_bpermute_b32 v1, v2, v0
	s_waitcnt lgkmcnt(0)
	v_add_f32_e32 v0, v0, v1
	;; [unrolled: 3-line block ×4, first 2 shown]
	ds_bpermute_b32 v1, v5, v0
	s_and_b32 exec_lo, exec_lo, vcc_lo
	s_cbranch_execz .LBB260_15
; %bb.14:
	s_lshl_b32 s2, s2, 2
	s_mov_b32 s3, 0
	s_waitcnt lgkmcnt(0)
	v_add_f32_e32 v0, v0, v1
	s_lshl_b64 s[2:3], s[2:3], 2
	v_mov_b32_e32 v1, 0
	s_add_u32 s0, s0, s2
	s_addc_u32 s1, s1, s3
	global_store_dword v1, v0, s[0:1]
.LBB260_15:
	s_endpgm
	.section	.rodata,"a",@progbits
	.p2align	6, 0x0
	.amdhsa_kernel _ZL13mul_mat_vec_qIL9ggml_type21ELi5ELb0ELb0EEvPKvS2_PKi31ggml_cuda_mm_fusion_args_devicePfj15HIP_vector_typeIjLj3EEjjjS8_jjjS8_jjjj
		.amdhsa_group_segment_fixed_size 0
		.amdhsa_private_segment_fixed_size 0
		.amdhsa_kernarg_size 144
		.amdhsa_user_sgpr_count 6
		.amdhsa_user_sgpr_private_segment_buffer 1
		.amdhsa_user_sgpr_dispatch_ptr 0
		.amdhsa_user_sgpr_queue_ptr 0
		.amdhsa_user_sgpr_kernarg_segment_ptr 1
		.amdhsa_user_sgpr_dispatch_id 0
		.amdhsa_user_sgpr_flat_scratch_init 0
		.amdhsa_user_sgpr_private_segment_size 0
		.amdhsa_wavefront_size32 1
		.amdhsa_uses_dynamic_stack 0
		.amdhsa_system_sgpr_private_segment_wavefront_offset 0
		.amdhsa_system_sgpr_workgroup_id_x 1
		.amdhsa_system_sgpr_workgroup_id_y 1
		.amdhsa_system_sgpr_workgroup_id_z 1
		.amdhsa_system_sgpr_workgroup_info 0
		.amdhsa_system_vgpr_workitem_id 1
		.amdhsa_next_free_vgpr 48
		.amdhsa_next_free_sgpr 28
		.amdhsa_reserve_vcc 1
		.amdhsa_reserve_flat_scratch 0
		.amdhsa_float_round_mode_32 0
		.amdhsa_float_round_mode_16_64 0
		.amdhsa_float_denorm_mode_32 3
		.amdhsa_float_denorm_mode_16_64 3
		.amdhsa_dx10_clamp 1
		.amdhsa_ieee_mode 1
		.amdhsa_fp16_overflow 0
		.amdhsa_workgroup_processor_mode 1
		.amdhsa_memory_ordered 1
		.amdhsa_forward_progress 1
		.amdhsa_shared_vgpr_count 0
		.amdhsa_exception_fp_ieee_invalid_op 0
		.amdhsa_exception_fp_denorm_src 0
		.amdhsa_exception_fp_ieee_div_zero 0
		.amdhsa_exception_fp_ieee_overflow 0
		.amdhsa_exception_fp_ieee_underflow 0
		.amdhsa_exception_fp_ieee_inexact 0
		.amdhsa_exception_int_div_zero 0
	.end_amdhsa_kernel
	.section	.text._ZL13mul_mat_vec_qIL9ggml_type21ELi5ELb0ELb0EEvPKvS2_PKi31ggml_cuda_mm_fusion_args_devicePfj15HIP_vector_typeIjLj3EEjjjS8_jjjS8_jjjj,"axG",@progbits,_ZL13mul_mat_vec_qIL9ggml_type21ELi5ELb0ELb0EEvPKvS2_PKi31ggml_cuda_mm_fusion_args_devicePfj15HIP_vector_typeIjLj3EEjjjS8_jjjS8_jjjj,comdat
.Lfunc_end260:
	.size	_ZL13mul_mat_vec_qIL9ggml_type21ELi5ELb0ELb0EEvPKvS2_PKi31ggml_cuda_mm_fusion_args_devicePfj15HIP_vector_typeIjLj3EEjjjS8_jjjS8_jjjj, .Lfunc_end260-_ZL13mul_mat_vec_qIL9ggml_type21ELi5ELb0ELb0EEvPKvS2_PKi31ggml_cuda_mm_fusion_args_devicePfj15HIP_vector_typeIjLj3EEjjjS8_jjjS8_jjjj
                                        ; -- End function
	.set _ZL13mul_mat_vec_qIL9ggml_type21ELi5ELb0ELb0EEvPKvS2_PKi31ggml_cuda_mm_fusion_args_devicePfj15HIP_vector_typeIjLj3EEjjjS8_jjjS8_jjjj.num_vgpr, 48
	.set _ZL13mul_mat_vec_qIL9ggml_type21ELi5ELb0ELb0EEvPKvS2_PKi31ggml_cuda_mm_fusion_args_devicePfj15HIP_vector_typeIjLj3EEjjjS8_jjjS8_jjjj.num_agpr, 0
	.set _ZL13mul_mat_vec_qIL9ggml_type21ELi5ELb0ELb0EEvPKvS2_PKi31ggml_cuda_mm_fusion_args_devicePfj15HIP_vector_typeIjLj3EEjjjS8_jjjS8_jjjj.numbered_sgpr, 28
	.set _ZL13mul_mat_vec_qIL9ggml_type21ELi5ELb0ELb0EEvPKvS2_PKi31ggml_cuda_mm_fusion_args_devicePfj15HIP_vector_typeIjLj3EEjjjS8_jjjS8_jjjj.num_named_barrier, 0
	.set _ZL13mul_mat_vec_qIL9ggml_type21ELi5ELb0ELb0EEvPKvS2_PKi31ggml_cuda_mm_fusion_args_devicePfj15HIP_vector_typeIjLj3EEjjjS8_jjjS8_jjjj.private_seg_size, 0
	.set _ZL13mul_mat_vec_qIL9ggml_type21ELi5ELb0ELb0EEvPKvS2_PKi31ggml_cuda_mm_fusion_args_devicePfj15HIP_vector_typeIjLj3EEjjjS8_jjjS8_jjjj.uses_vcc, 1
	.set _ZL13mul_mat_vec_qIL9ggml_type21ELi5ELb0ELb0EEvPKvS2_PKi31ggml_cuda_mm_fusion_args_devicePfj15HIP_vector_typeIjLj3EEjjjS8_jjjS8_jjjj.uses_flat_scratch, 0
	.set _ZL13mul_mat_vec_qIL9ggml_type21ELi5ELb0ELb0EEvPKvS2_PKi31ggml_cuda_mm_fusion_args_devicePfj15HIP_vector_typeIjLj3EEjjjS8_jjjS8_jjjj.has_dyn_sized_stack, 0
	.set _ZL13mul_mat_vec_qIL9ggml_type21ELi5ELb0ELb0EEvPKvS2_PKi31ggml_cuda_mm_fusion_args_devicePfj15HIP_vector_typeIjLj3EEjjjS8_jjjS8_jjjj.has_recursion, 0
	.set _ZL13mul_mat_vec_qIL9ggml_type21ELi5ELb0ELb0EEvPKvS2_PKi31ggml_cuda_mm_fusion_args_devicePfj15HIP_vector_typeIjLj3EEjjjS8_jjjS8_jjjj.has_indirect_call, 0
	.section	.AMDGPU.csdata,"",@progbits
; Kernel info:
; codeLenInByte = 4104
; TotalNumSgprs: 30
; NumVgprs: 48
; ScratchSize: 0
; MemoryBound: 0
; FloatMode: 240
; IeeeMode: 1
; LDSByteSize: 0 bytes/workgroup (compile time only)
; SGPRBlocks: 0
; VGPRBlocks: 5
; NumSGPRsForWavesPerEU: 30
; NumVGPRsForWavesPerEU: 48
; Occupancy: 16
; WaveLimiterHint : 0
; COMPUTE_PGM_RSRC2:SCRATCH_EN: 0
; COMPUTE_PGM_RSRC2:USER_SGPR: 6
; COMPUTE_PGM_RSRC2:TRAP_HANDLER: 0
; COMPUTE_PGM_RSRC2:TGID_X_EN: 1
; COMPUTE_PGM_RSRC2:TGID_Y_EN: 1
; COMPUTE_PGM_RSRC2:TGID_Z_EN: 1
; COMPUTE_PGM_RSRC2:TIDIG_COMP_CNT: 1
	.section	.text._ZL13mul_mat_vec_qIL9ggml_type21ELi6ELb0ELb0EEvPKvS2_PKi31ggml_cuda_mm_fusion_args_devicePfj15HIP_vector_typeIjLj3EEjjjS8_jjjS8_jjjj,"axG",@progbits,_ZL13mul_mat_vec_qIL9ggml_type21ELi6ELb0ELb0EEvPKvS2_PKi31ggml_cuda_mm_fusion_args_devicePfj15HIP_vector_typeIjLj3EEjjjS8_jjjS8_jjjj,comdat
	.globl	_ZL13mul_mat_vec_qIL9ggml_type21ELi6ELb0ELb0EEvPKvS2_PKi31ggml_cuda_mm_fusion_args_devicePfj15HIP_vector_typeIjLj3EEjjjS8_jjjS8_jjjj ; -- Begin function _ZL13mul_mat_vec_qIL9ggml_type21ELi6ELb0ELb0EEvPKvS2_PKi31ggml_cuda_mm_fusion_args_devicePfj15HIP_vector_typeIjLj3EEjjjS8_jjjS8_jjjj
	.p2align	8
	.type	_ZL13mul_mat_vec_qIL9ggml_type21ELi6ELb0ELb0EEvPKvS2_PKi31ggml_cuda_mm_fusion_args_devicePfj15HIP_vector_typeIjLj3EEjjjS8_jjjS8_jjjj,@function
_ZL13mul_mat_vec_qIL9ggml_type21ELi6ELb0ELb0EEvPKvS2_PKi31ggml_cuda_mm_fusion_args_devicePfj15HIP_vector_typeIjLj3EEjjjS8_jjjS8_jjjj: ; @_ZL13mul_mat_vec_qIL9ggml_type21ELi6ELb0ELb0EEvPKvS2_PKi31ggml_cuda_mm_fusion_args_devicePfj15HIP_vector_typeIjLj3EEjjjS8_jjjS8_jjjj
; %bb.0:
	s_clause 0x5
	s_load_dword s9, s[4:5], 0x40
	s_load_dwordx4 s[0:3], s[4:5], 0x50
	s_load_dword s11, s[4:5], 0x60
	s_load_dwordx4 s[12:15], s[4:5], 0x68
	;; [unrolled: 2-line block ×3, first 2 shown]
	v_lshl_or_b32 v2, v1, 5, v0
	v_mov_b32_e32 v10, 0
	v_mov_b32_e32 v11, 0
	;; [unrolled: 1-line block ×4, first 2 shown]
	v_lshrrev_b32_e32 v15, 3, v2
	v_mov_b32_e32 v14, 0
	v_mov_b32_e32 v16, 0
	s_waitcnt lgkmcnt(0)
	s_lshr_b32 s10, s9, 8
	s_mov_b32 s9, exec_lo
	v_cmpx_gt_u32_e64 s10, v15
	s_cbranch_execz .LBB261_4
; %bb.1:
	s_mul_i32 s13, s13, s7
	s_load_dwordx4 s[20:23], s[4:5], 0x0
	s_mul_hi_u32 s27, s13, 36
	s_mul_i32 s26, s13, 36
	s_mul_i32 s17, s17, s8
	v_mad_u64_u32 v[2:3], null, 0x120, v15, s[26:27]
	v_and_b32_e32 v17, 7, v0
	v_lshlrev_b32_e32 v6, 1, v0
	s_mul_hi_u32 s3, s3, s7
	v_lshlrev_b32_e32 v7, 3, v15
	s_mul_hi_u32 s15, s15, s8
	s_add_i32 s3, s7, s3
	v_mad_u64_u32 v[4:5], null, s17, 36, v[2:3]
	s_add_i32 s15, s8, s15
	s_mul_i32 s25, s17, 36
	s_lshr_b32 s3, s3, s11
	v_and_b32_e32 v10, 14, v6
	s_mul_hi_u32 s19, s17, 36
	s_lshr_b32 s11, s15, s24
	v_mad_u64_u32 v[8:9], null, v17, 36, v[4:5]
	s_mul_i32 s3, s3, s12
	s_waitcnt lgkmcnt(0)
	s_add_u32 s12, s22, s25
	v_bfe_u32 v19, v6, 2, 2
	s_addc_u32 s13, s23, s19
	s_add_u32 s12, s12, s26
	s_addc_u32 s13, s13, s27
	v_mad_u64_u32 v[4:5], null, s1, 5, v[7:8]
	v_mad_u64_u32 v[5:6], null, s1, 3, v[7:8]
	v_add_co_u32 v6, vcc_lo, s22, v8
	v_lshlrev_b32_e32 v11, 1, v10
	v_add_co_ci_u32_e64 v8, null, s23, v9, vcc_lo
	v_mad_u64_u32 v[2:3], null, v17, 36, s[12:13]
	v_add_co_u32 v6, vcc_lo, v6, 16
	s_mul_i32 s0, s0, s6
	v_mov_b32_e32 v18, 0
	v_and_b32_e32 v20, 4, v11
	v_add_nc_u32_e32 v21, s1, v7
	v_lshl_add_u32 v22, s1, 2, v7
	v_lshl_add_u32 v23, s1, 1, v7
	v_add_co_ci_u32_e64 v7, null, 0, v8, vcc_lo
	v_lshlrev_b32_e32 v24, 1, v11
	v_lshlrev_b32_e32 v25, 1, v10
	v_mov_b32_e32 v14, 0
	v_mov_b32_e32 v16, 0
	;; [unrolled: 1-line block ×6, first 2 shown]
	s_mul_i32 s11, s11, s16
	s_add_i32 s3, s3, s0
	s_add_i32 s11, s11, s3
	s_mov_b32 s3, 0
.LBB261_2:                              ; =>This Inner Loop Header: Depth=1
	v_add_nc_u32_e32 v8, s11, v15
	s_getpc_b64 s[0:1]
	s_add_u32 s0, s0, _ZL9iq3s_grid@rel32@lo+4
	s_addc_u32 s1, s1, _ZL9iq3s_grid@rel32@hi+12
	v_mov_b32_e32 v46, 0
	v_mov_b32_e32 v47, 0
	;; [unrolled: 1-line block ×3, first 2 shown]
	v_mad_i64_i32 v[8:9], null, 0x6e, v8, s[20:21]
	v_mov_b32_e32 v49, 0
	v_add_nc_u32_e32 v15, 4, v15
	v_add_co_u32 v26, vcc_lo, v8, v24
	v_add_co_ci_u32_e64 v27, null, 0, v9, vcc_lo
	global_load_dwordx2 v[31:32], v[26:27], off offset:2
	v_add_co_u32 v26, vcc_lo, v8, v17
	v_add_co_ci_u32_e64 v27, null, 0, v9, vcc_lo
	global_load_ubyte v33, v[26:27], off offset:66
	v_add_co_u32 v26, vcc_lo, v8, v25
	v_add_co_ci_u32_e64 v27, null, 0, v9, vcc_lo
	global_load_dword v34, v[26:27], off offset:74
	s_waitcnt vmcnt(2)
	v_and_b32_e32 v26, 0xff, v31
	s_waitcnt vmcnt(1)
	v_lshlrev_b32_e32 v27, 8, v33
	v_lshlrev_b32_e32 v28, 7, v33
	v_and_or_b32 v26, 0x100, v27, v26
	v_bfe_u32 v27, v31, 8, 8
	s_waitcnt vmcnt(0)
	v_lshlrev_b32_e32 v29, 21, v34
	v_lshrrev_b32_e32 v30, 16, v34
	v_lshlrev_b32_e32 v26, 2, v26
	v_and_or_b32 v27, 0x100, v28, v27
	v_and_b32_e32 v28, 0xff, v34
	global_load_dword v26, v26, s[0:1]
	v_lshlrev_b32_e32 v27, 2, v27
	v_lshl_or_b32 v29, v28, 7, v29
	global_load_dword v27, v27, s[0:1]
	v_and_b32_e32 v35, 0x1800180, v29
	v_bfe_u32 v29, v29, 24, 1
	v_cmp_ne_u16_sdwa s12, v35, v18 src0_sel:BYTE_1 src1_sel:DWORD
	v_cmp_ne_u16_e32 vcc_lo, 0, v29
	v_lshrrev_b16 v29, 7, v35
	v_lshrrev_b32_e32 v35, 2, v34
	v_cndmask_b32_e64 v36, 0, -1, s12
	v_cndmask_b32_e64 v38, 0, -1, vcc_lo
	v_bfe_i32 v29, v29, 0, 1
	v_bfe_i32 v35, v35, 0, 1
	v_lshlrev_b16 v36, 8, v36
	v_lshlrev_b16 v38, 8, v38
	v_or_b32_sdwa v37, v29, v36 dst_sel:DWORD dst_unused:UNUSED_PAD src0_sel:BYTE_0 src1_sel:DWORD
	v_or_b32_sdwa v39, v35, v38 dst_sel:WORD_1 dst_unused:UNUSED_PAD src0_sel:BYTE_0 src1_sel:DWORD
	v_lshlrev_b16 v29, 8, v29
	v_lshlrev_b16 v35, 8, v35
	v_or_b32_sdwa v37, v37, v39 dst_sel:DWORD dst_unused:UNUSED_PAD src0_sel:WORD_0 src1_sel:DWORD
	v_lshlrev_b32_e32 v39, 17, v34
	v_lshl_or_b32 v28, v28, 3, v39
	v_and_b32_e32 v39, 0x1800180, v28
	v_bfe_u32 v28, v28, 24, 1
	v_cmp_ne_u16_sdwa s12, v39, v18 src0_sel:BYTE_1 src1_sel:DWORD
	v_cmp_ne_u16_e32 vcc_lo, 0, v28
	v_lshrrev_b16 v28, 7, v39
	v_lshrrev_b32_e32 v39, 6, v34
	v_cndmask_b32_e64 v40, 0, -1, s12
	v_cndmask_b32_e64 v42, 0, -1, vcc_lo
	v_bfe_i32 v28, v28, 0, 1
	v_bfe_i32 v39, v39, 0, 1
	v_lshlrev_b16 v40, 8, v40
	v_lshlrev_b16 v42, 8, v42
	v_or_b32_sdwa v41, v28, v40 dst_sel:DWORD dst_unused:UNUSED_PAD src0_sel:BYTE_0 src1_sel:DWORD
	v_or_b32_sdwa v43, v39, v42 dst_sel:WORD_1 dst_unused:UNUSED_PAD src0_sel:BYTE_0 src1_sel:DWORD
	v_lshlrev_b16 v28, 8, v28
	v_or_b32_sdwa v41, v41, v43 dst_sel:DWORD dst_unused:UNUSED_PAD src0_sel:WORD_0 src1_sel:DWORD
	s_waitcnt vmcnt(1)
	v_xor_b32_e32 v26, v26, v37
	v_lshrrev_b32_e32 v37, 16, v26
	v_and_b32_e32 v43, 0xffffff00, v26
	v_lshlrev_b16 v26, 8, v26
	s_waitcnt vmcnt(0)
	v_xor_b32_e32 v27, v27, v41
	v_lshrrev_b32_e32 v41, 14, v34
	v_sub_nc_i16 v36, v43, v36 clamp
	v_sub_nc_i16 v26, v26, v29 clamp
	v_and_b32_e32 v29, 0xffffff00, v37
	v_bfe_i32 v41, v41, 0, 1
	v_perm_b32 v26, v26, v36, 0xc0c0105
	v_lshlrev_b16 v36, 8, v37
	v_sub_nc_i16 v29, v29, v38 clamp
	v_sub_nc_i16 v35, v36, v35 clamp
	v_lshrrev_b32_e32 v36, 10, v34
	v_perm_b32 v29, v35, v29, 0xc0c0105
	v_and_b32_e32 v35, 0xffffff00, v27
	v_bfe_i32 v36, v36, 0, 1
	v_lshl_or_b32 v26, v29, 16, v26
	v_lshrrev_b32_e32 v29, 16, v27
	v_lshlrev_b16 v27, 8, v27
	v_sub_nc_i16 v35, v35, v40 clamp
	v_lshrrev_b32_e32 v40, 15, v34
	v_sub_nc_i16 v27, v27, v28 clamp
	v_and_b32_e32 v28, 0xffffff00, v29
	v_lshlrev_b16 v29, 8, v29
	v_bfe_i32 v40, v40, 0, 1
	v_perm_b32 v27, v27, v35, 0xc0c0105
	v_lshlrev_b16 v35, 8, v39
	v_sub_nc_i16 v28, v28, v42 clamp
	v_lshlrev_b16 v40, 8, v40
	v_sub_nc_i16 v29, v29, v35 clamp
	v_lshrrev_b32_e32 v35, 11, v34
	v_or_b32_sdwa v44, v41, v40 dst_sel:WORD_1 dst_unused:UNUSED_PAD src0_sel:BYTE_0 src1_sel:DWORD
	v_perm_b32 v28, v29, v28, 0xc0c0105
	v_lshlrev_b32_e32 v29, 6, v33
	v_bfe_i32 v35, v35, 0, 1
	v_lshl_or_b32 v27, v28, 16, v27
	v_bfe_u32 v28, v31, 16, 8
	v_lshlrev_b16 v35, 8, v35
	v_and_or_b32 v28, 0x100, v29, v28
	v_lshrrev_b32_e32 v29, 24, v31
	v_lshlrev_b32_e32 v31, 5, v33
	v_or_b32_sdwa v39, v36, v35 dst_sel:WORD_1 dst_unused:UNUSED_PAD src0_sel:BYTE_0 src1_sel:DWORD
	v_lshlrev_b16 v36, 8, v36
	v_lshlrev_b32_e32 v28, 2, v28
	v_and_or_b32 v29, 0x100, v31, v29
	v_lshrrev_b32_e32 v31, 1, v34
	global_load_dword v28, v28, s[0:1]
	v_lshlrev_b32_e32 v29, 2, v29
	v_and_b32_e32 v31, 0x180, v31
	global_load_dword v29, v29, s[0:1]
	v_cmp_ne_u16_sdwa s12, v31, v18 src0_sel:BYTE_1 src1_sel:DWORD
	v_lshrrev_b16 v31, 7, v31
	v_cndmask_b32_e64 v37, 0, -1, s12
	v_bfe_i32 v31, v31, 0, 1
	v_lshlrev_b16 v37, 8, v37
	v_or_b32_sdwa v38, v31, v37 dst_sel:DWORD dst_unused:UNUSED_PAD src0_sel:BYTE_0 src1_sel:DWORD
	v_lshlrev_b16 v31, 8, v31
	v_or_b32_sdwa v38, v38, v39 dst_sel:DWORD dst_unused:UNUSED_PAD src0_sel:WORD_0 src1_sel:DWORD
	v_lshrrev_b32_e32 v39, 5, v34
	v_and_b32_e32 v39, 0x180, v39
	v_cmp_ne_u16_sdwa s12, v39, v18 src0_sel:BYTE_1 src1_sel:DWORD
	v_lshrrev_b16 v39, 7, v39
	v_cndmask_b32_e64 v42, 0, -1, s12
	v_bfe_i32 v39, v39, 0, 1
	v_lshlrev_b16 v42, 8, v42
	v_or_b32_sdwa v43, v39, v42 dst_sel:DWORD dst_unused:UNUSED_PAD src0_sel:BYTE_0 src1_sel:DWORD
	v_or_b32_sdwa v43, v43, v44 dst_sel:DWORD dst_unused:UNUSED_PAD src0_sel:WORD_0 src1_sel:DWORD
	s_waitcnt vmcnt(1)
	v_xor_b32_e32 v28, v28, v38
	v_lshrrev_b32_e32 v38, 16, v28
	v_and_b32_e32 v44, 0xffffff00, v28
	v_lshlrev_b16 v28, 8, v28
	s_waitcnt vmcnt(0)
	v_xor_b32_e32 v29, v29, v43
	v_sub_nc_i16 v37, v44, v37 clamp
	v_sub_nc_i16 v28, v28, v31 clamp
	v_and_b32_e32 v31, 0xffffff00, v38
	v_perm_b32 v28, v28, v37, 0xc0c0105
	v_sub_nc_i16 v31, v31, v35 clamp
	v_lshlrev_b16 v35, 8, v38
	v_sub_nc_i16 v35, v35, v36 clamp
	v_lshlrev_b16 v36, 8, v39
	v_perm_b32 v31, v35, v31, 0xc0c0105
	v_and_b32_e32 v35, 0xffffff00, v29
	v_lshl_or_b32 v28, v31, 16, v28
	v_lshrrev_b32_e32 v31, 16, v29
	v_lshlrev_b16 v29, 8, v29
	v_sub_nc_i16 v35, v35, v42 clamp
	v_sub_nc_i16 v29, v29, v36 clamp
	v_lshlrev_b16 v36, 8, v41
	v_perm_b32 v29, v29, v35, 0xc0c0105
	v_and_b32_e32 v35, 0xffffff00, v31
	v_lshlrev_b16 v31, 8, v31
	v_sub_nc_i16 v35, v35, v40 clamp
	v_sub_nc_i16 v31, v31, v36 clamp
	v_lshlrev_b32_e32 v36, 3, v33
	v_perm_b32 v31, v31, v35, 0xc0c0105
	v_lshlrev_b32_e32 v35, 4, v33
	v_lshl_or_b32 v29, v31, 16, v29
	v_and_b32_e32 v31, 0xff, v32
	v_and_or_b32 v31, 0x100, v35, v31
	v_bfe_u32 v35, v32, 8, 8
	v_lshlrev_b32_e32 v31, 2, v31
	v_and_or_b32 v35, 0x100, v36, v35
	v_lshrrev_b32_e32 v36, 9, v34
	global_load_dword v31, v31, s[0:1]
	v_lshlrev_b32_e32 v35, 2, v35
	v_lshl_or_b32 v36, v30, 21, v36
	global_load_dword v35, v35, s[0:1]
	v_and_b32_e32 v37, 0x1800180, v36
	v_bfe_u32 v36, v36, 24, 1
	v_cmp_ne_u16_sdwa s12, v37, v18 src0_sel:BYTE_1 src1_sel:DWORD
	v_cmp_ne_u16_e32 vcc_lo, 0, v36
	v_lshrrev_b16 v36, 7, v37
	v_lshrrev_b32_e32 v37, 18, v34
	v_cndmask_b32_e64 v38, 0, -1, s12
	v_cndmask_b32_e64 v40, 0, -1, vcc_lo
	v_bfe_i32 v36, v36, 0, 1
	v_bfe_i32 v37, v37, 0, 1
	v_lshlrev_b16 v38, 8, v38
	v_lshlrev_b16 v40, 8, v40
	v_or_b32_sdwa v39, v36, v38 dst_sel:DWORD dst_unused:UNUSED_PAD src0_sel:BYTE_0 src1_sel:DWORD
	v_or_b32_sdwa v41, v37, v40 dst_sel:WORD_1 dst_unused:UNUSED_PAD src0_sel:BYTE_0 src1_sel:DWORD
	v_lshlrev_b16 v36, 8, v36
	v_lshlrev_b16 v37, 8, v37
	v_or_b32_sdwa v39, v39, v41 dst_sel:DWORD dst_unused:UNUSED_PAD src0_sel:WORD_0 src1_sel:DWORD
	v_lshrrev_b32_e32 v41, 13, v34
	v_lshl_or_b32 v30, v30, 17, v41
	v_and_b32_e32 v41, 0x1800180, v30
	v_bfe_u32 v30, v30, 24, 1
	v_cmp_ne_u16_sdwa s12, v41, v18 src0_sel:BYTE_1 src1_sel:DWORD
	v_cmp_ne_u16_e32 vcc_lo, 0, v30
	v_lshrrev_b16 v30, 7, v41
	v_lshrrev_b32_e32 v41, 22, v34
	v_cndmask_b32_e64 v44, 0, -1, vcc_lo
	v_bfe_i32 v42, v30, 0, 1
	v_cndmask_b32_e64 v30, 0, -1, s12
	v_bfe_i32 v41, v41, 0, 1
	v_lshlrev_b16 v44, 8, v44
	v_lshlrev_b16 v43, 8, v30
	v_or_b32_sdwa v45, v41, v44 dst_sel:WORD_1 dst_unused:UNUSED_PAD src0_sel:BYTE_0 src1_sel:DWORD
	v_or_b32_sdwa v30, v42, v43 dst_sel:DWORD dst_unused:UNUSED_PAD src0_sel:BYTE_0 src1_sel:DWORD
	v_or_b32_sdwa v45, v30, v45 dst_sel:DWORD dst_unused:UNUSED_PAD src0_sel:WORD_0 src1_sel:DWORD
	s_waitcnt vmcnt(1)
	v_xor_b32_e32 v30, v31, v39
	v_lshrrev_b32_e32 v31, 16, v30
	v_and_b32_e32 v39, 0xffffff00, v30
	v_lshlrev_b16 v30, 8, v30
	v_sub_nc_i16 v38, v39, v38 clamp
	v_sub_nc_i16 v30, v30, v36 clamp
	v_and_b32_e32 v36, 0xffffff00, v31
	v_lshlrev_b16 v31, 8, v31
	v_perm_b32 v30, v30, v38, 0xc0c0105
	v_sub_nc_i16 v36, v36, v40 clamp
	v_sub_nc_i16 v31, v31, v37 clamp
	v_lshlrev_b16 v37, 8, v42
	v_lshrrev_b32_e32 v42, 31, v34
	v_perm_b32 v31, v31, v36, 0xc0c0105
	v_lshl_or_b32 v30, v31, 16, v30
	s_waitcnt vmcnt(0)
	v_xor_b32_e32 v31, v35, v45
	v_lshrrev_b32_e32 v35, 16, v31
	v_and_b32_e32 v36, 0xffffff00, v31
	v_lshlrev_b16 v31, 8, v31
	v_sub_nc_i16 v36, v36, v43 clamp
	v_sub_nc_i16 v31, v31, v37 clamp
	v_lshlrev_b16 v37, 8, v41
	v_perm_b32 v31, v31, v36, 0xc0c0105
	v_and_b32_e32 v36, 0xffffff00, v35
	v_lshlrev_b16 v35, 8, v35
	v_sub_nc_i16 v36, v36, v44 clamp
	v_sub_nc_i16 v35, v35, v37 clamp
	v_perm_b32 v35, v35, v36, 0xc0c0105
	v_lshlrev_b32_e32 v36, 2, v33
	v_lshlrev_b32_e32 v33, 1, v33
	v_lshl_or_b32 v31, v35, 16, v31
	v_bfe_u32 v35, v32, 16, 8
	v_lshrrev_b32_e32 v32, 24, v32
	v_and_or_b32 v35, 0x100, v36, v35
	v_and_or_b32 v32, 0x100, v33, v32
	v_lshrrev_b32_e32 v36, 24, v34
	v_lshlrev_b32_e32 v35, 2, v35
	v_lshlrev_b32_e32 v32, 2, v32
	s_clause 0x1
	global_load_dword v35, v35, s[0:1]
	global_load_dword v33, v32, s[0:1]
	v_lshrrev_b32_e32 v32, 17, v34
	v_lshl_or_b32 v32, v36, 21, v32
	v_and_b32_e32 v36, 0x1800180, v32
	v_bfe_u32 v32, v32, 24, 1
	v_cmp_ne_u16_sdwa s0, v36, v18 src0_sel:BYTE_1 src1_sel:DWORD
	v_cmp_ne_u16_e32 vcc_lo, 0, v32
	v_lshrrev_b16 v32, 7, v36
	v_lshrrev_b32_e32 v36, 26, v34
	v_cndmask_b32_e64 v37, 0, -1, s0
	v_cndmask_b32_e64 v39, 0, -1, vcc_lo
	v_bfe_i32 v32, v32, 0, 1
	v_bfe_i32 v36, v36, 0, 1
	v_cmp_ne_u16_e32 vcc_lo, 0, v42
	v_lshlrev_b16 v37, 8, v37
	v_lshlrev_b16 v39, 8, v39
	v_cndmask_b32_e64 v43, 0, -1, vcc_lo
	v_or_b32_sdwa v38, v32, v37 dst_sel:DWORD dst_unused:UNUSED_PAD src0_sel:BYTE_0 src1_sel:DWORD
	v_or_b32_sdwa v40, v36, v39 dst_sel:WORD_1 dst_unused:UNUSED_PAD src0_sel:BYTE_0 src1_sel:DWORD
	v_lshlrev_b16 v32, 8, v32
	v_lshlrev_b16 v36, 8, v36
	;; [unrolled: 1-line block ×3, first 2 shown]
	v_or_b32_sdwa v38, v38, v40 dst_sel:DWORD dst_unused:UNUSED_PAD src0_sel:WORD_0 src1_sel:DWORD
	v_lshrrev_b32_e32 v40, 21, v34
	v_lshrrev_b32_e32 v34, 30, v34
	v_lshrrev_b16 v41, 8, v40
	v_lshrrev_b16 v40, 7, v40
	v_bfe_i32 v34, v34, 0, 1
	v_bfe_i32 v41, v41, 0, 1
	;; [unrolled: 1-line block ×3, first 2 shown]
	v_or_b32_sdwa v44, v34, v43 dst_sel:WORD_1 dst_unused:UNUSED_PAD src0_sel:BYTE_0 src1_sel:DWORD
	v_lshlrev_b16 v34, 8, v34
	v_lshlrev_b16 v41, 8, v41
	v_or_b32_sdwa v42, v40, v41 dst_sel:DWORD dst_unused:UNUSED_PAD src0_sel:BYTE_0 src1_sel:DWORD
	v_or_b32_sdwa v42, v42, v44 dst_sel:DWORD dst_unused:UNUSED_PAD src0_sel:WORD_0 src1_sel:DWORD
	s_waitcnt vmcnt(1)
	v_xor_b32_e32 v35, v35, v38
	s_waitcnt vmcnt(0)
	v_xor_b32_e32 v33, v33, v42
	v_mov_b32_e32 v42, 0
	v_lshrrev_b32_e32 v38, 16, v35
	v_and_b32_e32 v44, 0xffffff00, v35
	v_lshlrev_b16 v35, 8, v35
	v_sub_nc_i16 v37, v44, v37 clamp
	v_sub_nc_i16 v32, v35, v32 clamp
	v_and_b32_e32 v35, 0xffffff00, v38
	v_perm_b32 v32, v32, v37, 0xc0c0105
	v_lshlrev_b16 v37, 8, v38
	v_sub_nc_i16 v35, v35, v39 clamp
	v_sub_nc_i16 v36, v37, v36 clamp
	v_lshlrev_b16 v37, 8, v40
	v_perm_b32 v35, v36, v35, 0xc0c0105
	v_and_b32_e32 v36, 0xffffff00, v33
	v_lshl_or_b32 v32, v35, 16, v32
	v_lshrrev_b32_e32 v35, 16, v33
	v_lshlrev_b16 v33, 8, v33
	v_sub_nc_i16 v36, v36, v41 clamp
	v_sub_nc_i16 v33, v33, v37 clamp
	v_perm_b32 v33, v33, v36, 0xc0c0105
	v_and_b32_e32 v36, 0xffffff00, v35
	v_lshlrev_b16 v35, 8, v35
	v_sub_nc_i16 v36, v36, v43 clamp
	v_sub_nc_i16 v34, v35, v34 clamp
	v_perm_b32 v34, v34, v36, 0xc0c0105
	v_lshl_or_b32 v33, v34, 16, v33
	v_add_co_u32 v34, vcc_lo, v8, v19
	v_add_co_ci_u32_e64 v35, null, 0, v9, vcc_lo
	s_clause 0x1
	global_load_ushort v8, v[8:9], off
	global_load_ubyte v34, v[34:35], off offset:106
	s_waitcnt vmcnt(1)
	v_cvt_f32_f16_e32 v8, v8
	s_waitcnt vmcnt(0)
	v_lshrrev_b32_e32 v34, v20, v34
	v_lshlrev_b32_e32 v34, 1, v34
	v_and_or_b32 v45, v34, 30, 1
	s_clause 0x2
	global_load_dwordx4 v[34:37], v[6:7], off offset:-16
	global_load_dword v9, v[6:7], off offset:16
	global_load_dwordx4 v[38:41], v[6:7], off
	v_add_co_u32 v6, vcc_lo, 0x480, v6
	v_add_co_ci_u32_e64 v7, null, 0, v7, vcc_lo
	v_cmp_le_u32_e32 vcc_lo, s10, v15
	s_or_b32 s3, vcc_lo, s3
	s_waitcnt vmcnt(2)
	v_dot4c_i32_i8 v42, v26, v35
	v_cvt_f32_f16_e32 v34, v34
	v_dot4c_i32_i8 v42, v27, v36
	v_mul_f32_e32 v34, v8, v34
	v_dot4c_i32_i8 v42, v28, v37
	s_waitcnt vmcnt(0)
	v_dot4c_i32_i8 v42, v29, v38
	v_dot4c_i32_i8 v42, v30, v39
	v_mad_u64_u32 v[38:39], null, v21, 36, v[2:3]
	v_add_nc_u32_e32 v21, 32, v21
	v_dot4c_i32_i8 v42, v31, v40
	v_dot4c_i32_i8 v42, v32, v41
	;; [unrolled: 1-line block ×3, first 2 shown]
	v_mul_lo_u32 v9, v42, v45
	v_mov_b32_e32 v42, 0
	v_cvt_f32_i32_e32 v9, v9
	v_fmac_f32_e32 v16, v34, v9
	s_clause 0x2
	global_load_dwordx4 v[34:37], v[38:39], off
	global_load_dword v9, v[38:39], off offset:32
	global_load_dwordx4 v[38:41], v[38:39], off offset:16
	s_waitcnt vmcnt(2)
	v_dot4c_i32_i8 v42, v26, v35
	v_cvt_f32_f16_e32 v34, v34
	v_dot4c_i32_i8 v42, v27, v36
	v_mul_f32_e32 v34, v8, v34
	v_dot4c_i32_i8 v42, v28, v37
	s_waitcnt vmcnt(0)
	v_dot4c_i32_i8 v42, v29, v38
	v_dot4c_i32_i8 v42, v30, v39
	v_mad_u64_u32 v[38:39], null, v23, 36, v[2:3]
	v_add_nc_u32_e32 v23, 32, v23
	v_dot4c_i32_i8 v42, v31, v40
	v_dot4c_i32_i8 v42, v32, v41
	;; [unrolled: 1-line block ×3, first 2 shown]
	v_mul_lo_u32 v9, v42, v45
	v_cvt_f32_i32_e32 v9, v9
	v_fmac_f32_e32 v14, v34, v9
	s_clause 0x2
	global_load_dwordx4 v[34:37], v[38:39], off
	global_load_dword v9, v[38:39], off offset:32
	global_load_dwordx4 v[38:41], v[38:39], off offset:16
	s_waitcnt vmcnt(2)
	v_dot4c_i32_i8 v46, v26, v35
	v_dot4c_i32_i8 v46, v27, v36
	v_dot4c_i32_i8 v46, v28, v37
	s_waitcnt vmcnt(0)
	v_dot4c_i32_i8 v46, v29, v38
	v_dot4c_i32_i8 v46, v30, v39
	v_dot4c_i32_i8 v46, v31, v40
	v_mad_u64_u32 v[39:40], null, v5, 36, v[2:3]
	v_add_nc_u32_e32 v5, 32, v5
	v_dot4c_i32_i8 v46, v32, v41
	v_dot4c_i32_i8 v46, v33, v9
	s_clause 0x2
	global_load_dwordx4 v[35:38], v[39:40], off
	global_load_dword v9, v[39:40], off offset:32
	global_load_dwordx4 v[39:42], v[39:40], off offset:16
	s_waitcnt vmcnt(2)
	v_dot4c_i32_i8 v47, v26, v36
	v_dot4c_i32_i8 v47, v27, v37
	v_dot4c_i32_i8 v47, v28, v38
	s_waitcnt vmcnt(0)
	v_dot4c_i32_i8 v47, v29, v39
	v_dot4c_i32_i8 v47, v30, v40
	v_dot4c_i32_i8 v47, v31, v41
	v_mad_u64_u32 v[40:41], null, v22, 36, v[2:3]
	v_add_nc_u32_e32 v22, 32, v22
	v_dot4c_i32_i8 v47, v32, v42
	v_dot4c_i32_i8 v47, v33, v9
	;; [unrolled: 16-line block ×3, first 2 shown]
	s_clause 0x2
	global_load_dwordx4 v[37:40], v[41:42], off
	global_load_dword v9, v[41:42], off offset:32
	global_load_dwordx4 v[41:44], v[41:42], off offset:16
	s_waitcnt vmcnt(2)
	v_dot4c_i32_i8 v49, v26, v38
	v_mul_lo_u32 v26, v47, v45
	v_dot4c_i32_i8 v49, v27, v39
	v_mul_lo_u32 v27, v48, v45
	v_cvt_f32_i32_e32 v26, v26
	v_dot4c_i32_i8 v49, v28, v40
	v_cvt_f32_i32_e32 v27, v27
	s_waitcnt vmcnt(0)
	v_dot4c_i32_i8 v49, v29, v41
	v_cvt_f32_f16_e32 v29, v34
	v_dot4c_i32_i8 v49, v30, v42
	v_cvt_f32_f16_e32 v30, v35
	;; [unrolled: 2-line block ×3, first 2 shown]
	v_mul_f32_e32 v30, v8, v30
	v_dot4c_i32_i8 v49, v32, v44
	v_cvt_f32_f16_e32 v32, v37
	v_mul_f32_e32 v31, v8, v31
	v_fmac_f32_e32 v12, v30, v26
	v_dot4c_i32_i8 v49, v33, v9
	v_mul_lo_u32 v9, v46, v45
	v_mul_f32_e32 v32, v8, v32
	v_mul_f32_e32 v8, v8, v29
	v_fmac_f32_e32 v11, v31, v27
	v_mul_lo_u32 v28, v49, v45
	v_cvt_f32_i32_e32 v9, v9
	v_cvt_f32_i32_e32 v28, v28
	v_fmac_f32_e32 v13, v8, v9
	v_fmac_f32_e32 v10, v32, v28
	s_andn2_b32 exec_lo, exec_lo, s3
	s_cbranch_execnz .LBB261_2
; %bb.3:
	s_or_b32 exec_lo, exec_lo, s3
.LBB261_4:
	s_or_b32 exec_lo, exec_lo, s9
	s_mov_b32 s1, 0
	; wave barrier
	buffer_gl0_inv
	s_mov_b32 s0, exec_lo
	v_cmpx_eq_u32_e32 0, v1
	s_cbranch_execz .LBB261_17
; %bb.5:
	v_mbcnt_lo_u32_b32 v5, -1, 0
	s_load_dwordx2 s[4:5], s[4:5], 0x38
	s_mul_i32 s0, s14, s7
	s_mul_i32 s3, s18, s8
	s_add_i32 s0, s0, s6
	v_xor_b32_e32 v1, 16, v5
	v_xor_b32_e32 v2, 8, v5
	;; [unrolled: 1-line block ×3, first 2 shown]
	s_add_i32 s0, s0, s3
	s_lshl_b64 s[0:1], s[0:1], 2
	v_cmp_gt_i32_e32 vcc_lo, 32, v1
	v_cndmask_b32_e32 v1, v5, v1, vcc_lo
	v_cmp_gt_i32_e32 vcc_lo, 32, v2
	v_lshlrev_b32_e32 v1, 2, v1
	v_cndmask_b32_e32 v2, v5, v2, vcc_lo
	s_waitcnt lgkmcnt(0)
	s_add_u32 s0, s4, s0
	s_addc_u32 s1, s5, s1
	ds_bpermute_b32 v3, v1, v16
	v_lshlrev_b32_e32 v2, 2, v2
	s_waitcnt lgkmcnt(0)
	v_add_f32_e32 v4, v16, v3
	v_xor_b32_e32 v3, 4, v5
	ds_bpermute_b32 v6, v2, v4
	v_cmp_gt_i32_e32 vcc_lo, 32, v3
	v_cndmask_b32_e32 v3, v5, v3, vcc_lo
	v_lshlrev_b32_e32 v3, 2, v3
	s_waitcnt lgkmcnt(0)
	v_add_f32_e32 v6, v4, v6
	v_xor_b32_e32 v4, 2, v5
	ds_bpermute_b32 v7, v3, v6
	v_cmp_gt_i32_e32 vcc_lo, 32, v4
	v_cndmask_b32_e32 v4, v5, v4, vcc_lo
	v_cmp_gt_i32_e32 vcc_lo, 32, v8
	v_lshlrev_b32_e32 v4, 2, v4
	v_cndmask_b32_e32 v5, v5, v8, vcc_lo
	v_cmp_eq_u32_e32 vcc_lo, 0, v0
	v_lshlrev_b32_e32 v5, 2, v5
	s_waitcnt lgkmcnt(0)
	v_add_f32_e32 v6, v6, v7
	ds_bpermute_b32 v7, v4, v6
	s_waitcnt lgkmcnt(0)
	v_add_f32_e32 v6, v6, v7
	ds_bpermute_b32 v7, v5, v6
	s_and_saveexec_b32 s3, vcc_lo
	s_cbranch_execz .LBB261_7
; %bb.6:
	s_waitcnt lgkmcnt(0)
	v_add_f32_e32 v0, v6, v7
	v_mov_b32_e32 v6, 0
	global_store_dword v6, v0, s[0:1]
.LBB261_7:
	s_or_b32 exec_lo, exec_lo, s3
	ds_bpermute_b32 v0, v1, v14
	s_waitcnt lgkmcnt(0)
	v_add_f32_e32 v0, v14, v0
	ds_bpermute_b32 v6, v2, v0
	s_waitcnt lgkmcnt(0)
	v_add_f32_e32 v0, v0, v6
	;; [unrolled: 3-line block ×4, first 2 shown]
	ds_bpermute_b32 v6, v5, v0
	s_and_saveexec_b32 s4, vcc_lo
	s_cbranch_execz .LBB261_9
; %bb.8:
	s_mov_b32 s3, 0
	s_waitcnt lgkmcnt(0)
	v_add_f32_e32 v0, v0, v6
	s_lshl_b64 s[6:7], s[2:3], 2
	v_mov_b32_e32 v6, 0
	s_add_u32 s6, s0, s6
	s_addc_u32 s7, s1, s7
	global_store_dword v6, v0, s[6:7]
.LBB261_9:
	s_or_b32 exec_lo, exec_lo, s4
	ds_bpermute_b32 v0, v1, v13
	s_waitcnt lgkmcnt(0)
	v_add_f32_e32 v0, v13, v0
	ds_bpermute_b32 v6, v2, v0
	s_waitcnt lgkmcnt(0)
	v_add_f32_e32 v0, v0, v6
	;; [unrolled: 3-line block ×4, first 2 shown]
	ds_bpermute_b32 v6, v5, v0
	s_and_saveexec_b32 s3, vcc_lo
	s_cbranch_execz .LBB261_11
; %bb.10:
	s_lshl_b32 s4, s2, 1
	s_mov_b32 s5, 0
	s_waitcnt lgkmcnt(0)
	v_add_f32_e32 v0, v0, v6
	s_lshl_b64 s[4:5], s[4:5], 2
	v_mov_b32_e32 v6, 0
	s_add_u32 s4, s0, s4
	s_addc_u32 s5, s1, s5
	global_store_dword v6, v0, s[4:5]
.LBB261_11:
	s_or_b32 exec_lo, exec_lo, s3
	ds_bpermute_b32 v0, v1, v12
	s_waitcnt lgkmcnt(0)
	v_add_f32_e32 v0, v12, v0
	ds_bpermute_b32 v6, v2, v0
	s_waitcnt lgkmcnt(0)
	v_add_f32_e32 v0, v0, v6
	;; [unrolled: 3-line block ×4, first 2 shown]
	ds_bpermute_b32 v6, v5, v0
	s_and_saveexec_b32 s3, vcc_lo
	s_cbranch_execz .LBB261_13
; %bb.12:
	s_mul_i32 s4, s2, 3
	s_mov_b32 s5, 0
	s_waitcnt lgkmcnt(0)
	v_add_f32_e32 v0, v0, v6
	s_lshl_b64 s[4:5], s[4:5], 2
	v_mov_b32_e32 v6, 0
	s_add_u32 s4, s0, s4
	s_addc_u32 s5, s1, s5
	global_store_dword v6, v0, s[4:5]
.LBB261_13:
	s_or_b32 exec_lo, exec_lo, s3
	ds_bpermute_b32 v0, v1, v11
	s_waitcnt lgkmcnt(0)
	v_add_f32_e32 v0, v11, v0
	ds_bpermute_b32 v6, v2, v0
	s_waitcnt lgkmcnt(0)
	v_add_f32_e32 v0, v0, v6
	;; [unrolled: 3-line block ×4, first 2 shown]
	ds_bpermute_b32 v6, v5, v0
	s_and_saveexec_b32 s3, vcc_lo
	s_cbranch_execz .LBB261_15
; %bb.14:
	s_lshl_b32 s4, s2, 2
	s_mov_b32 s5, 0
	s_waitcnt lgkmcnt(0)
	v_add_f32_e32 v0, v0, v6
	s_lshl_b64 s[4:5], s[4:5], 2
	v_mov_b32_e32 v6, 0
	s_add_u32 s4, s0, s4
	s_addc_u32 s5, s1, s5
	global_store_dword v6, v0, s[4:5]
.LBB261_15:
	s_or_b32 exec_lo, exec_lo, s3
	ds_bpermute_b32 v0, v1, v10
	s_waitcnt lgkmcnt(0)
	v_add_f32_e32 v0, v10, v0
	ds_bpermute_b32 v1, v2, v0
	s_waitcnt lgkmcnt(0)
	v_add_f32_e32 v0, v0, v1
	;; [unrolled: 3-line block ×4, first 2 shown]
	ds_bpermute_b32 v1, v5, v0
	s_and_b32 exec_lo, exec_lo, vcc_lo
	s_cbranch_execz .LBB261_17
; %bb.16:
	s_mul_i32 s2, s2, 5
	s_mov_b32 s3, 0
	s_waitcnt lgkmcnt(0)
	v_add_f32_e32 v0, v0, v1
	s_lshl_b64 s[2:3], s[2:3], 2
	v_mov_b32_e32 v1, 0
	s_add_u32 s0, s0, s2
	s_addc_u32 s1, s1, s3
	global_store_dword v1, v0, s[0:1]
.LBB261_17:
	s_endpgm
	.section	.rodata,"a",@progbits
	.p2align	6, 0x0
	.amdhsa_kernel _ZL13mul_mat_vec_qIL9ggml_type21ELi6ELb0ELb0EEvPKvS2_PKi31ggml_cuda_mm_fusion_args_devicePfj15HIP_vector_typeIjLj3EEjjjS8_jjjS8_jjjj
		.amdhsa_group_segment_fixed_size 0
		.amdhsa_private_segment_fixed_size 0
		.amdhsa_kernarg_size 144
		.amdhsa_user_sgpr_count 6
		.amdhsa_user_sgpr_private_segment_buffer 1
		.amdhsa_user_sgpr_dispatch_ptr 0
		.amdhsa_user_sgpr_queue_ptr 0
		.amdhsa_user_sgpr_kernarg_segment_ptr 1
		.amdhsa_user_sgpr_dispatch_id 0
		.amdhsa_user_sgpr_flat_scratch_init 0
		.amdhsa_user_sgpr_private_segment_size 0
		.amdhsa_wavefront_size32 1
		.amdhsa_uses_dynamic_stack 0
		.amdhsa_system_sgpr_private_segment_wavefront_offset 0
		.amdhsa_system_sgpr_workgroup_id_x 1
		.amdhsa_system_sgpr_workgroup_id_y 1
		.amdhsa_system_sgpr_workgroup_id_z 1
		.amdhsa_system_sgpr_workgroup_info 0
		.amdhsa_system_vgpr_workitem_id 1
		.amdhsa_next_free_vgpr 50
		.amdhsa_next_free_sgpr 28
		.amdhsa_reserve_vcc 1
		.amdhsa_reserve_flat_scratch 0
		.amdhsa_float_round_mode_32 0
		.amdhsa_float_round_mode_16_64 0
		.amdhsa_float_denorm_mode_32 3
		.amdhsa_float_denorm_mode_16_64 3
		.amdhsa_dx10_clamp 1
		.amdhsa_ieee_mode 1
		.amdhsa_fp16_overflow 0
		.amdhsa_workgroup_processor_mode 1
		.amdhsa_memory_ordered 1
		.amdhsa_forward_progress 1
		.amdhsa_shared_vgpr_count 0
		.amdhsa_exception_fp_ieee_invalid_op 0
		.amdhsa_exception_fp_denorm_src 0
		.amdhsa_exception_fp_ieee_div_zero 0
		.amdhsa_exception_fp_ieee_overflow 0
		.amdhsa_exception_fp_ieee_underflow 0
		.amdhsa_exception_fp_ieee_inexact 0
		.amdhsa_exception_int_div_zero 0
	.end_amdhsa_kernel
	.section	.text._ZL13mul_mat_vec_qIL9ggml_type21ELi6ELb0ELb0EEvPKvS2_PKi31ggml_cuda_mm_fusion_args_devicePfj15HIP_vector_typeIjLj3EEjjjS8_jjjS8_jjjj,"axG",@progbits,_ZL13mul_mat_vec_qIL9ggml_type21ELi6ELb0ELb0EEvPKvS2_PKi31ggml_cuda_mm_fusion_args_devicePfj15HIP_vector_typeIjLj3EEjjjS8_jjjS8_jjjj,comdat
.Lfunc_end261:
	.size	_ZL13mul_mat_vec_qIL9ggml_type21ELi6ELb0ELb0EEvPKvS2_PKi31ggml_cuda_mm_fusion_args_devicePfj15HIP_vector_typeIjLj3EEjjjS8_jjjS8_jjjj, .Lfunc_end261-_ZL13mul_mat_vec_qIL9ggml_type21ELi6ELb0ELb0EEvPKvS2_PKi31ggml_cuda_mm_fusion_args_devicePfj15HIP_vector_typeIjLj3EEjjjS8_jjjS8_jjjj
                                        ; -- End function
	.set _ZL13mul_mat_vec_qIL9ggml_type21ELi6ELb0ELb0EEvPKvS2_PKi31ggml_cuda_mm_fusion_args_devicePfj15HIP_vector_typeIjLj3EEjjjS8_jjjS8_jjjj.num_vgpr, 50
	.set _ZL13mul_mat_vec_qIL9ggml_type21ELi6ELb0ELb0EEvPKvS2_PKi31ggml_cuda_mm_fusion_args_devicePfj15HIP_vector_typeIjLj3EEjjjS8_jjjS8_jjjj.num_agpr, 0
	.set _ZL13mul_mat_vec_qIL9ggml_type21ELi6ELb0ELb0EEvPKvS2_PKi31ggml_cuda_mm_fusion_args_devicePfj15HIP_vector_typeIjLj3EEjjjS8_jjjS8_jjjj.numbered_sgpr, 28
	.set _ZL13mul_mat_vec_qIL9ggml_type21ELi6ELb0ELb0EEvPKvS2_PKi31ggml_cuda_mm_fusion_args_devicePfj15HIP_vector_typeIjLj3EEjjjS8_jjjS8_jjjj.num_named_barrier, 0
	.set _ZL13mul_mat_vec_qIL9ggml_type21ELi6ELb0ELb0EEvPKvS2_PKi31ggml_cuda_mm_fusion_args_devicePfj15HIP_vector_typeIjLj3EEjjjS8_jjjS8_jjjj.private_seg_size, 0
	.set _ZL13mul_mat_vec_qIL9ggml_type21ELi6ELb0ELb0EEvPKvS2_PKi31ggml_cuda_mm_fusion_args_devicePfj15HIP_vector_typeIjLj3EEjjjS8_jjjS8_jjjj.uses_vcc, 1
	.set _ZL13mul_mat_vec_qIL9ggml_type21ELi6ELb0ELb0EEvPKvS2_PKi31ggml_cuda_mm_fusion_args_devicePfj15HIP_vector_typeIjLj3EEjjjS8_jjjS8_jjjj.uses_flat_scratch, 0
	.set _ZL13mul_mat_vec_qIL9ggml_type21ELi6ELb0ELb0EEvPKvS2_PKi31ggml_cuda_mm_fusion_args_devicePfj15HIP_vector_typeIjLj3EEjjjS8_jjjS8_jjjj.has_dyn_sized_stack, 0
	.set _ZL13mul_mat_vec_qIL9ggml_type21ELi6ELb0ELb0EEvPKvS2_PKi31ggml_cuda_mm_fusion_args_devicePfj15HIP_vector_typeIjLj3EEjjjS8_jjjS8_jjjj.has_recursion, 0
	.set _ZL13mul_mat_vec_qIL9ggml_type21ELi6ELb0ELb0EEvPKvS2_PKi31ggml_cuda_mm_fusion_args_devicePfj15HIP_vector_typeIjLj3EEjjjS8_jjjS8_jjjj.has_indirect_call, 0
	.section	.AMDGPU.csdata,"",@progbits
; Kernel info:
; codeLenInByte = 4360
; TotalNumSgprs: 30
; NumVgprs: 50
; ScratchSize: 0
; MemoryBound: 0
; FloatMode: 240
; IeeeMode: 1
; LDSByteSize: 0 bytes/workgroup (compile time only)
; SGPRBlocks: 0
; VGPRBlocks: 6
; NumSGPRsForWavesPerEU: 30
; NumVGPRsForWavesPerEU: 50
; Occupancy: 16
; WaveLimiterHint : 0
; COMPUTE_PGM_RSRC2:SCRATCH_EN: 0
; COMPUTE_PGM_RSRC2:USER_SGPR: 6
; COMPUTE_PGM_RSRC2:TRAP_HANDLER: 0
; COMPUTE_PGM_RSRC2:TGID_X_EN: 1
; COMPUTE_PGM_RSRC2:TGID_Y_EN: 1
; COMPUTE_PGM_RSRC2:TGID_Z_EN: 1
; COMPUTE_PGM_RSRC2:TIDIG_COMP_CNT: 1
	.section	.text._ZL13mul_mat_vec_qIL9ggml_type21ELi7ELb0ELb0EEvPKvS2_PKi31ggml_cuda_mm_fusion_args_devicePfj15HIP_vector_typeIjLj3EEjjjS8_jjjS8_jjjj,"axG",@progbits,_ZL13mul_mat_vec_qIL9ggml_type21ELi7ELb0ELb0EEvPKvS2_PKi31ggml_cuda_mm_fusion_args_devicePfj15HIP_vector_typeIjLj3EEjjjS8_jjjS8_jjjj,comdat
	.globl	_ZL13mul_mat_vec_qIL9ggml_type21ELi7ELb0ELb0EEvPKvS2_PKi31ggml_cuda_mm_fusion_args_devicePfj15HIP_vector_typeIjLj3EEjjjS8_jjjS8_jjjj ; -- Begin function _ZL13mul_mat_vec_qIL9ggml_type21ELi7ELb0ELb0EEvPKvS2_PKi31ggml_cuda_mm_fusion_args_devicePfj15HIP_vector_typeIjLj3EEjjjS8_jjjS8_jjjj
	.p2align	8
	.type	_ZL13mul_mat_vec_qIL9ggml_type21ELi7ELb0ELb0EEvPKvS2_PKi31ggml_cuda_mm_fusion_args_devicePfj15HIP_vector_typeIjLj3EEjjjS8_jjjS8_jjjj,@function
_ZL13mul_mat_vec_qIL9ggml_type21ELi7ELb0ELb0EEvPKvS2_PKi31ggml_cuda_mm_fusion_args_devicePfj15HIP_vector_typeIjLj3EEjjjS8_jjjS8_jjjj: ; @_ZL13mul_mat_vec_qIL9ggml_type21ELi7ELb0ELb0EEvPKvS2_PKi31ggml_cuda_mm_fusion_args_devicePfj15HIP_vector_typeIjLj3EEjjjS8_jjjS8_jjjj
; %bb.0:
	s_clause 0x5
	s_load_dword s9, s[4:5], 0x40
	s_load_dwordx4 s[0:3], s[4:5], 0x50
	s_load_dword s11, s[4:5], 0x60
	s_load_dwordx4 s[12:15], s[4:5], 0x68
	;; [unrolled: 2-line block ×3, first 2 shown]
	v_lshl_or_b32 v2, v1, 5, v0
	v_mov_b32_e32 v9, 0
	v_mov_b32_e32 v10, 0
	;; [unrolled: 1-line block ×4, first 2 shown]
	v_lshrrev_b32_e32 v15, 3, v2
	v_mov_b32_e32 v13, 0
	v_mov_b32_e32 v14, 0
	;; [unrolled: 1-line block ×3, first 2 shown]
	s_waitcnt lgkmcnt(0)
	s_lshr_b32 s10, s9, 8
	s_mov_b32 s9, exec_lo
	v_cmpx_gt_u32_e64 s10, v15
	s_cbranch_execz .LBB262_4
; %bb.1:
	s_mul_i32 s13, s13, s7
	s_load_dwordx4 s[20:23], s[4:5], 0x0
	s_mul_hi_u32 s27, s13, 36
	s_mul_i32 s26, s13, 36
	s_mul_i32 s17, s17, s8
	v_mad_u64_u32 v[2:3], null, 0x120, v15, s[26:27]
	v_and_b32_e32 v18, 7, v0
	v_lshlrev_b32_e32 v6, 1, v0
	v_lshlrev_b32_e32 v8, 3, v15
	s_mul_hi_u32 s3, s3, s7
	s_mul_hi_u32 s15, s15, s8
	s_add_i32 s3, s7, s3
	v_mad_u64_u32 v[4:5], null, s17, 36, v[2:3]
	s_add_i32 s15, s8, s15
	s_mul_i32 s25, s17, 36
	s_lshr_b32 s3, s3, s11
	v_and_b32_e32 v11, 14, v6
	s_mul_hi_u32 s19, s17, 36
	s_lshr_b32 s11, s15, s24
	v_mad_u64_u32 v[9:10], null, v18, 36, v[4:5]
	v_bfe_u32 v19, v6, 2, 2
	s_mul_i32 s3, s3, s12
	s_waitcnt lgkmcnt(0)
	s_add_u32 s12, s22, s25
	s_addc_u32 s13, s23, s19
	s_add_u32 s12, s12, s26
	s_addc_u32 s13, s13, s27
	v_mad_u64_u32 v[4:5], null, s1, 6, v[8:9]
	v_mad_u64_u32 v[5:6], null, s1, 5, v[8:9]
	;; [unrolled: 1-line block ×3, first 2 shown]
	v_add_co_u32 v7, vcc_lo, s22, v9
	v_lshlrev_b32_e32 v12, 1, v11
	v_add_co_ci_u32_e64 v9, null, s23, v10, vcc_lo
	v_mad_u64_u32 v[2:3], null, v18, 36, s[12:13]
	v_add_co_u32 v7, vcc_lo, v7, 16
	s_mul_i32 s0, s0, s6
	v_mov_b32_e32 v17, 0
	v_and_b32_e32 v20, 4, v12
	v_add_nc_u32_e32 v21, s1, v8
	v_lshl_add_u32 v22, s1, 2, v8
	v_lshl_add_u32 v23, s1, 1, v8
	v_add_co_ci_u32_e64 v8, null, 0, v9, vcc_lo
	v_lshlrev_b32_e32 v24, 1, v12
	v_lshlrev_b32_e32 v25, 1, v11
	v_mov_b32_e32 v13, 0
	v_mov_b32_e32 v14, 0
	;; [unrolled: 1-line block ×7, first 2 shown]
	s_mul_i32 s11, s11, s16
	s_add_i32 s3, s3, s0
	s_add_i32 s11, s11, s3
	s_mov_b32 s3, 0
.LBB262_2:                              ; =>This Inner Loop Header: Depth=1
	v_add_nc_u32_e32 v26, s11, v15
	s_getpc_b64 s[0:1]
	s_add_u32 s0, s0, _ZL9iq3s_grid@rel32@lo+4
	s_addc_u32 s1, s1, _ZL9iq3s_grid@rel32@hi+12
	v_mov_b32_e32 v48, 0
	v_mov_b32_e32 v49, 0
	;; [unrolled: 1-line block ×3, first 2 shown]
	v_mad_i64_i32 v[36:37], null, 0x6e, v26, s[20:21]
	v_add_nc_u32_e32 v15, 4, v15
	v_add_co_u32 v26, vcc_lo, v36, v24
	v_add_co_ci_u32_e64 v27, null, 0, v37, vcc_lo
	global_load_dwordx2 v[29:30], v[26:27], off offset:2
	v_add_co_u32 v26, vcc_lo, v36, v18
	v_add_co_ci_u32_e64 v27, null, 0, v37, vcc_lo
	global_load_ubyte v33, v[26:27], off offset:66
	v_add_co_u32 v26, vcc_lo, v36, v25
	v_add_co_ci_u32_e64 v27, null, 0, v37, vcc_lo
	global_load_dword v34, v[26:27], off offset:74
	s_waitcnt vmcnt(2)
	v_and_b32_e32 v26, 0xff, v29
	s_waitcnt vmcnt(1)
	v_lshlrev_b32_e32 v27, 8, v33
	v_lshlrev_b32_e32 v28, 7, v33
	v_and_or_b32 v26, 0x100, v27, v26
	v_bfe_u32 v27, v29, 8, 8
	s_waitcnt vmcnt(0)
	v_lshlrev_b32_e32 v32, 21, v34
	v_lshrrev_b32_e32 v31, 16, v34
	v_lshlrev_b32_e32 v26, 2, v26
	v_and_or_b32 v27, 0x100, v28, v27
	v_and_b32_e32 v28, 0xff, v34
	global_load_dword v26, v26, s[0:1]
	v_lshlrev_b32_e32 v27, 2, v27
	v_lshl_or_b32 v32, v28, 7, v32
	global_load_dword v27, v27, s[0:1]
	v_and_b32_e32 v35, 0x1800180, v32
	v_bfe_u32 v32, v32, 24, 1
	v_cmp_ne_u16_sdwa s12, v35, v17 src0_sel:BYTE_1 src1_sel:DWORD
	v_cmp_ne_u16_e32 vcc_lo, 0, v32
	v_lshrrev_b16 v32, 7, v35
	v_lshrrev_b32_e32 v35, 2, v34
	v_cndmask_b32_e64 v38, 0, -1, s12
	v_cndmask_b32_e64 v40, 0, -1, vcc_lo
	v_bfe_i32 v32, v32, 0, 1
	v_bfe_i32 v35, v35, 0, 1
	v_lshlrev_b16 v38, 8, v38
	v_lshlrev_b16 v40, 8, v40
	v_or_b32_sdwa v39, v32, v38 dst_sel:DWORD dst_unused:UNUSED_PAD src0_sel:BYTE_0 src1_sel:DWORD
	v_or_b32_sdwa v41, v35, v40 dst_sel:WORD_1 dst_unused:UNUSED_PAD src0_sel:BYTE_0 src1_sel:DWORD
	v_lshlrev_b16 v32, 8, v32
	v_lshlrev_b16 v35, 8, v35
	v_or_b32_sdwa v39, v39, v41 dst_sel:DWORD dst_unused:UNUSED_PAD src0_sel:WORD_0 src1_sel:DWORD
	v_lshlrev_b32_e32 v41, 17, v34
	v_lshl_or_b32 v28, v28, 3, v41
	v_and_b32_e32 v41, 0x1800180, v28
	v_bfe_u32 v28, v28, 24, 1
	v_cmp_ne_u16_sdwa s12, v41, v17 src0_sel:BYTE_1 src1_sel:DWORD
	v_cmp_ne_u16_e32 vcc_lo, 0, v28
	v_lshrrev_b16 v28, 7, v41
	v_lshrrev_b32_e32 v41, 6, v34
	v_cndmask_b32_e64 v42, 0, -1, s12
	v_cndmask_b32_e64 v44, 0, -1, vcc_lo
	v_bfe_i32 v28, v28, 0, 1
	v_bfe_i32 v41, v41, 0, 1
	v_lshlrev_b16 v42, 8, v42
	v_lshlrev_b16 v44, 8, v44
	v_or_b32_sdwa v43, v28, v42 dst_sel:DWORD dst_unused:UNUSED_PAD src0_sel:BYTE_0 src1_sel:DWORD
	v_or_b32_sdwa v45, v41, v44 dst_sel:WORD_1 dst_unused:UNUSED_PAD src0_sel:BYTE_0 src1_sel:DWORD
	v_lshlrev_b16 v28, 8, v28
	v_or_b32_sdwa v43, v43, v45 dst_sel:DWORD dst_unused:UNUSED_PAD src0_sel:WORD_0 src1_sel:DWORD
	s_waitcnt vmcnt(1)
	v_xor_b32_e32 v26, v26, v39
	v_lshrrev_b32_e32 v39, 16, v26
	v_and_b32_e32 v45, 0xffffff00, v26
	v_lshlrev_b16 v26, 8, v26
	s_waitcnt vmcnt(0)
	v_xor_b32_e32 v27, v27, v43
	v_lshrrev_b32_e32 v43, 14, v34
	v_sub_nc_i16 v38, v45, v38 clamp
	v_sub_nc_i16 v26, v26, v32 clamp
	v_and_b32_e32 v32, 0xffffff00, v39
	v_bfe_i32 v43, v43, 0, 1
	v_perm_b32 v26, v26, v38, 0xc0c0105
	v_lshlrev_b16 v38, 8, v39
	v_sub_nc_i16 v32, v32, v40 clamp
	v_sub_nc_i16 v35, v38, v35 clamp
	v_lshrrev_b32_e32 v38, 10, v34
	v_perm_b32 v32, v35, v32, 0xc0c0105
	v_and_b32_e32 v35, 0xffffff00, v27
	v_bfe_i32 v38, v38, 0, 1
	v_lshl_or_b32 v26, v32, 16, v26
	v_lshrrev_b32_e32 v32, 16, v27
	v_lshlrev_b16 v27, 8, v27
	v_sub_nc_i16 v35, v35, v42 clamp
	v_lshrrev_b32_e32 v42, 15, v34
	v_sub_nc_i16 v27, v27, v28 clamp
	v_and_b32_e32 v28, 0xffffff00, v32
	v_lshlrev_b16 v32, 8, v32
	v_bfe_i32 v42, v42, 0, 1
	v_perm_b32 v27, v27, v35, 0xc0c0105
	v_lshlrev_b16 v35, 8, v41
	v_sub_nc_i16 v28, v28, v44 clamp
	v_lshlrev_b16 v42, 8, v42
	v_sub_nc_i16 v32, v32, v35 clamp
	v_lshrrev_b32_e32 v35, 11, v34
	v_or_b32_sdwa v46, v43, v42 dst_sel:WORD_1 dst_unused:UNUSED_PAD src0_sel:BYTE_0 src1_sel:DWORD
	v_perm_b32 v28, v32, v28, 0xc0c0105
	v_lshlrev_b32_e32 v32, 6, v33
	v_bfe_i32 v35, v35, 0, 1
	v_lshl_or_b32 v27, v28, 16, v27
	v_bfe_u32 v28, v29, 16, 8
	v_lshrrev_b32_e32 v29, 24, v29
	v_lshlrev_b16 v35, 8, v35
	v_and_or_b32 v28, 0x100, v32, v28
	v_lshlrev_b32_e32 v32, 5, v33
	v_or_b32_sdwa v41, v38, v35 dst_sel:WORD_1 dst_unused:UNUSED_PAD src0_sel:BYTE_0 src1_sel:DWORD
	v_lshlrev_b16 v38, 8, v38
	v_lshlrev_b32_e32 v28, 2, v28
	v_and_or_b32 v29, 0x100, v32, v29
	v_lshrrev_b32_e32 v32, 1, v34
	global_load_dword v28, v28, s[0:1]
	v_lshlrev_b32_e32 v29, 2, v29
	v_and_b32_e32 v32, 0x180, v32
	global_load_dword v29, v29, s[0:1]
	v_cmp_ne_u16_sdwa s12, v32, v17 src0_sel:BYTE_1 src1_sel:DWORD
	v_lshrrev_b16 v32, 7, v32
	v_cndmask_b32_e64 v39, 0, -1, s12
	v_bfe_i32 v32, v32, 0, 1
	v_lshlrev_b16 v39, 8, v39
	v_or_b32_sdwa v40, v32, v39 dst_sel:DWORD dst_unused:UNUSED_PAD src0_sel:BYTE_0 src1_sel:DWORD
	v_lshlrev_b16 v32, 8, v32
	v_or_b32_sdwa v40, v40, v41 dst_sel:DWORD dst_unused:UNUSED_PAD src0_sel:WORD_0 src1_sel:DWORD
	v_lshrrev_b32_e32 v41, 5, v34
	v_and_b32_e32 v41, 0x180, v41
	v_cmp_ne_u16_sdwa s12, v41, v17 src0_sel:BYTE_1 src1_sel:DWORD
	v_lshrrev_b16 v41, 7, v41
	v_cndmask_b32_e64 v44, 0, -1, s12
	v_bfe_i32 v41, v41, 0, 1
	v_lshlrev_b16 v44, 8, v44
	v_or_b32_sdwa v45, v41, v44 dst_sel:DWORD dst_unused:UNUSED_PAD src0_sel:BYTE_0 src1_sel:DWORD
	v_or_b32_sdwa v45, v45, v46 dst_sel:DWORD dst_unused:UNUSED_PAD src0_sel:WORD_0 src1_sel:DWORD
	s_waitcnt vmcnt(1)
	v_xor_b32_e32 v28, v28, v40
	v_lshrrev_b32_e32 v40, 16, v28
	v_and_b32_e32 v46, 0xffffff00, v28
	v_lshlrev_b16 v28, 8, v28
	s_waitcnt vmcnt(0)
	v_xor_b32_e32 v29, v29, v45
	v_sub_nc_i16 v39, v46, v39 clamp
	v_sub_nc_i16 v28, v28, v32 clamp
	v_and_b32_e32 v32, 0xffffff00, v40
	v_perm_b32 v28, v28, v39, 0xc0c0105
	v_sub_nc_i16 v32, v32, v35 clamp
	v_lshlrev_b16 v35, 8, v40
	v_sub_nc_i16 v35, v35, v38 clamp
	v_lshlrev_b16 v38, 8, v41
	v_perm_b32 v32, v35, v32, 0xc0c0105
	v_and_b32_e32 v35, 0xffffff00, v29
	v_lshl_or_b32 v28, v32, 16, v28
	v_lshrrev_b32_e32 v32, 16, v29
	v_lshlrev_b16 v29, 8, v29
	v_sub_nc_i16 v35, v35, v44 clamp
	v_sub_nc_i16 v29, v29, v38 clamp
	v_lshlrev_b16 v38, 8, v43
	v_perm_b32 v29, v29, v35, 0xc0c0105
	v_and_b32_e32 v35, 0xffffff00, v32
	v_lshlrev_b16 v32, 8, v32
	v_sub_nc_i16 v35, v35, v42 clamp
	v_sub_nc_i16 v32, v32, v38 clamp
	v_lshlrev_b32_e32 v38, 3, v33
	v_perm_b32 v32, v32, v35, 0xc0c0105
	v_lshlrev_b32_e32 v35, 4, v33
	v_lshl_or_b32 v29, v32, 16, v29
	v_and_b32_e32 v32, 0xff, v30
	v_and_or_b32 v32, 0x100, v35, v32
	v_bfe_u32 v35, v30, 8, 8
	v_lshlrev_b32_e32 v32, 2, v32
	v_and_or_b32 v35, 0x100, v38, v35
	v_lshrrev_b32_e32 v38, 9, v34
	global_load_dword v32, v32, s[0:1]
	v_lshlrev_b32_e32 v35, 2, v35
	v_lshl_or_b32 v38, v31, 21, v38
	global_load_dword v35, v35, s[0:1]
	v_and_b32_e32 v39, 0x1800180, v38
	v_bfe_u32 v38, v38, 24, 1
	v_cmp_ne_u16_sdwa s12, v39, v17 src0_sel:BYTE_1 src1_sel:DWORD
	v_cmp_ne_u16_e32 vcc_lo, 0, v38
	v_lshrrev_b16 v38, 7, v39
	v_lshrrev_b32_e32 v39, 18, v34
	v_cndmask_b32_e64 v40, 0, -1, s12
	v_cndmask_b32_e64 v42, 0, -1, vcc_lo
	v_bfe_i32 v38, v38, 0, 1
	v_bfe_i32 v39, v39, 0, 1
	v_lshlrev_b16 v40, 8, v40
	v_lshlrev_b16 v42, 8, v42
	v_or_b32_sdwa v41, v38, v40 dst_sel:DWORD dst_unused:UNUSED_PAD src0_sel:BYTE_0 src1_sel:DWORD
	v_or_b32_sdwa v43, v39, v42 dst_sel:WORD_1 dst_unused:UNUSED_PAD src0_sel:BYTE_0 src1_sel:DWORD
	v_lshlrev_b16 v38, 8, v38
	v_lshlrev_b16 v39, 8, v39
	v_or_b32_sdwa v41, v41, v43 dst_sel:DWORD dst_unused:UNUSED_PAD src0_sel:WORD_0 src1_sel:DWORD
	v_lshrrev_b32_e32 v43, 13, v34
	v_lshl_or_b32 v31, v31, 17, v43
	v_and_b32_e32 v43, 0x1800180, v31
	v_bfe_u32 v31, v31, 24, 1
	v_cmp_ne_u16_sdwa s12, v43, v17 src0_sel:BYTE_1 src1_sel:DWORD
	v_cmp_ne_u16_e32 vcc_lo, 0, v31
	v_lshrrev_b16 v31, 7, v43
	v_lshrrev_b32_e32 v43, 22, v34
	v_cndmask_b32_e64 v46, 0, -1, vcc_lo
	v_bfe_i32 v44, v31, 0, 1
	v_cndmask_b32_e64 v31, 0, -1, s12
	v_bfe_i32 v43, v43, 0, 1
	v_lshlrev_b16 v46, 8, v46
	v_lshlrev_b16 v45, 8, v31
	v_or_b32_sdwa v47, v43, v46 dst_sel:WORD_1 dst_unused:UNUSED_PAD src0_sel:BYTE_0 src1_sel:DWORD
	v_or_b32_sdwa v31, v44, v45 dst_sel:DWORD dst_unused:UNUSED_PAD src0_sel:BYTE_0 src1_sel:DWORD
	v_or_b32_sdwa v47, v31, v47 dst_sel:DWORD dst_unused:UNUSED_PAD src0_sel:WORD_0 src1_sel:DWORD
	s_waitcnt vmcnt(1)
	v_xor_b32_e32 v31, v32, v41
	v_lshrrev_b32_e32 v32, 16, v31
	v_and_b32_e32 v41, 0xffffff00, v31
	v_lshlrev_b16 v31, 8, v31
	v_sub_nc_i16 v40, v41, v40 clamp
	v_sub_nc_i16 v31, v31, v38 clamp
	v_and_b32_e32 v38, 0xffffff00, v32
	v_lshlrev_b16 v32, 8, v32
	v_perm_b32 v31, v31, v40, 0xc0c0105
	v_sub_nc_i16 v38, v38, v42 clamp
	v_sub_nc_i16 v32, v32, v39 clamp
	v_lshlrev_b16 v39, 8, v44
	v_lshrrev_b32_e32 v44, 31, v34
	v_perm_b32 v32, v32, v38, 0xc0c0105
	v_lshl_or_b32 v31, v32, 16, v31
	s_waitcnt vmcnt(0)
	v_xor_b32_e32 v32, v35, v47
	v_mov_b32_e32 v47, 0
	v_lshrrev_b32_e32 v35, 16, v32
	v_and_b32_e32 v38, 0xffffff00, v32
	v_lshlrev_b16 v32, 8, v32
	v_sub_nc_i16 v38, v38, v45 clamp
	v_sub_nc_i16 v32, v32, v39 clamp
	v_lshlrev_b16 v39, 8, v43
	v_perm_b32 v32, v32, v38, 0xc0c0105
	v_and_b32_e32 v38, 0xffffff00, v35
	v_lshlrev_b16 v35, 8, v35
	v_sub_nc_i16 v38, v38, v46 clamp
	v_sub_nc_i16 v35, v35, v39 clamp
	v_perm_b32 v35, v35, v38, 0xc0c0105
	v_lshlrev_b32_e32 v38, 2, v33
	v_lshlrev_b32_e32 v33, 1, v33
	v_lshl_or_b32 v32, v35, 16, v32
	v_bfe_u32 v35, v30, 16, 8
	v_lshrrev_b32_e32 v30, 24, v30
	v_and_or_b32 v35, 0x100, v38, v35
	v_and_or_b32 v30, 0x100, v33, v30
	v_lshrrev_b32_e32 v33, 17, v34
	v_lshrrev_b32_e32 v38, 24, v34
	v_lshlrev_b32_e32 v35, 2, v35
	v_lshlrev_b32_e32 v30, 2, v30
	v_lshl_or_b32 v33, v38, 21, v33
	s_clause 0x1
	global_load_dword v35, v35, s[0:1]
	global_load_dword v30, v30, s[0:1]
	v_and_b32_e32 v38, 0x1800180, v33
	v_bfe_u32 v33, v33, 24, 1
	v_cmp_ne_u16_sdwa s0, v38, v17 src0_sel:BYTE_1 src1_sel:DWORD
	v_cmp_ne_u16_e32 vcc_lo, 0, v33
	v_lshrrev_b16 v33, 7, v38
	v_lshrrev_b32_e32 v38, 26, v34
	v_cndmask_b32_e64 v39, 0, -1, s0
	v_cndmask_b32_e64 v41, 0, -1, vcc_lo
	v_bfe_i32 v33, v33, 0, 1
	v_bfe_i32 v38, v38, 0, 1
	v_cmp_ne_u16_e32 vcc_lo, 0, v44
	v_lshlrev_b16 v39, 8, v39
	v_lshlrev_b16 v41, 8, v41
	v_cndmask_b32_e64 v45, 0, -1, vcc_lo
	v_or_b32_sdwa v40, v33, v39 dst_sel:DWORD dst_unused:UNUSED_PAD src0_sel:BYTE_0 src1_sel:DWORD
	v_or_b32_sdwa v42, v38, v41 dst_sel:WORD_1 dst_unused:UNUSED_PAD src0_sel:BYTE_0 src1_sel:DWORD
	v_lshlrev_b16 v33, 8, v33
	v_lshlrev_b16 v38, 8, v38
	;; [unrolled: 1-line block ×3, first 2 shown]
	v_or_b32_sdwa v40, v40, v42 dst_sel:DWORD dst_unused:UNUSED_PAD src0_sel:WORD_0 src1_sel:DWORD
	v_lshrrev_b32_e32 v42, 21, v34
	v_lshrrev_b32_e32 v34, 30, v34
	v_lshrrev_b16 v43, 8, v42
	v_lshrrev_b16 v42, 7, v42
	v_bfe_i32 v34, v34, 0, 1
	v_bfe_i32 v43, v43, 0, 1
	;; [unrolled: 1-line block ×3, first 2 shown]
	v_or_b32_sdwa v46, v34, v45 dst_sel:WORD_1 dst_unused:UNUSED_PAD src0_sel:BYTE_0 src1_sel:DWORD
	v_lshlrev_b16 v34, 8, v34
	v_lshlrev_b16 v43, 8, v43
	v_or_b32_sdwa v44, v42, v43 dst_sel:DWORD dst_unused:UNUSED_PAD src0_sel:BYTE_0 src1_sel:DWORD
	v_or_b32_sdwa v44, v44, v46 dst_sel:DWORD dst_unused:UNUSED_PAD src0_sel:WORD_0 src1_sel:DWORD
	s_waitcnt vmcnt(1)
	v_xor_b32_e32 v35, v35, v40
	s_waitcnt vmcnt(0)
	v_xor_b32_e32 v30, v30, v44
	v_lshrrev_b32_e32 v40, 16, v35
	v_and_b32_e32 v46, 0xffffff00, v35
	v_lshlrev_b16 v35, 8, v35
	v_sub_nc_i16 v39, v46, v39 clamp
	v_sub_nc_i16 v33, v35, v33 clamp
	v_and_b32_e32 v35, 0xffffff00, v40
	v_perm_b32 v33, v33, v39, 0xc0c0105
	v_lshlrev_b16 v39, 8, v40
	v_sub_nc_i16 v35, v35, v41 clamp
	v_sub_nc_i16 v38, v39, v38 clamp
	v_lshlrev_b16 v39, 8, v42
	v_perm_b32 v35, v38, v35, 0xc0c0105
	v_and_b32_e32 v38, 0xffffff00, v30
	v_lshl_or_b32 v33, v35, 16, v33
	v_lshrrev_b32_e32 v35, 16, v30
	v_lshlrev_b16 v30, 8, v30
	v_sub_nc_i16 v38, v38, v43 clamp
	v_sub_nc_i16 v30, v30, v39 clamp
	v_perm_b32 v30, v30, v38, 0xc0c0105
	v_and_b32_e32 v38, 0xffffff00, v35
	v_lshlrev_b16 v35, 8, v35
	v_sub_nc_i16 v38, v38, v45 clamp
	v_sub_nc_i16 v34, v35, v34 clamp
	v_mov_b32_e32 v45, 0
	v_perm_b32 v34, v34, v38, 0xc0c0105
	v_add_co_u32 v38, vcc_lo, v36, v19
	v_add_co_ci_u32_e64 v39, null, 0, v37, vcc_lo
	v_lshl_or_b32 v34, v34, 16, v30
	global_load_ubyte v30, v[38:39], off offset:106
	s_waitcnt vmcnt(0)
	v_lshrrev_b32_e32 v30, v20, v30
	v_lshlrev_b32_e32 v30, 1, v30
	v_and_or_b32 v35, v30, 30, 1
	global_load_ushort v30, v[36:37], off
	s_clause 0x2
	global_load_dwordx4 v[36:39], v[7:8], off offset:-16
	global_load_dword v44, v[7:8], off offset:16
	global_load_dwordx4 v[40:43], v[7:8], off
	v_add_co_u32 v7, vcc_lo, 0x480, v7
	v_add_co_ci_u32_e64 v8, null, 0, v8, vcc_lo
	v_cmp_le_u32_e32 vcc_lo, s10, v15
	s_or_b32 s3, vcc_lo, s3
	s_waitcnt vmcnt(2)
	v_dot4c_i32_i8 v45, v26, v37
	v_cvt_f32_f16_e32 v30, v30
	v_cvt_f32_f16_e32 v36, v36
	v_dot4c_i32_i8 v45, v27, v38
	v_mul_f32_e32 v36, v30, v36
	v_dot4c_i32_i8 v45, v28, v39
	s_waitcnt vmcnt(0)
	v_dot4c_i32_i8 v45, v29, v40
	v_dot4c_i32_i8 v45, v31, v41
	v_mad_u64_u32 v[40:41], null, v21, 36, v[2:3]
	v_add_nc_u32_e32 v21, 32, v21
	v_dot4c_i32_i8 v45, v32, v42
	v_dot4c_i32_i8 v45, v33, v43
	;; [unrolled: 1-line block ×3, first 2 shown]
	v_mul_lo_u32 v37, v45, v35
	v_mov_b32_e32 v45, 0
	v_cvt_f32_i32_e32 v37, v37
	v_fmac_f32_e32 v16, v36, v37
	s_clause 0x2
	global_load_dwordx4 v[36:39], v[40:41], off
	global_load_dword v44, v[40:41], off offset:32
	global_load_dwordx4 v[40:43], v[40:41], off offset:16
	s_waitcnt vmcnt(2)
	v_dot4c_i32_i8 v45, v26, v37
	v_cvt_f32_f16_e32 v36, v36
	v_dot4c_i32_i8 v45, v27, v38
	v_mul_f32_e32 v36, v30, v36
	v_dot4c_i32_i8 v45, v28, v39
	s_waitcnt vmcnt(0)
	v_dot4c_i32_i8 v45, v29, v40
	v_dot4c_i32_i8 v45, v31, v41
	v_mad_u64_u32 v[40:41], null, v23, 36, v[2:3]
	v_add_nc_u32_e32 v23, 32, v23
	v_dot4c_i32_i8 v45, v32, v42
	v_dot4c_i32_i8 v45, v33, v43
	;; [unrolled: 1-line block ×3, first 2 shown]
	v_mul_lo_u32 v37, v45, v35
	v_mov_b32_e32 v45, 0
	v_cvt_f32_i32_e32 v37, v37
	v_fmac_f32_e32 v14, v36, v37
	s_clause 0x2
	global_load_dwordx4 v[36:39], v[40:41], off
	global_load_dword v44, v[40:41], off offset:32
	global_load_dwordx4 v[40:43], v[40:41], off offset:16
	s_waitcnt vmcnt(2)
	v_dot4c_i32_i8 v45, v26, v37
	v_cvt_f32_f16_e32 v36, v36
	v_dot4c_i32_i8 v45, v27, v38
	v_mul_f32_e32 v36, v30, v36
	v_dot4c_i32_i8 v45, v28, v39
	s_waitcnt vmcnt(0)
	v_dot4c_i32_i8 v45, v29, v40
	v_dot4c_i32_i8 v45, v31, v41
	v_mad_u64_u32 v[40:41], null, v6, 36, v[2:3]
	v_add_nc_u32_e32 v6, 32, v6
	v_dot4c_i32_i8 v45, v32, v42
	v_dot4c_i32_i8 v45, v33, v43
	;; [unrolled: 1-line block ×3, first 2 shown]
	v_mul_lo_u32 v37, v45, v35
	v_cvt_f32_i32_e32 v37, v37
	v_fmac_f32_e32 v13, v36, v37
	s_clause 0x2
	global_load_dwordx4 v[36:39], v[40:41], off
	global_load_dword v44, v[40:41], off offset:32
	global_load_dwordx4 v[40:43], v[40:41], off offset:16
	s_waitcnt vmcnt(2)
	v_dot4c_i32_i8 v47, v26, v37
	v_dot4c_i32_i8 v47, v27, v38
	v_dot4c_i32_i8 v47, v28, v39
	s_waitcnt vmcnt(0)
	v_dot4c_i32_i8 v47, v29, v40
	v_dot4c_i32_i8 v47, v31, v41
	v_dot4c_i32_i8 v47, v32, v42
	v_mad_u64_u32 v[41:42], null, v22, 36, v[2:3]
	v_add_nc_u32_e32 v22, 32, v22
	v_dot4c_i32_i8 v47, v33, v43
	v_dot4c_i32_i8 v47, v34, v44
	s_clause 0x2
	global_load_dwordx4 v[37:40], v[41:42], off
	global_load_dword v45, v[41:42], off offset:32
	global_load_dwordx4 v[41:44], v[41:42], off offset:16
	s_waitcnt vmcnt(2)
	v_dot4c_i32_i8 v48, v26, v38
	v_dot4c_i32_i8 v48, v27, v39
	v_dot4c_i32_i8 v48, v28, v40
	s_waitcnt vmcnt(0)
	v_dot4c_i32_i8 v48, v29, v41
	v_dot4c_i32_i8 v48, v31, v42
	v_dot4c_i32_i8 v48, v32, v43
	v_mad_u64_u32 v[42:43], null, v5, 36, v[2:3]
	v_add_nc_u32_e32 v5, 32, v5
	v_dot4c_i32_i8 v48, v33, v44
	v_dot4c_i32_i8 v48, v34, v45
	;; [unrolled: 16-line block ×3, first 2 shown]
	s_clause 0x2
	global_load_dwordx4 v[39:42], v[43:44], off
	global_load_dword v50, v[43:44], off offset:32
	global_load_dwordx4 v[43:46], v[43:44], off offset:16
	s_waitcnt vmcnt(2)
	v_dot4c_i32_i8 v51, v26, v40
	v_mul_lo_u32 v26, v47, v35
	v_dot4c_i32_i8 v51, v27, v41
	v_mul_lo_u32 v27, v48, v35
	v_cvt_f32_i32_e32 v26, v26
	v_dot4c_i32_i8 v51, v28, v42
	v_mul_lo_u32 v28, v49, v35
	v_cvt_f32_i32_e32 v27, v27
	s_waitcnt vmcnt(0)
	v_dot4c_i32_i8 v51, v29, v43
	v_cvt_f32_i32_e32 v28, v28
	v_dot4c_i32_i8 v51, v31, v44
	v_cvt_f32_f16_e32 v31, v36
	v_dot4c_i32_i8 v51, v32, v45
	v_cvt_f32_f16_e32 v32, v37
	;; [unrolled: 2-line block ×3, first 2 shown]
	v_mul_f32_e32 v32, v30, v32
	v_dot4c_i32_i8 v51, v34, v50
	v_cvt_f32_f16_e32 v34, v39
	v_mul_f32_e32 v33, v30, v33
	v_fmac_f32_e32 v11, v32, v27
	v_mul_lo_u32 v29, v51, v35
	v_mul_f32_e32 v34, v30, v34
	v_mul_f32_e32 v30, v30, v31
	v_fmac_f32_e32 v10, v33, v28
	v_fmac_f32_e32 v12, v30, v26
	v_cvt_f32_i32_e32 v29, v29
	v_fmac_f32_e32 v9, v34, v29
	s_andn2_b32 exec_lo, exec_lo, s3
	s_cbranch_execnz .LBB262_2
; %bb.3:
	s_or_b32 exec_lo, exec_lo, s3
.LBB262_4:
	s_or_b32 exec_lo, exec_lo, s9
	s_mov_b32 s1, 0
	; wave barrier
	buffer_gl0_inv
	s_mov_b32 s0, exec_lo
	v_cmpx_eq_u32_e32 0, v1
	s_cbranch_execz .LBB262_19
; %bb.5:
	v_mbcnt_lo_u32_b32 v5, -1, 0
	s_load_dwordx2 s[4:5], s[4:5], 0x38
	s_mul_i32 s0, s14, s7
	s_mul_i32 s3, s18, s8
	s_add_i32 s0, s0, s6
	v_xor_b32_e32 v1, 16, v5
	v_xor_b32_e32 v2, 8, v5
	v_xor_b32_e32 v8, 1, v5
	s_add_i32 s0, s0, s3
	s_lshl_b64 s[0:1], s[0:1], 2
	v_cmp_gt_i32_e32 vcc_lo, 32, v1
	v_cndmask_b32_e32 v1, v5, v1, vcc_lo
	v_cmp_gt_i32_e32 vcc_lo, 32, v2
	v_lshlrev_b32_e32 v1, 2, v1
	v_cndmask_b32_e32 v2, v5, v2, vcc_lo
	s_waitcnt lgkmcnt(0)
	s_add_u32 s0, s4, s0
	s_addc_u32 s1, s5, s1
	ds_bpermute_b32 v3, v1, v16
	v_lshlrev_b32_e32 v2, 2, v2
	s_waitcnt lgkmcnt(0)
	v_add_f32_e32 v4, v16, v3
	v_xor_b32_e32 v3, 4, v5
	ds_bpermute_b32 v6, v2, v4
	v_cmp_gt_i32_e32 vcc_lo, 32, v3
	v_cndmask_b32_e32 v3, v5, v3, vcc_lo
	v_lshlrev_b32_e32 v3, 2, v3
	s_waitcnt lgkmcnt(0)
	v_add_f32_e32 v6, v4, v6
	v_xor_b32_e32 v4, 2, v5
	ds_bpermute_b32 v7, v3, v6
	v_cmp_gt_i32_e32 vcc_lo, 32, v4
	v_cndmask_b32_e32 v4, v5, v4, vcc_lo
	v_cmp_gt_i32_e32 vcc_lo, 32, v8
	v_lshlrev_b32_e32 v4, 2, v4
	v_cndmask_b32_e32 v5, v5, v8, vcc_lo
	v_cmp_eq_u32_e32 vcc_lo, 0, v0
	v_lshlrev_b32_e32 v5, 2, v5
	s_waitcnt lgkmcnt(0)
	v_add_f32_e32 v6, v6, v7
	ds_bpermute_b32 v7, v4, v6
	s_waitcnt lgkmcnt(0)
	v_add_f32_e32 v6, v6, v7
	ds_bpermute_b32 v7, v5, v6
	s_and_saveexec_b32 s3, vcc_lo
	s_cbranch_execz .LBB262_7
; %bb.6:
	s_waitcnt lgkmcnt(0)
	v_add_f32_e32 v0, v6, v7
	v_mov_b32_e32 v6, 0
	global_store_dword v6, v0, s[0:1]
.LBB262_7:
	s_or_b32 exec_lo, exec_lo, s3
	ds_bpermute_b32 v0, v1, v14
	s_waitcnt lgkmcnt(0)
	v_add_f32_e32 v0, v14, v0
	ds_bpermute_b32 v6, v2, v0
	s_waitcnt lgkmcnt(0)
	v_add_f32_e32 v0, v0, v6
	;; [unrolled: 3-line block ×4, first 2 shown]
	ds_bpermute_b32 v6, v5, v0
	s_and_saveexec_b32 s4, vcc_lo
	s_cbranch_execz .LBB262_9
; %bb.8:
	s_mov_b32 s3, 0
	s_waitcnt lgkmcnt(0)
	v_add_f32_e32 v0, v0, v6
	s_lshl_b64 s[6:7], s[2:3], 2
	v_mov_b32_e32 v6, 0
	s_add_u32 s6, s0, s6
	s_addc_u32 s7, s1, s7
	global_store_dword v6, v0, s[6:7]
.LBB262_9:
	s_or_b32 exec_lo, exec_lo, s4
	ds_bpermute_b32 v0, v1, v13
	s_waitcnt lgkmcnt(0)
	v_add_f32_e32 v0, v13, v0
	ds_bpermute_b32 v6, v2, v0
	s_waitcnt lgkmcnt(0)
	v_add_f32_e32 v0, v0, v6
	;; [unrolled: 3-line block ×4, first 2 shown]
	ds_bpermute_b32 v6, v5, v0
	s_and_saveexec_b32 s3, vcc_lo
	s_cbranch_execz .LBB262_11
; %bb.10:
	s_lshl_b32 s4, s2, 1
	s_mov_b32 s5, 0
	s_waitcnt lgkmcnt(0)
	v_add_f32_e32 v0, v0, v6
	s_lshl_b64 s[4:5], s[4:5], 2
	v_mov_b32_e32 v6, 0
	s_add_u32 s4, s0, s4
	s_addc_u32 s5, s1, s5
	global_store_dword v6, v0, s[4:5]
.LBB262_11:
	s_or_b32 exec_lo, exec_lo, s3
	ds_bpermute_b32 v0, v1, v12
	s_waitcnt lgkmcnt(0)
	v_add_f32_e32 v0, v12, v0
	ds_bpermute_b32 v6, v2, v0
	s_waitcnt lgkmcnt(0)
	v_add_f32_e32 v0, v0, v6
	ds_bpermute_b32 v6, v3, v0
	s_waitcnt lgkmcnt(0)
	v_add_f32_e32 v0, v0, v6
	ds_bpermute_b32 v6, v4, v0
	s_waitcnt lgkmcnt(0)
	v_add_f32_e32 v0, v0, v6
	ds_bpermute_b32 v6, v5, v0
	s_and_saveexec_b32 s3, vcc_lo
	s_cbranch_execz .LBB262_13
; %bb.12:
	s_mul_i32 s4, s2, 3
	s_mov_b32 s5, 0
	s_waitcnt lgkmcnt(0)
	v_add_f32_e32 v0, v0, v6
	s_lshl_b64 s[4:5], s[4:5], 2
	v_mov_b32_e32 v6, 0
	s_add_u32 s4, s0, s4
	s_addc_u32 s5, s1, s5
	global_store_dword v6, v0, s[4:5]
.LBB262_13:
	s_or_b32 exec_lo, exec_lo, s3
	ds_bpermute_b32 v0, v1, v11
	s_waitcnt lgkmcnt(0)
	v_add_f32_e32 v0, v11, v0
	ds_bpermute_b32 v6, v2, v0
	s_waitcnt lgkmcnt(0)
	v_add_f32_e32 v0, v0, v6
	;; [unrolled: 3-line block ×4, first 2 shown]
	ds_bpermute_b32 v6, v5, v0
	s_and_saveexec_b32 s3, vcc_lo
	s_cbranch_execz .LBB262_15
; %bb.14:
	s_lshl_b32 s4, s2, 2
	s_mov_b32 s5, 0
	s_waitcnt lgkmcnt(0)
	v_add_f32_e32 v0, v0, v6
	s_lshl_b64 s[4:5], s[4:5], 2
	v_mov_b32_e32 v6, 0
	s_add_u32 s4, s0, s4
	s_addc_u32 s5, s1, s5
	global_store_dword v6, v0, s[4:5]
.LBB262_15:
	s_or_b32 exec_lo, exec_lo, s3
	ds_bpermute_b32 v0, v1, v10
	s_waitcnt lgkmcnt(0)
	v_add_f32_e32 v0, v10, v0
	ds_bpermute_b32 v6, v2, v0
	s_waitcnt lgkmcnt(0)
	v_add_f32_e32 v0, v0, v6
	;; [unrolled: 3-line block ×4, first 2 shown]
	ds_bpermute_b32 v6, v5, v0
	s_and_saveexec_b32 s3, vcc_lo
	s_cbranch_execz .LBB262_17
; %bb.16:
	s_mul_i32 s4, s2, 5
	s_mov_b32 s5, 0
	s_waitcnt lgkmcnt(0)
	v_add_f32_e32 v0, v0, v6
	s_lshl_b64 s[4:5], s[4:5], 2
	v_mov_b32_e32 v6, 0
	s_add_u32 s4, s0, s4
	s_addc_u32 s5, s1, s5
	global_store_dword v6, v0, s[4:5]
.LBB262_17:
	s_or_b32 exec_lo, exec_lo, s3
	ds_bpermute_b32 v0, v1, v9
	s_waitcnt lgkmcnt(0)
	v_add_f32_e32 v0, v9, v0
	ds_bpermute_b32 v1, v2, v0
	s_waitcnt lgkmcnt(0)
	v_add_f32_e32 v0, v0, v1
	;; [unrolled: 3-line block ×4, first 2 shown]
	ds_bpermute_b32 v1, v5, v0
	s_and_b32 exec_lo, exec_lo, vcc_lo
	s_cbranch_execz .LBB262_19
; %bb.18:
	s_mul_i32 s2, s2, 6
	s_mov_b32 s3, 0
	s_waitcnt lgkmcnt(0)
	v_add_f32_e32 v0, v0, v1
	s_lshl_b64 s[2:3], s[2:3], 2
	v_mov_b32_e32 v1, 0
	s_add_u32 s0, s0, s2
	s_addc_u32 s1, s1, s3
	global_store_dword v1, v0, s[0:1]
.LBB262_19:
	s_endpgm
	.section	.rodata,"a",@progbits
	.p2align	6, 0x0
	.amdhsa_kernel _ZL13mul_mat_vec_qIL9ggml_type21ELi7ELb0ELb0EEvPKvS2_PKi31ggml_cuda_mm_fusion_args_devicePfj15HIP_vector_typeIjLj3EEjjjS8_jjjS8_jjjj
		.amdhsa_group_segment_fixed_size 0
		.amdhsa_private_segment_fixed_size 0
		.amdhsa_kernarg_size 144
		.amdhsa_user_sgpr_count 6
		.amdhsa_user_sgpr_private_segment_buffer 1
		.amdhsa_user_sgpr_dispatch_ptr 0
		.amdhsa_user_sgpr_queue_ptr 0
		.amdhsa_user_sgpr_kernarg_segment_ptr 1
		.amdhsa_user_sgpr_dispatch_id 0
		.amdhsa_user_sgpr_flat_scratch_init 0
		.amdhsa_user_sgpr_private_segment_size 0
		.amdhsa_wavefront_size32 1
		.amdhsa_uses_dynamic_stack 0
		.amdhsa_system_sgpr_private_segment_wavefront_offset 0
		.amdhsa_system_sgpr_workgroup_id_x 1
		.amdhsa_system_sgpr_workgroup_id_y 1
		.amdhsa_system_sgpr_workgroup_id_z 1
		.amdhsa_system_sgpr_workgroup_info 0
		.amdhsa_system_vgpr_workitem_id 1
		.amdhsa_next_free_vgpr 52
		.amdhsa_next_free_sgpr 28
		.amdhsa_reserve_vcc 1
		.amdhsa_reserve_flat_scratch 0
		.amdhsa_float_round_mode_32 0
		.amdhsa_float_round_mode_16_64 0
		.amdhsa_float_denorm_mode_32 3
		.amdhsa_float_denorm_mode_16_64 3
		.amdhsa_dx10_clamp 1
		.amdhsa_ieee_mode 1
		.amdhsa_fp16_overflow 0
		.amdhsa_workgroup_processor_mode 1
		.amdhsa_memory_ordered 1
		.amdhsa_forward_progress 1
		.amdhsa_shared_vgpr_count 0
		.amdhsa_exception_fp_ieee_invalid_op 0
		.amdhsa_exception_fp_denorm_src 0
		.amdhsa_exception_fp_ieee_div_zero 0
		.amdhsa_exception_fp_ieee_overflow 0
		.amdhsa_exception_fp_ieee_underflow 0
		.amdhsa_exception_fp_ieee_inexact 0
		.amdhsa_exception_int_div_zero 0
	.end_amdhsa_kernel
	.section	.text._ZL13mul_mat_vec_qIL9ggml_type21ELi7ELb0ELb0EEvPKvS2_PKi31ggml_cuda_mm_fusion_args_devicePfj15HIP_vector_typeIjLj3EEjjjS8_jjjS8_jjjj,"axG",@progbits,_ZL13mul_mat_vec_qIL9ggml_type21ELi7ELb0ELb0EEvPKvS2_PKi31ggml_cuda_mm_fusion_args_devicePfj15HIP_vector_typeIjLj3EEjjjS8_jjjS8_jjjj,comdat
.Lfunc_end262:
	.size	_ZL13mul_mat_vec_qIL9ggml_type21ELi7ELb0ELb0EEvPKvS2_PKi31ggml_cuda_mm_fusion_args_devicePfj15HIP_vector_typeIjLj3EEjjjS8_jjjS8_jjjj, .Lfunc_end262-_ZL13mul_mat_vec_qIL9ggml_type21ELi7ELb0ELb0EEvPKvS2_PKi31ggml_cuda_mm_fusion_args_devicePfj15HIP_vector_typeIjLj3EEjjjS8_jjjS8_jjjj
                                        ; -- End function
	.set _ZL13mul_mat_vec_qIL9ggml_type21ELi7ELb0ELb0EEvPKvS2_PKi31ggml_cuda_mm_fusion_args_devicePfj15HIP_vector_typeIjLj3EEjjjS8_jjjS8_jjjj.num_vgpr, 52
	.set _ZL13mul_mat_vec_qIL9ggml_type21ELi7ELb0ELb0EEvPKvS2_PKi31ggml_cuda_mm_fusion_args_devicePfj15HIP_vector_typeIjLj3EEjjjS8_jjjS8_jjjj.num_agpr, 0
	.set _ZL13mul_mat_vec_qIL9ggml_type21ELi7ELb0ELb0EEvPKvS2_PKi31ggml_cuda_mm_fusion_args_devicePfj15HIP_vector_typeIjLj3EEjjjS8_jjjS8_jjjj.numbered_sgpr, 28
	.set _ZL13mul_mat_vec_qIL9ggml_type21ELi7ELb0ELb0EEvPKvS2_PKi31ggml_cuda_mm_fusion_args_devicePfj15HIP_vector_typeIjLj3EEjjjS8_jjjS8_jjjj.num_named_barrier, 0
	.set _ZL13mul_mat_vec_qIL9ggml_type21ELi7ELb0ELb0EEvPKvS2_PKi31ggml_cuda_mm_fusion_args_devicePfj15HIP_vector_typeIjLj3EEjjjS8_jjjS8_jjjj.private_seg_size, 0
	.set _ZL13mul_mat_vec_qIL9ggml_type21ELi7ELb0ELb0EEvPKvS2_PKi31ggml_cuda_mm_fusion_args_devicePfj15HIP_vector_typeIjLj3EEjjjS8_jjjS8_jjjj.uses_vcc, 1
	.set _ZL13mul_mat_vec_qIL9ggml_type21ELi7ELb0ELb0EEvPKvS2_PKi31ggml_cuda_mm_fusion_args_devicePfj15HIP_vector_typeIjLj3EEjjjS8_jjjS8_jjjj.uses_flat_scratch, 0
	.set _ZL13mul_mat_vec_qIL9ggml_type21ELi7ELb0ELb0EEvPKvS2_PKi31ggml_cuda_mm_fusion_args_devicePfj15HIP_vector_typeIjLj3EEjjjS8_jjjS8_jjjj.has_dyn_sized_stack, 0
	.set _ZL13mul_mat_vec_qIL9ggml_type21ELi7ELb0ELb0EEvPKvS2_PKi31ggml_cuda_mm_fusion_args_devicePfj15HIP_vector_typeIjLj3EEjjjS8_jjjS8_jjjj.has_recursion, 0
	.set _ZL13mul_mat_vec_qIL9ggml_type21ELi7ELb0ELb0EEvPKvS2_PKi31ggml_cuda_mm_fusion_args_devicePfj15HIP_vector_typeIjLj3EEjjjS8_jjjS8_jjjj.has_indirect_call, 0
	.section	.AMDGPU.csdata,"",@progbits
; Kernel info:
; codeLenInByte = 4600
; TotalNumSgprs: 30
; NumVgprs: 52
; ScratchSize: 0
; MemoryBound: 0
; FloatMode: 240
; IeeeMode: 1
; LDSByteSize: 0 bytes/workgroup (compile time only)
; SGPRBlocks: 0
; VGPRBlocks: 6
; NumSGPRsForWavesPerEU: 30
; NumVGPRsForWavesPerEU: 52
; Occupancy: 16
; WaveLimiterHint : 0
; COMPUTE_PGM_RSRC2:SCRATCH_EN: 0
; COMPUTE_PGM_RSRC2:USER_SGPR: 6
; COMPUTE_PGM_RSRC2:TRAP_HANDLER: 0
; COMPUTE_PGM_RSRC2:TGID_X_EN: 1
; COMPUTE_PGM_RSRC2:TGID_Y_EN: 1
; COMPUTE_PGM_RSRC2:TGID_Z_EN: 1
; COMPUTE_PGM_RSRC2:TIDIG_COMP_CNT: 1
	.section	.text._ZL13mul_mat_vec_qIL9ggml_type21ELi8ELb0ELb0EEvPKvS2_PKi31ggml_cuda_mm_fusion_args_devicePfj15HIP_vector_typeIjLj3EEjjjS8_jjjS8_jjjj,"axG",@progbits,_ZL13mul_mat_vec_qIL9ggml_type21ELi8ELb0ELb0EEvPKvS2_PKi31ggml_cuda_mm_fusion_args_devicePfj15HIP_vector_typeIjLj3EEjjjS8_jjjS8_jjjj,comdat
	.globl	_ZL13mul_mat_vec_qIL9ggml_type21ELi8ELb0ELb0EEvPKvS2_PKi31ggml_cuda_mm_fusion_args_devicePfj15HIP_vector_typeIjLj3EEjjjS8_jjjS8_jjjj ; -- Begin function _ZL13mul_mat_vec_qIL9ggml_type21ELi8ELb0ELb0EEvPKvS2_PKi31ggml_cuda_mm_fusion_args_devicePfj15HIP_vector_typeIjLj3EEjjjS8_jjjS8_jjjj
	.p2align	8
	.type	_ZL13mul_mat_vec_qIL9ggml_type21ELi8ELb0ELb0EEvPKvS2_PKi31ggml_cuda_mm_fusion_args_devicePfj15HIP_vector_typeIjLj3EEjjjS8_jjjS8_jjjj,@function
_ZL13mul_mat_vec_qIL9ggml_type21ELi8ELb0ELb0EEvPKvS2_PKi31ggml_cuda_mm_fusion_args_devicePfj15HIP_vector_typeIjLj3EEjjjS8_jjjS8_jjjj: ; @_ZL13mul_mat_vec_qIL9ggml_type21ELi8ELb0ELb0EEvPKvS2_PKi31ggml_cuda_mm_fusion_args_devicePfj15HIP_vector_typeIjLj3EEjjjS8_jjjS8_jjjj
; %bb.0:
	s_clause 0x5
	s_load_dword s9, s[4:5], 0x40
	s_load_dwordx4 s[0:3], s[4:5], 0x50
	s_load_dword s10, s[4:5], 0x60
	s_load_dwordx4 s[12:15], s[4:5], 0x68
	;; [unrolled: 2-line block ×3, first 2 shown]
	v_lshl_or_b32 v2, v1, 5, v0
	v_mov_b32_e32 v6, 0
	v_mov_b32_e32 v7, 0
	;; [unrolled: 1-line block ×4, first 2 shown]
	v_lshrrev_b32_e32 v13, 3, v2
	v_mov_b32_e32 v10, 0
	v_mov_b32_e32 v11, 0
	;; [unrolled: 1-line block ×4, first 2 shown]
	s_waitcnt lgkmcnt(0)
	s_lshr_b32 s19, s9, 8
	s_mov_b32 s9, exec_lo
	v_cmpx_gt_u32_e64 s19, v13
	s_cbranch_execz .LBB263_4
; %bb.1:
	s_mul_i32 s13, s13, s7
	s_load_dwordx4 s[20:23], s[4:5], 0x0
	s_mul_hi_u32 s25, s13, 36
	s_mul_i32 s24, s13, 36
	s_mul_i32 s17, s17, s8
	v_mad_u64_u32 v[2:3], null, 0x120, v13, s[24:25]
	v_and_b32_e32 v15, 7, v0
	v_lshlrev_b32_e32 v6, 1, v0
	s_mul_hi_u32 s3, s3, s7
	s_mul_hi_u32 s15, s15, s8
	s_add_i32 s3, s7, s3
	s_add_i32 s15, s8, s15
	v_mad_u64_u32 v[4:5], null, s17, 36, v[2:3]
	s_mul_i32 s27, s17, 36
	s_lshr_b32 s3, s3, s10
	s_lshr_b32 s10, s15, s11
	v_and_b32_e32 v7, 14, v6
	s_mul_hi_u32 s26, s17, 36
	s_mul_i32 s3, s3, s12
	v_mad_u64_u32 v[4:5], null, v15, 36, v[4:5]
	s_mul_i32 s12, s10, s16
	s_waitcnt lgkmcnt(0)
	s_add_u32 s10, s22, s27
	s_addc_u32 s11, s23, s26
	s_add_u32 s10, s10, s24
	s_addc_u32 s11, s11, s25
	v_lshlrev_b32_e32 v8, 1, v7
	v_add_co_u32 v4, vcc_lo, s22, v4
	v_add_co_ci_u32_e64 v5, null, s23, v5, vcc_lo
	v_mad_u64_u32 v[2:3], null, v15, 36, s[10:11]
	v_add_co_u32 v4, vcc_lo, v4, 16
	s_mul_i32 s0, s0, s6
	v_mov_b32_e32 v16, 0
	v_bfe_u32 v17, v6, 2, 2
	v_and_b32_e32 v18, 4, v8
	v_lshlrev_b32_e32 v19, 3, v13
	v_add_co_ci_u32_e64 v5, null, 0, v5, vcc_lo
	v_lshlrev_b32_e32 v20, 1, v8
	v_lshlrev_b32_e32 v21, 1, v7
	v_mov_b32_e32 v9, 0
	v_mov_b32_e32 v8, 0
	;; [unrolled: 1-line block ×8, first 2 shown]
	s_add_i32 s3, s3, s0
	s_mul_i32 s13, s1, 5
	s_add_i32 s0, s12, s3
	s_mul_i32 s3, s1, 7
	s_mul_i32 s12, s1, 6
	s_lshl_b32 s15, s1, 2
	s_mul_i32 s16, s1, 3
	s_lshl_b32 s22, s1, 1
	s_mov_b32 s17, 0
.LBB263_2:                              ; =>This Inner Loop Header: Depth=1
	v_add_nc_u32_e32 v22, s0, v13
	s_getpc_b64 s[10:11]
	s_add_u32 s10, s10, _ZL9iq3s_grid@rel32@lo+4
	s_addc_u32 s11, s11, _ZL9iq3s_grid@rel32@hi+12
	v_mov_b32_e32 v44, 0
	v_mov_b32_e32 v45, 0
	;; [unrolled: 1-line block ×3, first 2 shown]
	v_mad_i64_i32 v[32:33], null, 0x6e, v22, s[20:21]
	v_add_nc_u32_e32 v13, 4, v13
	v_add_co_u32 v22, vcc_lo, v32, v20
	v_add_co_ci_u32_e64 v23, null, 0, v33, vcc_lo
	global_load_dwordx2 v[25:26], v[22:23], off offset:2
	v_add_co_u32 v22, vcc_lo, v32, v15
	v_add_co_ci_u32_e64 v23, null, 0, v33, vcc_lo
	global_load_ubyte v29, v[22:23], off offset:66
	v_add_co_u32 v22, vcc_lo, v32, v21
	v_add_co_ci_u32_e64 v23, null, 0, v33, vcc_lo
	global_load_dword v30, v[22:23], off offset:74
	s_waitcnt vmcnt(2)
	v_and_b32_e32 v22, 0xff, v25
	s_waitcnt vmcnt(1)
	v_lshlrev_b32_e32 v23, 8, v29
	v_lshlrev_b32_e32 v24, 7, v29
	v_and_or_b32 v22, 0x100, v23, v22
	v_bfe_u32 v23, v25, 8, 8
	s_waitcnt vmcnt(0)
	v_lshlrev_b32_e32 v28, 21, v30
	v_lshrrev_b32_e32 v27, 16, v30
	v_lshlrev_b32_e32 v22, 2, v22
	v_and_or_b32 v23, 0x100, v24, v23
	v_and_b32_e32 v24, 0xff, v30
	global_load_dword v22, v22, s[10:11]
	v_lshlrev_b32_e32 v23, 2, v23
	v_lshl_or_b32 v28, v24, 7, v28
	global_load_dword v23, v23, s[10:11]
	v_and_b32_e32 v31, 0x1800180, v28
	v_bfe_u32 v28, v28, 24, 1
	v_cmp_ne_u16_sdwa s23, v31, v16 src0_sel:BYTE_1 src1_sel:DWORD
	v_cmp_ne_u16_e32 vcc_lo, 0, v28
	v_lshrrev_b16 v28, 7, v31
	v_lshrrev_b32_e32 v31, 2, v30
	v_cndmask_b32_e64 v34, 0, -1, s23
	v_cndmask_b32_e64 v36, 0, -1, vcc_lo
	v_bfe_i32 v28, v28, 0, 1
	v_bfe_i32 v31, v31, 0, 1
	v_lshlrev_b16 v34, 8, v34
	v_lshlrev_b16 v36, 8, v36
	v_or_b32_sdwa v35, v28, v34 dst_sel:DWORD dst_unused:UNUSED_PAD src0_sel:BYTE_0 src1_sel:DWORD
	v_or_b32_sdwa v37, v31, v36 dst_sel:WORD_1 dst_unused:UNUSED_PAD src0_sel:BYTE_0 src1_sel:DWORD
	v_lshlrev_b16 v28, 8, v28
	v_lshlrev_b16 v31, 8, v31
	v_or_b32_sdwa v35, v35, v37 dst_sel:DWORD dst_unused:UNUSED_PAD src0_sel:WORD_0 src1_sel:DWORD
	v_lshlrev_b32_e32 v37, 17, v30
	v_lshl_or_b32 v24, v24, 3, v37
	v_and_b32_e32 v37, 0x1800180, v24
	v_bfe_u32 v24, v24, 24, 1
	v_cmp_ne_u16_sdwa s23, v37, v16 src0_sel:BYTE_1 src1_sel:DWORD
	v_cmp_ne_u16_e32 vcc_lo, 0, v24
	v_lshrrev_b16 v24, 7, v37
	v_lshrrev_b32_e32 v37, 6, v30
	v_cndmask_b32_e64 v38, 0, -1, s23
	v_cndmask_b32_e64 v40, 0, -1, vcc_lo
	v_bfe_i32 v24, v24, 0, 1
	v_bfe_i32 v37, v37, 0, 1
	v_lshlrev_b16 v38, 8, v38
	v_lshlrev_b16 v40, 8, v40
	v_or_b32_sdwa v39, v24, v38 dst_sel:DWORD dst_unused:UNUSED_PAD src0_sel:BYTE_0 src1_sel:DWORD
	v_or_b32_sdwa v41, v37, v40 dst_sel:WORD_1 dst_unused:UNUSED_PAD src0_sel:BYTE_0 src1_sel:DWORD
	v_lshlrev_b16 v24, 8, v24
	v_or_b32_sdwa v39, v39, v41 dst_sel:DWORD dst_unused:UNUSED_PAD src0_sel:WORD_0 src1_sel:DWORD
	s_waitcnt vmcnt(1)
	v_xor_b32_e32 v22, v22, v35
	v_lshrrev_b32_e32 v35, 16, v22
	v_and_b32_e32 v41, 0xffffff00, v22
	v_lshlrev_b16 v22, 8, v22
	s_waitcnt vmcnt(0)
	v_xor_b32_e32 v23, v23, v39
	v_lshrrev_b32_e32 v39, 14, v30
	v_sub_nc_i16 v34, v41, v34 clamp
	v_sub_nc_i16 v22, v22, v28 clamp
	v_and_b32_e32 v28, 0xffffff00, v35
	v_bfe_i32 v39, v39, 0, 1
	v_perm_b32 v22, v22, v34, 0xc0c0105
	v_lshlrev_b16 v34, 8, v35
	v_sub_nc_i16 v28, v28, v36 clamp
	v_sub_nc_i16 v31, v34, v31 clamp
	v_lshrrev_b32_e32 v34, 10, v30
	v_perm_b32 v28, v31, v28, 0xc0c0105
	v_and_b32_e32 v31, 0xffffff00, v23
	v_bfe_i32 v34, v34, 0, 1
	v_lshl_or_b32 v22, v28, 16, v22
	v_lshrrev_b32_e32 v28, 16, v23
	v_lshlrev_b16 v23, 8, v23
	v_sub_nc_i16 v31, v31, v38 clamp
	v_lshrrev_b32_e32 v38, 15, v30
	v_sub_nc_i16 v23, v23, v24 clamp
	v_and_b32_e32 v24, 0xffffff00, v28
	v_lshlrev_b16 v28, 8, v28
	v_bfe_i32 v38, v38, 0, 1
	v_perm_b32 v23, v23, v31, 0xc0c0105
	v_lshlrev_b16 v31, 8, v37
	v_sub_nc_i16 v24, v24, v40 clamp
	v_lshlrev_b16 v38, 8, v38
	v_sub_nc_i16 v28, v28, v31 clamp
	v_lshrrev_b32_e32 v31, 11, v30
	v_or_b32_sdwa v42, v39, v38 dst_sel:WORD_1 dst_unused:UNUSED_PAD src0_sel:BYTE_0 src1_sel:DWORD
	v_perm_b32 v24, v28, v24, 0xc0c0105
	v_lshlrev_b32_e32 v28, 6, v29
	v_bfe_i32 v31, v31, 0, 1
	v_lshl_or_b32 v23, v24, 16, v23
	v_bfe_u32 v24, v25, 16, 8
	v_lshrrev_b32_e32 v25, 24, v25
	v_lshlrev_b16 v31, 8, v31
	v_and_or_b32 v24, 0x100, v28, v24
	v_lshlrev_b32_e32 v28, 5, v29
	v_or_b32_sdwa v37, v34, v31 dst_sel:WORD_1 dst_unused:UNUSED_PAD src0_sel:BYTE_0 src1_sel:DWORD
	v_lshlrev_b16 v34, 8, v34
	v_lshlrev_b32_e32 v24, 2, v24
	v_and_or_b32 v25, 0x100, v28, v25
	v_lshrrev_b32_e32 v28, 1, v30
	global_load_dword v24, v24, s[10:11]
	v_lshlrev_b32_e32 v25, 2, v25
	v_and_b32_e32 v28, 0x180, v28
	global_load_dword v25, v25, s[10:11]
	v_cmp_ne_u16_sdwa s23, v28, v16 src0_sel:BYTE_1 src1_sel:DWORD
	v_lshrrev_b16 v28, 7, v28
	v_cndmask_b32_e64 v35, 0, -1, s23
	v_bfe_i32 v28, v28, 0, 1
	v_lshlrev_b16 v35, 8, v35
	v_or_b32_sdwa v36, v28, v35 dst_sel:DWORD dst_unused:UNUSED_PAD src0_sel:BYTE_0 src1_sel:DWORD
	v_lshlrev_b16 v28, 8, v28
	v_or_b32_sdwa v36, v36, v37 dst_sel:DWORD dst_unused:UNUSED_PAD src0_sel:WORD_0 src1_sel:DWORD
	v_lshrrev_b32_e32 v37, 5, v30
	v_and_b32_e32 v37, 0x180, v37
	v_cmp_ne_u16_sdwa s23, v37, v16 src0_sel:BYTE_1 src1_sel:DWORD
	v_lshrrev_b16 v37, 7, v37
	v_cndmask_b32_e64 v40, 0, -1, s23
	v_bfe_i32 v37, v37, 0, 1
	v_lshlrev_b16 v40, 8, v40
	v_or_b32_sdwa v41, v37, v40 dst_sel:DWORD dst_unused:UNUSED_PAD src0_sel:BYTE_0 src1_sel:DWORD
	v_or_b32_sdwa v41, v41, v42 dst_sel:DWORD dst_unused:UNUSED_PAD src0_sel:WORD_0 src1_sel:DWORD
	s_waitcnt vmcnt(1)
	v_xor_b32_e32 v24, v24, v36
	v_lshrrev_b32_e32 v36, 16, v24
	v_and_b32_e32 v42, 0xffffff00, v24
	v_lshlrev_b16 v24, 8, v24
	s_waitcnt vmcnt(0)
	v_xor_b32_e32 v25, v25, v41
	v_sub_nc_i16 v35, v42, v35 clamp
	v_sub_nc_i16 v24, v24, v28 clamp
	v_and_b32_e32 v28, 0xffffff00, v36
	v_perm_b32 v24, v24, v35, 0xc0c0105
	v_sub_nc_i16 v28, v28, v31 clamp
	v_lshlrev_b16 v31, 8, v36
	v_sub_nc_i16 v31, v31, v34 clamp
	v_lshlrev_b16 v34, 8, v37
	v_perm_b32 v28, v31, v28, 0xc0c0105
	v_and_b32_e32 v31, 0xffffff00, v25
	v_lshl_or_b32 v24, v28, 16, v24
	v_lshrrev_b32_e32 v28, 16, v25
	v_lshlrev_b16 v25, 8, v25
	v_sub_nc_i16 v31, v31, v40 clamp
	v_sub_nc_i16 v25, v25, v34 clamp
	v_lshlrev_b16 v34, 8, v39
	v_perm_b32 v25, v25, v31, 0xc0c0105
	v_and_b32_e32 v31, 0xffffff00, v28
	v_lshlrev_b16 v28, 8, v28
	v_sub_nc_i16 v31, v31, v38 clamp
	v_sub_nc_i16 v28, v28, v34 clamp
	v_lshlrev_b32_e32 v34, 3, v29
	v_perm_b32 v28, v28, v31, 0xc0c0105
	v_lshlrev_b32_e32 v31, 4, v29
	v_lshl_or_b32 v25, v28, 16, v25
	v_and_b32_e32 v28, 0xff, v26
	v_and_or_b32 v28, 0x100, v31, v28
	v_bfe_u32 v31, v26, 8, 8
	v_lshlrev_b32_e32 v28, 2, v28
	v_and_or_b32 v31, 0x100, v34, v31
	v_lshrrev_b32_e32 v34, 9, v30
	global_load_dword v28, v28, s[10:11]
	v_lshlrev_b32_e32 v31, 2, v31
	v_lshl_or_b32 v34, v27, 21, v34
	global_load_dword v31, v31, s[10:11]
	v_and_b32_e32 v35, 0x1800180, v34
	v_bfe_u32 v34, v34, 24, 1
	v_cmp_ne_u16_sdwa s23, v35, v16 src0_sel:BYTE_1 src1_sel:DWORD
	v_cmp_ne_u16_e32 vcc_lo, 0, v34
	v_lshrrev_b16 v34, 7, v35
	v_lshrrev_b32_e32 v35, 18, v30
	v_cndmask_b32_e64 v36, 0, -1, s23
	v_cndmask_b32_e64 v38, 0, -1, vcc_lo
	v_bfe_i32 v34, v34, 0, 1
	v_bfe_i32 v35, v35, 0, 1
	v_lshlrev_b16 v36, 8, v36
	v_lshlrev_b16 v38, 8, v38
	v_or_b32_sdwa v37, v34, v36 dst_sel:DWORD dst_unused:UNUSED_PAD src0_sel:BYTE_0 src1_sel:DWORD
	v_or_b32_sdwa v39, v35, v38 dst_sel:WORD_1 dst_unused:UNUSED_PAD src0_sel:BYTE_0 src1_sel:DWORD
	v_lshlrev_b16 v34, 8, v34
	v_lshlrev_b16 v35, 8, v35
	v_or_b32_sdwa v37, v37, v39 dst_sel:DWORD dst_unused:UNUSED_PAD src0_sel:WORD_0 src1_sel:DWORD
	v_lshrrev_b32_e32 v39, 13, v30
	v_lshl_or_b32 v27, v27, 17, v39
	v_and_b32_e32 v39, 0x1800180, v27
	v_bfe_u32 v27, v27, 24, 1
	v_cmp_ne_u16_sdwa s23, v39, v16 src0_sel:BYTE_1 src1_sel:DWORD
	v_cmp_ne_u16_e32 vcc_lo, 0, v27
	v_lshrrev_b16 v27, 7, v39
	v_lshrrev_b32_e32 v39, 22, v30
	v_cndmask_b32_e64 v42, 0, -1, vcc_lo
	v_bfe_i32 v40, v27, 0, 1
	v_cndmask_b32_e64 v27, 0, -1, s23
	v_bfe_i32 v39, v39, 0, 1
	v_lshlrev_b16 v42, 8, v42
	v_lshlrev_b16 v41, 8, v27
	v_or_b32_sdwa v43, v39, v42 dst_sel:WORD_1 dst_unused:UNUSED_PAD src0_sel:BYTE_0 src1_sel:DWORD
	v_or_b32_sdwa v27, v40, v41 dst_sel:DWORD dst_unused:UNUSED_PAD src0_sel:BYTE_0 src1_sel:DWORD
	v_or_b32_sdwa v43, v27, v43 dst_sel:DWORD dst_unused:UNUSED_PAD src0_sel:WORD_0 src1_sel:DWORD
	s_waitcnt vmcnt(1)
	v_xor_b32_e32 v27, v28, v37
	v_lshrrev_b32_e32 v28, 16, v27
	v_and_b32_e32 v37, 0xffffff00, v27
	v_lshlrev_b16 v27, 8, v27
	v_sub_nc_i16 v36, v37, v36 clamp
	v_sub_nc_i16 v27, v27, v34 clamp
	v_and_b32_e32 v34, 0xffffff00, v28
	v_lshlrev_b16 v28, 8, v28
	v_perm_b32 v27, v27, v36, 0xc0c0105
	v_sub_nc_i16 v34, v34, v38 clamp
	v_sub_nc_i16 v28, v28, v35 clamp
	v_lshlrev_b16 v35, 8, v40
	v_lshrrev_b32_e32 v40, 31, v30
	v_perm_b32 v28, v28, v34, 0xc0c0105
	v_lshl_or_b32 v27, v28, 16, v27
	s_waitcnt vmcnt(0)
	v_xor_b32_e32 v28, v31, v43
	v_mov_b32_e32 v43, 0
	v_lshrrev_b32_e32 v31, 16, v28
	v_and_b32_e32 v34, 0xffffff00, v28
	v_lshlrev_b16 v28, 8, v28
	v_sub_nc_i16 v34, v34, v41 clamp
	v_sub_nc_i16 v28, v28, v35 clamp
	v_lshlrev_b16 v35, 8, v39
	v_perm_b32 v28, v28, v34, 0xc0c0105
	v_and_b32_e32 v34, 0xffffff00, v31
	v_lshlrev_b16 v31, 8, v31
	v_sub_nc_i16 v34, v34, v42 clamp
	v_sub_nc_i16 v31, v31, v35 clamp
	v_perm_b32 v31, v31, v34, 0xc0c0105
	v_lshlrev_b32_e32 v34, 2, v29
	v_lshlrev_b32_e32 v29, 1, v29
	v_lshl_or_b32 v28, v31, 16, v28
	v_bfe_u32 v31, v26, 16, 8
	v_lshrrev_b32_e32 v26, 24, v26
	v_and_or_b32 v31, 0x100, v34, v31
	v_and_or_b32 v26, 0x100, v29, v26
	v_lshrrev_b32_e32 v29, 17, v30
	v_lshrrev_b32_e32 v34, 24, v30
	v_lshlrev_b32_e32 v31, 2, v31
	v_lshlrev_b32_e32 v26, 2, v26
	v_lshl_or_b32 v29, v34, 21, v29
	s_clause 0x1
	global_load_dword v31, v31, s[10:11]
	global_load_dword v26, v26, s[10:11]
	v_and_b32_e32 v34, 0x1800180, v29
	v_bfe_u32 v29, v29, 24, 1
	v_cmp_ne_u16_sdwa s10, v34, v16 src0_sel:BYTE_1 src1_sel:DWORD
	v_cmp_ne_u16_e32 vcc_lo, 0, v29
	v_lshrrev_b16 v29, 7, v34
	v_lshrrev_b32_e32 v34, 26, v30
	v_cndmask_b32_e64 v35, 0, -1, s10
	v_cndmask_b32_e64 v37, 0, -1, vcc_lo
	v_bfe_i32 v29, v29, 0, 1
	v_bfe_i32 v34, v34, 0, 1
	v_cmp_ne_u16_e32 vcc_lo, 0, v40
	v_lshlrev_b16 v35, 8, v35
	v_lshlrev_b16 v37, 8, v37
	v_cndmask_b32_e64 v41, 0, -1, vcc_lo
	v_or_b32_sdwa v36, v29, v35 dst_sel:DWORD dst_unused:UNUSED_PAD src0_sel:BYTE_0 src1_sel:DWORD
	v_or_b32_sdwa v38, v34, v37 dst_sel:WORD_1 dst_unused:UNUSED_PAD src0_sel:BYTE_0 src1_sel:DWORD
	v_lshlrev_b16 v29, 8, v29
	v_lshlrev_b16 v34, 8, v34
	;; [unrolled: 1-line block ×3, first 2 shown]
	v_or_b32_sdwa v36, v36, v38 dst_sel:DWORD dst_unused:UNUSED_PAD src0_sel:WORD_0 src1_sel:DWORD
	v_lshrrev_b32_e32 v38, 21, v30
	v_lshrrev_b32_e32 v30, 30, v30
	v_lshrrev_b16 v39, 8, v38
	v_lshrrev_b16 v38, 7, v38
	v_bfe_i32 v30, v30, 0, 1
	v_bfe_i32 v39, v39, 0, 1
	;; [unrolled: 1-line block ×3, first 2 shown]
	v_or_b32_sdwa v42, v30, v41 dst_sel:WORD_1 dst_unused:UNUSED_PAD src0_sel:BYTE_0 src1_sel:DWORD
	v_lshlrev_b16 v30, 8, v30
	v_lshlrev_b16 v39, 8, v39
	v_or_b32_sdwa v40, v38, v39 dst_sel:DWORD dst_unused:UNUSED_PAD src0_sel:BYTE_0 src1_sel:DWORD
	v_or_b32_sdwa v40, v40, v42 dst_sel:DWORD dst_unused:UNUSED_PAD src0_sel:WORD_0 src1_sel:DWORD
	s_waitcnt vmcnt(1)
	v_xor_b32_e32 v31, v31, v36
	s_waitcnt vmcnt(0)
	v_xor_b32_e32 v26, v26, v40
	v_lshrrev_b32_e32 v36, 16, v31
	v_and_b32_e32 v42, 0xffffff00, v31
	v_lshlrev_b16 v31, 8, v31
	v_sub_nc_i16 v35, v42, v35 clamp
	v_sub_nc_i16 v29, v31, v29 clamp
	v_and_b32_e32 v31, 0xffffff00, v36
	v_perm_b32 v29, v29, v35, 0xc0c0105
	v_lshlrev_b16 v35, 8, v36
	v_sub_nc_i16 v31, v31, v37 clamp
	v_sub_nc_i16 v34, v35, v34 clamp
	v_lshlrev_b16 v35, 8, v38
	v_perm_b32 v31, v34, v31, 0xc0c0105
	v_and_b32_e32 v34, 0xffffff00, v26
	v_lshl_or_b32 v29, v31, 16, v29
	v_lshrrev_b32_e32 v31, 16, v26
	v_lshlrev_b16 v26, 8, v26
	v_sub_nc_i16 v34, v34, v39 clamp
	v_sub_nc_i16 v26, v26, v35 clamp
	v_perm_b32 v26, v26, v34, 0xc0c0105
	v_and_b32_e32 v34, 0xffffff00, v31
	v_lshlrev_b16 v31, 8, v31
	v_sub_nc_i16 v34, v34, v41 clamp
	v_sub_nc_i16 v30, v31, v30 clamp
	v_perm_b32 v30, v30, v34, 0xc0c0105
	v_add_co_u32 v34, vcc_lo, v32, v17
	v_add_co_ci_u32_e64 v35, null, 0, v33, vcc_lo
	v_lshl_or_b32 v30, v30, 16, v26
	global_load_ubyte v26, v[34:35], off offset:106
	s_waitcnt vmcnt(0)
	v_lshrrev_b32_e32 v26, v18, v26
	v_lshlrev_b32_e32 v26, 1, v26
	v_and_or_b32 v31, v26, 30, 1
	global_load_ushort v26, v[32:33], off
	s_clause 0x2
	global_load_dwordx4 v[32:35], v[4:5], off offset:-16
	global_load_dword v40, v[4:5], off offset:16
	global_load_dwordx4 v[36:39], v[4:5], off
	v_add_co_u32 v4, vcc_lo, 0x480, v4
	v_add_co_ci_u32_e64 v5, null, 0, v5, vcc_lo
	v_cmp_le_u32_e32 vcc_lo, s19, v13
	s_or_b32 s17, vcc_lo, s17
	s_waitcnt vmcnt(2)
	v_dot4c_i32_i8 v43, v22, v33
	v_add_nc_u32_e32 v33, s1, v19
	v_cvt_f32_f16_e32 v26, v26
	v_cvt_f32_f16_e32 v32, v32
	v_dot4c_i32_i8 v43, v23, v34
	v_mul_f32_e32 v32, v26, v32
	v_dot4c_i32_i8 v43, v24, v35
	s_waitcnt vmcnt(0)
	v_dot4c_i32_i8 v43, v25, v36
	v_dot4c_i32_i8 v43, v27, v37
	;; [unrolled: 1-line block ×3, first 2 shown]
	v_mad_u64_u32 v[37:38], null, v33, 36, v[2:3]
	v_dot4c_i32_i8 v43, v29, v39
	v_dot4c_i32_i8 v43, v30, v40
	s_clause 0x2
	global_load_dwordx4 v[33:36], v[37:38], off
	global_load_dword v41, v[37:38], off offset:32
	global_load_dwordx4 v[37:40], v[37:38], off offset:16
	s_waitcnt vmcnt(2)
	v_dot4c_i32_i8 v44, v22, v34
	v_add_nc_u32_e32 v34, s22, v19
	v_cvt_f32_f16_e32 v33, v33
	v_dot4c_i32_i8 v44, v23, v35
	v_mul_f32_e32 v33, v26, v33
	v_dot4c_i32_i8 v44, v24, v36
	s_waitcnt vmcnt(0)
	v_dot4c_i32_i8 v44, v25, v37
	v_dot4c_i32_i8 v44, v27, v38
	;; [unrolled: 1-line block ×3, first 2 shown]
	v_mad_u64_u32 v[38:39], null, v34, 36, v[2:3]
	v_dot4c_i32_i8 v44, v29, v40
	v_dot4c_i32_i8 v44, v30, v41
	s_clause 0x2
	global_load_dwordx4 v[34:37], v[38:39], off
	global_load_dword v42, v[38:39], off offset:32
	global_load_dwordx4 v[38:41], v[38:39], off offset:16
	s_waitcnt vmcnt(2)
	v_dot4c_i32_i8 v45, v22, v35
	v_add_nc_u32_e32 v35, s16, v19
	v_cvt_f32_f16_e32 v34, v34
	v_dot4c_i32_i8 v45, v23, v36
	v_mul_f32_e32 v34, v26, v34
	v_dot4c_i32_i8 v45, v24, v37
	s_waitcnt vmcnt(0)
	v_dot4c_i32_i8 v45, v25, v38
	v_dot4c_i32_i8 v45, v27, v39
	;; [unrolled: 1-line block ×3, first 2 shown]
	v_mad_u64_u32 v[39:40], null, v35, 36, v[2:3]
	v_dot4c_i32_i8 v45, v29, v41
	v_dot4c_i32_i8 v45, v30, v42
	s_clause 0x2
	global_load_dwordx4 v[35:38], v[39:40], off
	global_load_dword v46, v[39:40], off offset:32
	global_load_dwordx4 v[39:42], v[39:40], off offset:16
	s_waitcnt vmcnt(2)
	v_dot4c_i32_i8 v47, v22, v36
	v_mul_lo_u32 v36, v43, v31
	v_cvt_f32_f16_e32 v35, v35
	v_mov_b32_e32 v43, 0
	v_dot4c_i32_i8 v47, v23, v37
	v_mul_lo_u32 v37, v44, v31
	v_mul_f32_e32 v35, v26, v35
	v_mov_b32_e32 v44, 0
	v_cvt_f32_i32_e32 v36, v36
	v_dot4c_i32_i8 v47, v24, v38
	v_mul_lo_u32 v38, v45, v31
	v_mov_b32_e32 v45, 0
	v_cvt_f32_i32_e32 v37, v37
	s_waitcnt vmcnt(0)
	v_dot4c_i32_i8 v47, v25, v39
	v_fmac_f32_e32 v14, v32, v36
	v_add_nc_u32_e32 v32, s15, v19
	v_fmac_f32_e32 v12, v33, v37
	v_dot4c_i32_i8 v47, v27, v40
	v_cvt_f32_i32_e32 v38, v38
	v_mad_u64_u32 v[36:37], null, v32, 36, v[2:3]
	v_dot4c_i32_i8 v47, v28, v41
	v_fmac_f32_e32 v11, v34, v38
	v_dot4c_i32_i8 v47, v29, v42
	v_dot4c_i32_i8 v47, v30, v46
	v_mul_lo_u32 v39, v47, v31
	v_mov_b32_e32 v47, 0
	v_cvt_f32_i32_e32 v39, v39
	v_fmac_f32_e32 v10, v35, v39
	s_clause 0x2
	global_load_dwordx4 v[32:35], v[36:37], off
	global_load_dword v40, v[36:37], off offset:32
	global_load_dwordx4 v[36:39], v[36:37], off offset:16
	s_waitcnt vmcnt(2)
	v_dot4c_i32_i8 v43, v22, v33
	v_add_nc_u32_e32 v33, s13, v19
	v_dot4c_i32_i8 v43, v23, v34
	v_dot4c_i32_i8 v43, v24, v35
	s_waitcnt vmcnt(0)
	v_dot4c_i32_i8 v43, v25, v36
	v_dot4c_i32_i8 v43, v27, v37
	v_dot4c_i32_i8 v43, v28, v38
	v_mad_u64_u32 v[37:38], null, v33, 36, v[2:3]
	v_dot4c_i32_i8 v43, v29, v39
	v_dot4c_i32_i8 v43, v30, v40
	s_clause 0x2
	global_load_dwordx4 v[33:36], v[37:38], off
	global_load_dword v41, v[37:38], off offset:32
	global_load_dwordx4 v[37:40], v[37:38], off offset:16
	s_waitcnt vmcnt(2)
	v_dot4c_i32_i8 v44, v22, v34
	v_add_nc_u32_e32 v34, s12, v19
	v_dot4c_i32_i8 v44, v23, v35
	v_dot4c_i32_i8 v44, v24, v36
	s_waitcnt vmcnt(0)
	v_dot4c_i32_i8 v44, v25, v37
	v_dot4c_i32_i8 v44, v27, v38
	;; [unrolled: 1-line block ×3, first 2 shown]
	v_mad_u64_u32 v[38:39], null, v34, 36, v[2:3]
	v_dot4c_i32_i8 v44, v29, v40
	v_dot4c_i32_i8 v44, v30, v41
	s_clause 0x2
	global_load_dwordx4 v[34:37], v[38:39], off
	global_load_dword v42, v[38:39], off offset:32
	global_load_dwordx4 v[38:41], v[38:39], off offset:16
	s_waitcnt vmcnt(2)
	v_dot4c_i32_i8 v45, v22, v35
	v_add_nc_u32_e32 v35, s3, v19
	v_add_nc_u32_e32 v19, 32, v19
	v_dot4c_i32_i8 v45, v23, v36
	v_dot4c_i32_i8 v45, v24, v37
	s_waitcnt vmcnt(0)
	v_dot4c_i32_i8 v45, v25, v38
	v_dot4c_i32_i8 v45, v27, v39
	;; [unrolled: 1-line block ×3, first 2 shown]
	v_mad_u64_u32 v[39:40], null, v35, 36, v[2:3]
	v_dot4c_i32_i8 v45, v29, v41
	v_dot4c_i32_i8 v45, v30, v42
	s_clause 0x2
	global_load_dwordx4 v[35:38], v[39:40], off
	global_load_dword v46, v[39:40], off offset:32
	global_load_dwordx4 v[39:42], v[39:40], off offset:16
	s_waitcnt vmcnt(2)
	v_dot4c_i32_i8 v47, v22, v36
	v_mul_lo_u32 v22, v43, v31
	v_dot4c_i32_i8 v47, v23, v37
	v_mul_lo_u32 v23, v44, v31
	v_cvt_f32_i32_e32 v22, v22
	v_dot4c_i32_i8 v47, v24, v38
	v_mul_lo_u32 v24, v45, v31
	v_cvt_f32_i32_e32 v23, v23
	s_waitcnt vmcnt(0)
	v_dot4c_i32_i8 v47, v25, v39
	v_cvt_f32_i32_e32 v24, v24
	v_dot4c_i32_i8 v47, v27, v40
	v_cvt_f32_f16_e32 v27, v32
	v_dot4c_i32_i8 v47, v28, v41
	v_cvt_f32_f16_e32 v28, v33
	;; [unrolled: 2-line block ×3, first 2 shown]
	v_mul_f32_e32 v28, v26, v28
	v_dot4c_i32_i8 v47, v30, v46
	v_cvt_f32_f16_e32 v30, v35
	v_mul_f32_e32 v29, v26, v29
	v_fmac_f32_e32 v8, v28, v23
	v_mul_lo_u32 v25, v47, v31
	v_mul_f32_e32 v30, v26, v30
	v_mul_f32_e32 v26, v26, v27
	v_fmac_f32_e32 v7, v29, v24
	v_fmac_f32_e32 v9, v26, v22
	v_cvt_f32_i32_e32 v25, v25
	v_fmac_f32_e32 v6, v30, v25
	s_andn2_b32 exec_lo, exec_lo, s17
	s_cbranch_execnz .LBB263_2
; %bb.3:
	s_or_b32 exec_lo, exec_lo, s17
.LBB263_4:
	s_or_b32 exec_lo, exec_lo, s9
	s_mov_b32 s1, 0
	; wave barrier
	buffer_gl0_inv
	s_mov_b32 s0, exec_lo
	v_cmpx_eq_u32_e32 0, v1
	s_cbranch_execz .LBB263_21
; %bb.5:
	v_mbcnt_lo_u32_b32 v5, -1, 0
	s_load_dwordx2 s[4:5], s[4:5], 0x38
	s_mul_i32 s0, s14, s7
	s_mul_i32 s3, s18, s8
	s_add_i32 s0, s0, s6
	v_xor_b32_e32 v1, 16, v5
	v_xor_b32_e32 v2, 8, v5
	;; [unrolled: 1-line block ×3, first 2 shown]
	s_add_i32 s0, s0, s3
	s_lshl_b64 s[0:1], s[0:1], 2
	v_cmp_gt_i32_e32 vcc_lo, 32, v1
	v_cndmask_b32_e32 v1, v5, v1, vcc_lo
	v_cmp_gt_i32_e32 vcc_lo, 32, v2
	v_lshlrev_b32_e32 v1, 2, v1
	v_cndmask_b32_e32 v2, v5, v2, vcc_lo
	s_waitcnt lgkmcnt(0)
	s_add_u32 s0, s4, s0
	s_addc_u32 s1, s5, s1
	ds_bpermute_b32 v3, v1, v14
	v_lshlrev_b32_e32 v2, 2, v2
	s_waitcnt lgkmcnt(0)
	v_add_f32_e32 v4, v14, v3
	v_xor_b32_e32 v3, 4, v5
	ds_bpermute_b32 v13, v2, v4
	v_cmp_gt_i32_e32 vcc_lo, 32, v3
	v_cndmask_b32_e32 v3, v5, v3, vcc_lo
	v_lshlrev_b32_e32 v3, 2, v3
	s_waitcnt lgkmcnt(0)
	v_add_f32_e32 v13, v4, v13
	v_xor_b32_e32 v4, 2, v5
	ds_bpermute_b32 v14, v3, v13
	v_cmp_gt_i32_e32 vcc_lo, 32, v4
	v_cndmask_b32_e32 v4, v5, v4, vcc_lo
	v_cmp_gt_i32_e32 vcc_lo, 32, v15
	v_lshlrev_b32_e32 v4, 2, v4
	v_cndmask_b32_e32 v5, v5, v15, vcc_lo
	v_cmp_eq_u32_e32 vcc_lo, 0, v0
	v_lshlrev_b32_e32 v5, 2, v5
	s_waitcnt lgkmcnt(0)
	v_add_f32_e32 v13, v13, v14
	ds_bpermute_b32 v14, v4, v13
	s_waitcnt lgkmcnt(0)
	v_add_f32_e32 v13, v13, v14
	ds_bpermute_b32 v14, v5, v13
	s_and_saveexec_b32 s3, vcc_lo
	s_cbranch_execz .LBB263_7
; %bb.6:
	s_waitcnt lgkmcnt(0)
	v_add_f32_e32 v0, v13, v14
	v_mov_b32_e32 v13, 0
	global_store_dword v13, v0, s[0:1]
.LBB263_7:
	s_or_b32 exec_lo, exec_lo, s3
	ds_bpermute_b32 v0, v1, v12
	s_waitcnt lgkmcnt(0)
	v_add_f32_e32 v0, v12, v0
	ds_bpermute_b32 v12, v2, v0
	s_waitcnt lgkmcnt(0)
	v_add_f32_e32 v0, v0, v12
	;; [unrolled: 3-line block ×4, first 2 shown]
	ds_bpermute_b32 v12, v5, v0
	s_and_saveexec_b32 s4, vcc_lo
	s_cbranch_execz .LBB263_9
; %bb.8:
	s_mov_b32 s3, 0
	s_waitcnt lgkmcnt(0)
	v_add_f32_e32 v0, v0, v12
	s_lshl_b64 s[6:7], s[2:3], 2
	v_mov_b32_e32 v12, 0
	s_add_u32 s6, s0, s6
	s_addc_u32 s7, s1, s7
	global_store_dword v12, v0, s[6:7]
.LBB263_9:
	s_or_b32 exec_lo, exec_lo, s4
	ds_bpermute_b32 v0, v1, v11
	s_waitcnt lgkmcnt(0)
	v_add_f32_e32 v0, v11, v0
	ds_bpermute_b32 v11, v2, v0
	s_waitcnt lgkmcnt(0)
	v_add_f32_e32 v0, v0, v11
	;; [unrolled: 3-line block ×4, first 2 shown]
	ds_bpermute_b32 v11, v5, v0
	s_and_saveexec_b32 s3, vcc_lo
	s_cbranch_execz .LBB263_11
; %bb.10:
	s_lshl_b32 s4, s2, 1
	s_mov_b32 s5, 0
	s_waitcnt lgkmcnt(0)
	v_add_f32_e32 v0, v0, v11
	s_lshl_b64 s[4:5], s[4:5], 2
	v_mov_b32_e32 v11, 0
	s_add_u32 s4, s0, s4
	s_addc_u32 s5, s1, s5
	global_store_dword v11, v0, s[4:5]
.LBB263_11:
	s_or_b32 exec_lo, exec_lo, s3
	ds_bpermute_b32 v0, v1, v10
	s_waitcnt lgkmcnt(0)
	v_add_f32_e32 v0, v10, v0
	ds_bpermute_b32 v10, v2, v0
	s_waitcnt lgkmcnt(0)
	v_add_f32_e32 v0, v0, v10
	;; [unrolled: 3-line block ×4, first 2 shown]
	ds_bpermute_b32 v10, v5, v0
	s_and_saveexec_b32 s3, vcc_lo
	s_cbranch_execz .LBB263_13
; %bb.12:
	s_mul_i32 s4, s2, 3
	s_mov_b32 s5, 0
	s_waitcnt lgkmcnt(0)
	v_add_f32_e32 v0, v0, v10
	s_lshl_b64 s[4:5], s[4:5], 2
	v_mov_b32_e32 v10, 0
	s_add_u32 s4, s0, s4
	s_addc_u32 s5, s1, s5
	global_store_dword v10, v0, s[4:5]
.LBB263_13:
	s_or_b32 exec_lo, exec_lo, s3
	ds_bpermute_b32 v0, v1, v9
	s_waitcnt lgkmcnt(0)
	v_add_f32_e32 v0, v9, v0
	ds_bpermute_b32 v9, v2, v0
	s_waitcnt lgkmcnt(0)
	v_add_f32_e32 v0, v0, v9
	;; [unrolled: 3-line block ×4, first 2 shown]
	ds_bpermute_b32 v9, v5, v0
	s_and_saveexec_b32 s3, vcc_lo
	s_cbranch_execz .LBB263_15
; %bb.14:
	s_lshl_b32 s4, s2, 2
	s_mov_b32 s5, 0
	s_waitcnt lgkmcnt(0)
	v_add_f32_e32 v0, v0, v9
	s_lshl_b64 s[4:5], s[4:5], 2
	v_mov_b32_e32 v9, 0
	s_add_u32 s4, s0, s4
	s_addc_u32 s5, s1, s5
	global_store_dword v9, v0, s[4:5]
.LBB263_15:
	s_or_b32 exec_lo, exec_lo, s3
	ds_bpermute_b32 v0, v1, v8
	s_waitcnt lgkmcnt(0)
	v_add_f32_e32 v0, v8, v0
	ds_bpermute_b32 v8, v2, v0
	s_waitcnt lgkmcnt(0)
	v_add_f32_e32 v0, v0, v8
	ds_bpermute_b32 v8, v3, v0
	s_waitcnt lgkmcnt(0)
	v_add_f32_e32 v0, v0, v8
	ds_bpermute_b32 v8, v4, v0
	s_waitcnt lgkmcnt(0)
	v_add_f32_e32 v0, v0, v8
	ds_bpermute_b32 v8, v5, v0
	s_and_saveexec_b32 s3, vcc_lo
	s_cbranch_execz .LBB263_17
; %bb.16:
	s_mul_i32 s4, s2, 5
	s_mov_b32 s5, 0
	s_waitcnt lgkmcnt(0)
	v_add_f32_e32 v0, v0, v8
	s_lshl_b64 s[4:5], s[4:5], 2
	v_mov_b32_e32 v8, 0
	s_add_u32 s4, s0, s4
	s_addc_u32 s5, s1, s5
	global_store_dword v8, v0, s[4:5]
.LBB263_17:
	s_or_b32 exec_lo, exec_lo, s3
	ds_bpermute_b32 v0, v1, v7
	s_waitcnt lgkmcnt(0)
	v_add_f32_e32 v0, v7, v0
	ds_bpermute_b32 v7, v2, v0
	s_waitcnt lgkmcnt(0)
	v_add_f32_e32 v0, v0, v7
	;; [unrolled: 3-line block ×4, first 2 shown]
	ds_bpermute_b32 v7, v5, v0
	s_and_saveexec_b32 s3, vcc_lo
	s_cbranch_execz .LBB263_19
; %bb.18:
	s_mul_i32 s4, s2, 6
	s_mov_b32 s5, 0
	s_waitcnt lgkmcnt(0)
	v_add_f32_e32 v0, v0, v7
	s_lshl_b64 s[4:5], s[4:5], 2
	v_mov_b32_e32 v7, 0
	s_add_u32 s4, s0, s4
	s_addc_u32 s5, s1, s5
	global_store_dword v7, v0, s[4:5]
.LBB263_19:
	s_or_b32 exec_lo, exec_lo, s3
	ds_bpermute_b32 v0, v1, v6
	s_waitcnt lgkmcnt(0)
	v_add_f32_e32 v0, v6, v0
	ds_bpermute_b32 v1, v2, v0
	s_waitcnt lgkmcnt(0)
	v_add_f32_e32 v0, v0, v1
	;; [unrolled: 3-line block ×4, first 2 shown]
	ds_bpermute_b32 v1, v5, v0
	s_and_b32 exec_lo, exec_lo, vcc_lo
	s_cbranch_execz .LBB263_21
; %bb.20:
	s_mul_i32 s2, s2, 7
	s_mov_b32 s3, 0
	s_waitcnt lgkmcnt(0)
	v_add_f32_e32 v0, v0, v1
	s_lshl_b64 s[2:3], s[2:3], 2
	v_mov_b32_e32 v1, 0
	s_add_u32 s0, s0, s2
	s_addc_u32 s1, s1, s3
	global_store_dword v1, v0, s[0:1]
.LBB263_21:
	s_endpgm
	.section	.rodata,"a",@progbits
	.p2align	6, 0x0
	.amdhsa_kernel _ZL13mul_mat_vec_qIL9ggml_type21ELi8ELb0ELb0EEvPKvS2_PKi31ggml_cuda_mm_fusion_args_devicePfj15HIP_vector_typeIjLj3EEjjjS8_jjjS8_jjjj
		.amdhsa_group_segment_fixed_size 0
		.amdhsa_private_segment_fixed_size 0
		.amdhsa_kernarg_size 144
		.amdhsa_user_sgpr_count 6
		.amdhsa_user_sgpr_private_segment_buffer 1
		.amdhsa_user_sgpr_dispatch_ptr 0
		.amdhsa_user_sgpr_queue_ptr 0
		.amdhsa_user_sgpr_kernarg_segment_ptr 1
		.amdhsa_user_sgpr_dispatch_id 0
		.amdhsa_user_sgpr_flat_scratch_init 0
		.amdhsa_user_sgpr_private_segment_size 0
		.amdhsa_wavefront_size32 1
		.amdhsa_uses_dynamic_stack 0
		.amdhsa_system_sgpr_private_segment_wavefront_offset 0
		.amdhsa_system_sgpr_workgroup_id_x 1
		.amdhsa_system_sgpr_workgroup_id_y 1
		.amdhsa_system_sgpr_workgroup_id_z 1
		.amdhsa_system_sgpr_workgroup_info 0
		.amdhsa_system_vgpr_workitem_id 1
		.amdhsa_next_free_vgpr 48
		.amdhsa_next_free_sgpr 28
		.amdhsa_reserve_vcc 1
		.amdhsa_reserve_flat_scratch 0
		.amdhsa_float_round_mode_32 0
		.amdhsa_float_round_mode_16_64 0
		.amdhsa_float_denorm_mode_32 3
		.amdhsa_float_denorm_mode_16_64 3
		.amdhsa_dx10_clamp 1
		.amdhsa_ieee_mode 1
		.amdhsa_fp16_overflow 0
		.amdhsa_workgroup_processor_mode 1
		.amdhsa_memory_ordered 1
		.amdhsa_forward_progress 1
		.amdhsa_shared_vgpr_count 0
		.amdhsa_exception_fp_ieee_invalid_op 0
		.amdhsa_exception_fp_denorm_src 0
		.amdhsa_exception_fp_ieee_div_zero 0
		.amdhsa_exception_fp_ieee_overflow 0
		.amdhsa_exception_fp_ieee_underflow 0
		.amdhsa_exception_fp_ieee_inexact 0
		.amdhsa_exception_int_div_zero 0
	.end_amdhsa_kernel
	.section	.text._ZL13mul_mat_vec_qIL9ggml_type21ELi8ELb0ELb0EEvPKvS2_PKi31ggml_cuda_mm_fusion_args_devicePfj15HIP_vector_typeIjLj3EEjjjS8_jjjS8_jjjj,"axG",@progbits,_ZL13mul_mat_vec_qIL9ggml_type21ELi8ELb0ELb0EEvPKvS2_PKi31ggml_cuda_mm_fusion_args_devicePfj15HIP_vector_typeIjLj3EEjjjS8_jjjS8_jjjj,comdat
.Lfunc_end263:
	.size	_ZL13mul_mat_vec_qIL9ggml_type21ELi8ELb0ELb0EEvPKvS2_PKi31ggml_cuda_mm_fusion_args_devicePfj15HIP_vector_typeIjLj3EEjjjS8_jjjS8_jjjj, .Lfunc_end263-_ZL13mul_mat_vec_qIL9ggml_type21ELi8ELb0ELb0EEvPKvS2_PKi31ggml_cuda_mm_fusion_args_devicePfj15HIP_vector_typeIjLj3EEjjjS8_jjjS8_jjjj
                                        ; -- End function
	.set _ZL13mul_mat_vec_qIL9ggml_type21ELi8ELb0ELb0EEvPKvS2_PKi31ggml_cuda_mm_fusion_args_devicePfj15HIP_vector_typeIjLj3EEjjjS8_jjjS8_jjjj.num_vgpr, 48
	.set _ZL13mul_mat_vec_qIL9ggml_type21ELi8ELb0ELb0EEvPKvS2_PKi31ggml_cuda_mm_fusion_args_devicePfj15HIP_vector_typeIjLj3EEjjjS8_jjjS8_jjjj.num_agpr, 0
	.set _ZL13mul_mat_vec_qIL9ggml_type21ELi8ELb0ELb0EEvPKvS2_PKi31ggml_cuda_mm_fusion_args_devicePfj15HIP_vector_typeIjLj3EEjjjS8_jjjS8_jjjj.numbered_sgpr, 28
	.set _ZL13mul_mat_vec_qIL9ggml_type21ELi8ELb0ELb0EEvPKvS2_PKi31ggml_cuda_mm_fusion_args_devicePfj15HIP_vector_typeIjLj3EEjjjS8_jjjS8_jjjj.num_named_barrier, 0
	.set _ZL13mul_mat_vec_qIL9ggml_type21ELi8ELb0ELb0EEvPKvS2_PKi31ggml_cuda_mm_fusion_args_devicePfj15HIP_vector_typeIjLj3EEjjjS8_jjjS8_jjjj.private_seg_size, 0
	.set _ZL13mul_mat_vec_qIL9ggml_type21ELi8ELb0ELb0EEvPKvS2_PKi31ggml_cuda_mm_fusion_args_devicePfj15HIP_vector_typeIjLj3EEjjjS8_jjjS8_jjjj.uses_vcc, 1
	.set _ZL13mul_mat_vec_qIL9ggml_type21ELi8ELb0ELb0EEvPKvS2_PKi31ggml_cuda_mm_fusion_args_devicePfj15HIP_vector_typeIjLj3EEjjjS8_jjjS8_jjjj.uses_flat_scratch, 0
	.set _ZL13mul_mat_vec_qIL9ggml_type21ELi8ELb0ELb0EEvPKvS2_PKi31ggml_cuda_mm_fusion_args_devicePfj15HIP_vector_typeIjLj3EEjjjS8_jjjS8_jjjj.has_dyn_sized_stack, 0
	.set _ZL13mul_mat_vec_qIL9ggml_type21ELi8ELb0ELb0EEvPKvS2_PKi31ggml_cuda_mm_fusion_args_devicePfj15HIP_vector_typeIjLj3EEjjjS8_jjjS8_jjjj.has_recursion, 0
	.set _ZL13mul_mat_vec_qIL9ggml_type21ELi8ELb0ELb0EEvPKvS2_PKi31ggml_cuda_mm_fusion_args_devicePfj15HIP_vector_typeIjLj3EEjjjS8_jjjS8_jjjj.has_indirect_call, 0
	.section	.AMDGPU.csdata,"",@progbits
; Kernel info:
; codeLenInByte = 4824
; TotalNumSgprs: 30
; NumVgprs: 48
; ScratchSize: 0
; MemoryBound: 0
; FloatMode: 240
; IeeeMode: 1
; LDSByteSize: 0 bytes/workgroup (compile time only)
; SGPRBlocks: 0
; VGPRBlocks: 5
; NumSGPRsForWavesPerEU: 30
; NumVGPRsForWavesPerEU: 48
; Occupancy: 16
; WaveLimiterHint : 0
; COMPUTE_PGM_RSRC2:SCRATCH_EN: 0
; COMPUTE_PGM_RSRC2:USER_SGPR: 6
; COMPUTE_PGM_RSRC2:TRAP_HANDLER: 0
; COMPUTE_PGM_RSRC2:TGID_X_EN: 1
; COMPUTE_PGM_RSRC2:TGID_Y_EN: 1
; COMPUTE_PGM_RSRC2:TGID_Z_EN: 1
; COMPUTE_PGM_RSRC2:TIDIG_COMP_CNT: 1
	.section	.AMDGPU.gpr_maximums,"",@progbits
	.set amdgpu.max_num_vgpr, 0
	.set amdgpu.max_num_agpr, 0
	.set amdgpu.max_num_sgpr, 0
	.section	.AMDGPU.csdata,"",@progbits
	.type	_ZL11iq2xxs_grid,@object        ; @_ZL11iq2xxs_grid
	.section	.rodata,"a",@progbits
	.p2align	4, 0x0
_ZL11iq2xxs_grid:
	.quad	578721382704613384              ; 0x808080808080808
	.quad	578721382704613419              ; 0x80808080808082b
	.quad	578721382704617753              ; 0x808080808081919
	.quad	578721382704622344              ; 0x808080808082b08
	.quad	578721382704622379              ; 0x808080808082b2b
	.quad	578721382705727513              ; 0x808080808190819
	.quad	578721382705731848              ; 0x808080808191908
	.quad	578721382706907144              ; 0x8080808082b0808
	.quad	578721382706907179              ; 0x8080808082b082b
	.quad	578721382706916104              ; 0x8080808082b2b08
	.quad	578721382706916139              ; 0x8080808082b2b2b
	.quad	578721382989826073              ; 0x808080819080819
	.quad	578721382989830408              ; 0x808080819081908
	.quad	578721382990940168              ; 0x808080819190808
	.quad	578721382990949128              ; 0x808080819192b08
	.quad	578721382992119833              ; 0x8080808192b0819
	.quad	578721382992124168              ; 0x8080808192b1908
	.quad	578721383291815944              ; 0x80808082b080808
	.quad	578721383291815979              ; 0x80808082b08082b
	.quad	578721383291824939              ; 0x80808082b082b2b
	.quad	578721383294109739              ; 0x80808082b2b082b
	.quad	578721455719057433              ; 0x808081908080819
	.quad	578721455719061768              ; 0x808081908081908
	.quad	578721455720171528              ; 0x808081908190808
	.quad	578721455720175897              ; 0x808081908191919
	.quad	578721456004270088              ; 0x808081919080808
	.quad	578721456306264328              ; 0x80808192b081908
	.quad	578721456307383048              ; 0x80808192b192b08
	.quad	578721533028468744              ; 0x808082b08080808
	.quad	578721533028468779              ; 0x808082b0808082b
	.quad	578721533030762539              ; 0x808082b082b082b
	.quad	578721533615671339              ; 0x808082b2b08082b
	.quad	578740074402285593              ; 0x808190808080819
	.quad	578740074402289928              ; 0x808190808081908
	.quad	578740074403399688              ; 0x808190808190808
	.quad	578740074404579353              ; 0x8081908082b0819
	.quad	578740074404583688              ; 0x8081908082b1908
	.quad	578740074687498248              ; 0x808190819080808
	.quad	578740074687498283              ; 0x80819081908082b
	.quad	578740074687507208              ; 0x808190819082b08
	.quad	578740074689792008              ; 0x8081908192b0808
	.quad	578740074989488153              ; 0x80819082b080819
	.quad	578740074989492488              ; 0x80819082b081908
	.quad	578740074990602248              ; 0x80819082b190808
	.quad	578740074991786248              ; 0x80819082b2b1908
	.quad	578740147416729608              ; 0x808191908080808
	.quad	578740147416729643              ; 0x80819190808082b
	.quad	578740147416738568              ; 0x808191908082b08
	.quad	578740147419023368              ; 0x8081919082b0808
	.quad	578740147701946667              ; 0x80819191908192b
	.quad	578740147704245017              ; 0x8081919192b2b19
	.quad	578740148003932168              ; 0x80819192b080808
	.quad	578740148005046297              ; 0x80819192b190819
	.quad	578740224726149913              ; 0x808192b08082b19
	.quad	578740224727255048              ; 0x808192b08190808
	.quad	578740225011353608              ; 0x808192b19080808
	.quad	578740225313347848              ; 0x808192b2b081908
	.quad	578740225315641608              ; 0x808192b2b2b1908
	.quad	578759865611585544              ; 0x8082b0808080808
	.quad	578759865611589913              ; 0x8082b0808081919
	.quad	578759865611594504              ; 0x8082b0808082b08
	.quad	578759865612704008              ; 0x8082b0808191908
	.quad	578759865613888264              ; 0x8082b08082b2b08
	.quad	578759865896798233              ; 0x8082b0819080819
	.quad	578759865896802568              ; 0x8082b0819081908
	.quad	578759865897912328              ; 0x8082b0819190808
	.quad	578759865897912363              ; 0x8082b081919082b
	.quad	578759866198797064              ; 0x8082b082b082b08
	.quad	578759938626033928              ; 0x8082b1908081908
	.quad	578759938911242248              ; 0x8082b1919080808
	.quad	578760015935440939              ; 0x8082b2b0808082b
	.quad	578760015936559368              ; 0x8082b2b08191908
	.quad	583506457308694553              ; 0x819080808080819
	.quad	583506457308698888              ; 0x819080808081908
	.quad	583506457309808648              ; 0x819080808190808
	.quad	583506457310988313              ; 0x8190808082b0819
	.quad	583506457593907208              ; 0x819080819080808
	.quad	583506457596200968              ; 0x8190808192b0808
	.quad	583506457895901448              ; 0x81908082b081908
	.quad	583506457897011208              ; 0x81908082b190808
	.quad	583506457897015577              ; 0x81908082b191919
	.quad	583506530323138568              ; 0x819081908080808
	.quad	583506530323147528              ; 0x819081908082b08
	.quad	583506530325432328              ; 0x8190819082b0808
	.quad	583506530609465352              ; 0x819081919190808
	.quad	583506530609474347              ; 0x819081919192b2b
	.quad	583506530910341128              ; 0x81908192b080808
	.quad	583506607634848008              ; 0x819082b082b1908
	.quad	583506607917766937              ; 0x819082b19081919
	.quad	583525149006366728              ; 0x819190808080808
	.quad	583525149006375688              ; 0x819190808082b08
	.quad	583525149008660488              ; 0x8191908082b0808
	.quad	583525149008664857              ; 0x8191908082b1919
	.quad	583525149291588377              ; 0x819190819082b19
	.quad	583525149593569288              ; 0x81919082b080808
	.quad	583525222021933832              ; 0x819191908192b08
	.quad	583525222308317227              ; 0x8191919192b082b
	.quad	583525299330222088              ; 0x819192b08080808
	.quad	583525299331340587              ; 0x819192b0819192b
	.quad	583544940215666713              ; 0x8192b0808080819
	.quad	583544940215671048              ; 0x8192b0808081908
	.quad	583544940216780808              ; 0x8192b0808190808
	.quad	583544940500879368              ; 0x8192b0819080808
	.quad	583544940802869273              ; 0x8192b082b080819
	.quad	583545013230110728              ; 0x8192b1908080808
	.quad	583545013230115097              ; 0x8192b1908081919
	.quad	583545013819607048              ; 0x8192b192b2b0808
	.quad	583545090825848857              ; 0x8192b2b19190819
	.quad	588573006889486344              ; 0x82b080808080808
	.quad	588573006889486379              ; 0x82b08080808082b
	.quad	588573006889495339              ; 0x82b080808082b2b
	.quad	588573007174703368              ; 0x82b080819081908
	.quad	588573007176992793              ; 0x82b0808192b0819
	.quad	588573007476688904              ; 0x82b08082b080808
	.quad	588573007476688939              ; 0x82b08082b08082b
	.quad	588573079906233113              ; 0x82b0819082b2b19
	.quad	588573080189152008              ; 0x82b081919082b08
	.quad	588573157213341704              ; 0x82b082b08080808
	.quad	588573157213341739              ; 0x82b082b0808082b
	.quad	588591698587158553              ; 0x82b190808080819
	.quad	588591698587162888              ; 0x82b190808081908
	.quad	588591698588272648              ; 0x82b190808190808
	.quad	588591698872371208              ; 0x82b190819080808
	.quad	588591698873489707              ; 0x82b19081919192b
	.quad	588591771601602568              ; 0x82b191908080808
	.quad	588591771886815257              ; 0x82b191919080819
	.quad	588591771889113352              ; 0x82b1919192b1908
	.quad	588591849499330568              ; 0x82b192b2b190808
	.quad	588611489796467464              ; 0x82b2b0808082b08
	.quad	588611489798752264              ; 0x82b2b08082b0808
	.quad	588611490384779528              ; 0x82b2b082b191908
	.quad	588611640405530888              ; 0x82b2b2b19081908
	.quad	1803700481349388313             ; 0x1908080808080819
	.quad	1803700481349392648             ; 0x1908080808081908
	;; [unrolled: 1-line block ×124, first 2 shown]
	.size	_ZL11iq2xxs_grid, 2048

	.type	_ZL10iq2xs_grid,@object         ; @_ZL10iq2xs_grid
	.p2align	4, 0x0
_ZL10iq2xs_grid:
	.quad	578721382704613384              ; 0x808080808080808
	.quad	578721382704613419              ; 0x80808080808082b
	;; [unrolled: 1-line block ×254, first 2 shown]
	.quad	1803700481349388313             ; 0x1908080808080819
	.quad	1803700481349392648             ; 0x1908080808081908
	;; [unrolled: 1-line block ×258, first 2 shown]
	.size	_ZL10iq2xs_grid, 4096

	.type	_ZL9iq2s_grid,@object           ; @_ZL9iq2s_grid
	.p2align	4, 0x0
_ZL9iq2s_grid:
	.quad	578721382704613384              ; 0x808080808080808
	.quad	578721382704613419              ; 0x80808080808082b
	;; [unrolled: 1-line block ×471, first 2 shown]
	.quad	1803700481349388313             ; 0x1908080808080819
	.quad	1803700481349392648             ; 0x1908080808081908
	;; [unrolled: 1-line block ×553, first 2 shown]
	.size	_ZL9iq2s_grid, 8192

	.type	_ZL11iq3xxs_grid,@object        ; @_ZL11iq3xxs_grid
	.p2align	4, 0x0
_ZL11iq3xxs_grid:
	.long	67372036                        ; 0x4040404
	.long	67372052                        ; 0x4040414
	;; [unrolled: 1-line block ×58, first 2 shown]
	.long	201589772                       ; 0xc04040c
	.long	201589788                       ; 0xc04041c
	;; [unrolled: 1-line block ×177, first 2 shown]
	.long	1040450588                      ; 0x3e04041c
	.long	1040450604                      ; 0x3e04042c
	;; [unrolled: 1-line block ×21, first 2 shown]
	.size	_ZL11iq3xxs_grid, 1024

	.type	_ZL13iq1s_grid_gpu,@object      ; @_ZL13iq1s_grid_gpu
	.p2align	4, 0x0
_ZL13iq1s_grid_gpu:
	.long	0                               ; 0x0
	.long	2                               ; 0x2
	.long	257                             ; 0x101
	.long	512                             ; 0x200
	.long	514                             ; 0x202
	.long	65537                           ; 0x10001
	.long	65793                           ; 0x10101
	.long	131072                          ; 0x20000
	.long	131074                          ; 0x20002
	;; [unrolled: 1-line block ×4, first 2 shown]
	.long	16777473                        ; 0x1000101
	.long	16842753                        ; 0x1010001
	;; [unrolled: 1-line block ×14, first 2 shown]
	.long	272                             ; 0x110
	.long	273                             ; 0x111
	.long	65553                           ; 0x10011
	.long	65808                           ; 0x10110
	;; [unrolled: 1-line block ×5, first 2 shown]
	.long	131345                          ; 0x20111
	.long	16777233                        ; 0x1000011
	.long	16777490                        ; 0x1000112
	;; [unrolled: 1-line block ×15, first 2 shown]
	.long	32                              ; 0x20
	.long	34                              ; 0x22
	.long	544                             ; 0x220
	.long	546                             ; 0x222
	.long	65825                           ; 0x10121
	.long	131104                          ; 0x20020
	.long	131106                          ; 0x20022
	;; [unrolled: 1-line block ×4, first 2 shown]
	.long	16777505                        ; 0x1000121
	.long	16842785                        ; 0x1010021
	;; [unrolled: 1-line block ×16, first 2 shown]
	.long	69633                           ; 0x11001
	.long	69888                           ; 0x11100
	;; [unrolled: 1-line block ×3, first 2 shown]
	.long	135425                          ; 0x21101
	.long	16781313                        ; 0x1001001
	.long	16781825                        ; 0x1001201
	;; [unrolled: 1-line block ×9, first 2 shown]
	.long	4113                            ; 0x1011
	.long	4368                            ; 0x1110
	;; [unrolled: 1-line block ×4, first 2 shown]
	.long	69905                           ; 0x11111
	.long	70160                           ; 0x11210
	;; [unrolled: 1-line block ×3, first 2 shown]
	.long	135697                          ; 0x21211
	.long	16781328                        ; 0x1001010
	.long	16781585                        ; 0x1001111
	;; [unrolled: 1-line block ×24, first 2 shown]
	.long	69920                           ; 0x11120
	.long	70177                           ; 0x11221
	.long	16781345                        ; 0x1001021
	.long	16781600                        ; 0x1001120
	;; [unrolled: 1-line block ×14, first 2 shown]
	.long	8192                            ; 0x2000
	.long	8194                            ; 0x2002
	;; [unrolled: 1-line block ×4, first 2 shown]
	.long	73985                           ; 0x12101
	.long	139264                          ; 0x22000
	.long	139266                          ; 0x22002
	;; [unrolled: 1-line block ×4, first 2 shown]
	.long	16785665                        ; 0x1002101
	.long	16850945                        ; 0x1012001
	;; [unrolled: 1-line block ×13, first 2 shown]
	.long	8465                            ; 0x2111
	.long	73745                           ; 0x12011
	.long	74000                           ; 0x12110
	;; [unrolled: 1-line block ×3, first 2 shown]
	.long	139536                          ; 0x22110
	.long	139537                          ; 0x22111
	.long	16785425                        ; 0x1002011
	.long	16850960                        ; 0x1012010
	;; [unrolled: 1-line block ×12, first 2 shown]
	.long	8224                            ; 0x2020
	.long	8226                            ; 0x2022
	;; [unrolled: 1-line block ×4, first 2 shown]
	.long	74017                           ; 0x12121
	.long	139296                          ; 0x22020
	.long	139298                          ; 0x22022
	;; [unrolled: 1-line block ×4, first 2 shown]
	.long	16785697                        ; 0x1002121
	.long	16850977                        ; 0x1012021
	;; [unrolled: 1-line block ×15, first 2 shown]
	.long	1114112                         ; 0x110000
	.long	1114113                         ; 0x110001
	;; [unrolled: 1-line block ×6, first 2 shown]
	.long	17825793                        ; 0x1100001
	.long	17826048                        ; 0x1100100
	;; [unrolled: 1-line block ×14, first 2 shown]
	.long	1048593                         ; 0x100011
	.long	1048848                         ; 0x100110
	;; [unrolled: 1-line block ×11, first 2 shown]
	.long	17826065                        ; 0x1100111
	.long	17826322                        ; 0x1100212
	;; [unrolled: 1-line block ×16, first 2 shown]
	.long	1114145                         ; 0x110021
	.long	1114400                         ; 0x110120
	;; [unrolled: 1-line block ×4, first 2 shown]
	.long	17825824                        ; 0x1100020
	.long	17826082                        ; 0x1100122
	;; [unrolled: 1-line block ×14, first 2 shown]
	.long	1052673                         ; 0x101001
	.long	1052930                         ; 0x101102
	;; [unrolled: 1-line block ×9, first 2 shown]
	.long	17829889                        ; 0x1101001
	.long	17830145                        ; 0x1101101
	;; [unrolled: 1-line block ×25, first 2 shown]
	.long	1052690                         ; 0x101012
	.long	1052945                         ; 0x101111
	;; [unrolled: 1-line block ×13, first 2 shown]
	.long	17829905                        ; 0x1101011
	.long	17830160                        ; 0x1101110
	;; [unrolled: 1-line block ×32, first 2 shown]
	.long	1052705                         ; 0x101021
	.long	1052960                         ; 0x101120
	;; [unrolled: 1-line block ×10, first 2 shown]
	.long	17829920                        ; 0x1101020
	.long	17829922                        ; 0x1101022
	;; [unrolled: 1-line block ×23, first 2 shown]
	.long	1122305                         ; 0x112001
	.long	1122562                         ; 0x112102
	;; [unrolled: 1-line block ×3, first 2 shown]
	.long	17833985                        ; 0x1102001
	.long	17834240                        ; 0x1102100
	;; [unrolled: 1-line block ×17, first 2 shown]
	.long	1122320                         ; 0x112010
	.long	1122322                         ; 0x112012
	;; [unrolled: 1-line block ×6, first 2 shown]
	.long	17834002                        ; 0x1102012
	.long	17834256                        ; 0x1102110
	;; [unrolled: 1-line block ×21, first 2 shown]
	.long	1057313                         ; 0x102221
	.long	1122594                         ; 0x112122
	;; [unrolled: 1-line block ×4, first 2 shown]
	.long	17834272                        ; 0x1102120
	.long	17834274                        ; 0x1102122
	;; [unrolled: 1-line block ×14, first 2 shown]
	.long	2097152                         ; 0x200000
	.long	2097154                         ; 0x200002
	;; [unrolled: 1-line block ×10, first 2 shown]
	.long	18874625                        ; 0x1200101
	.long	18939905                        ; 0x1210001
	.long	18940417                        ; 0x1210201
	.long	19005441                        ; 0x1220001
	.long	19005697                        ; 0x1220101
	.long	35651584                        ; 0x2200000
	.long	35651586                        ; 0x2200002
	.long	35652096                        ; 0x2200200
	.long	35652098                        ; 0x2200202
	.long	35717377                        ; 0x2210101
	.long	35782656                        ; 0x2220000
	.long	35782658                        ; 0x2220002
	.long	35782913                        ; 0x2220101
	.long	35783168                        ; 0x2220200
	.long	35783170                        ; 0x2220202
	.long	2097425                         ; 0x200111
	.long	2162705                         ; 0x210011
	;; [unrolled: 1-line block ×5, first 2 shown]
	.long	18874386                        ; 0x1200012
	.long	18874640                        ; 0x1200110
	;; [unrolled: 1-line block ×15, first 2 shown]
	.long	2097185                         ; 0x200021
	.long	2097696                         ; 0x200220
	;; [unrolled: 1-line block ×9, first 2 shown]
	.long	18874657                        ; 0x1200121
	.long	18939937                        ; 0x1210021
	;; [unrolled: 1-line block ×14, first 2 shown]
	.long	2101505                         ; 0x201101
	.long	2167040                         ; 0x211100
	;; [unrolled: 1-line block ×5, first 2 shown]
	.long	18878720                        ; 0x1201100
	.long	18878721                        ; 0x1201101
	;; [unrolled: 1-line block ×15, first 2 shown]
	.long	2101777                         ; 0x201211
	.long	2167057                         ; 0x211111
	;; [unrolled: 1-line block ×4, first 2 shown]
	.long	18878480                        ; 0x1201010
	.long	18878737                        ; 0x1201111
	;; [unrolled: 1-line block ×20, first 2 shown]
	.long	2101537                         ; 0x201121
	.long	2166816                         ; 0x211020
	;; [unrolled: 1-line block ×5, first 2 shown]
	.long	18878497                        ; 0x1201021
	.long	18879009                        ; 0x1201221
	;; [unrolled: 1-line block ×10, first 2 shown]
	.long	2105344                         ; 0x202000
	.long	2105346                         ; 0x202002
	.long	2105856                         ; 0x202200
	.long	2105858                         ; 0x202202
	.long	2171137                         ; 0x212101
	.long	2236416                         ; 0x222000
	.long	2236418                         ; 0x222002
	.long	2236928                         ; 0x222200
	.long	2236930                         ; 0x222202
	.long	18882817                        ; 0x1202101
	.long	18948097                        ; 0x1212001
	.long	18948352                        ; 0x1212100
	.long	19013889                        ; 0x1222101
	.long	35659776                        ; 0x2202000
	.long	35659778                        ; 0x2202002
	.long	35660288                        ; 0x2202200
	.long	35660290                        ; 0x2202202
	.long	35790848                        ; 0x2222000
	.long	35790850                        ; 0x2222002
	.long	35791360                        ; 0x2222200
	.long	35791362                        ; 0x2222202
	.long	2105873                         ; 0x202211
	.long	2170897                         ; 0x212011
	;; [unrolled: 1-line block ×5, first 2 shown]
	.long	18882834                        ; 0x1202112
	.long	18883089                        ; 0x1202211
	;; [unrolled: 1-line block ×14, first 2 shown]
	.long	2105376                         ; 0x202020
	.long	2105378                         ; 0x202022
	;; [unrolled: 1-line block ×8, first 2 shown]
	.long	18882849                        ; 0x1202121
	.long	18948129                        ; 0x1212021
	;; [unrolled: 1-line block ×14, first 2 shown]
	.long	268435713                       ; 0x10000101
	.long	268500993                       ; 0x10010001
	;; [unrolled: 1-line block ×1419, first 2 shown]
	.size	_ZL13iq1s_grid_gpu, 8192

	.type	_ZL9iq3s_grid,@object           ; @_ZL9iq3s_grid
	.p2align	4, 0x0
_ZL9iq3s_grid:
	.long	16843009                        ; 0x1010101
	.long	16843011                        ; 0x1010103
	;; [unrolled: 1-line block ×281, first 2 shown]
	.long	117506309                       ; 0x7010105
	.long	117506819                       ; 0x7010303
	;; [unrolled: 1-line block ×231, first 2 shown]
	.size	_ZL9iq3s_grid, 2048

	.type	__hip_cuid_7bf0fac2c2eabe9f,@object ; @__hip_cuid_7bf0fac2c2eabe9f
	.section	.bss,"aw",@nobits
	.globl	__hip_cuid_7bf0fac2c2eabe9f
__hip_cuid_7bf0fac2c2eabe9f:
	.byte	0                               ; 0x0
	.size	__hip_cuid_7bf0fac2c2eabe9f, 1

	.ident	"AMD clang version 22.0.0git (https://github.com/RadeonOpenCompute/llvm-project roc-7.2.4 26084 f58b06dce1f9c15707c5f808fd002e18c2accf7e)"
	.section	".note.GNU-stack","",@progbits
	.addrsig
	.addrsig_sym __hip_cuid_7bf0fac2c2eabe9f
	.amdgpu_metadata
---
amdhsa.kernels:
  - .args:
      - .address_space:  global
        .offset:         0
        .size:           8
        .value_kind:     global_buffer
      - .address_space:  global
        .offset:         8
        .size:           8
        .value_kind:     global_buffer
      - .address_space:  global
        .offset:         16
        .size:           8
        .value_kind:     global_buffer
      - .address_space:  global
        .offset:         24
        .size:           8
        .value_kind:     global_buffer
      - .offset:         32
        .size:           4
        .value_kind:     by_value
      - .offset:         36
        .size:           12
        .value_kind:     by_value
      - .offset:         48
        .size:           4
        .value_kind:     by_value
      - .offset:         52
        .size:           4
        .value_kind:     by_value
      - .offset:         56
        .size:           4
        .value_kind:     by_value
      - .offset:         60
        .size:           4
        .value_kind:     by_value
      - .offset:         64
        .size:           4
        .value_kind:     by_value
      - .offset:         68
        .size:           4
        .value_kind:     by_value
      - .offset:         72
        .size:           4
        .value_kind:     by_value
      - .offset:         76
        .size:           4
        .value_kind:     by_value
      - .offset:         80
        .size:           4
        .value_kind:     by_value
    .group_segment_fixed_size: 0
    .kernarg_segment_align: 8
    .kernarg_segment_size: 84
    .language:       OpenCL C
    .language_version:
      - 2
      - 0
    .max_flat_workgroup_size: 256
    .name:           _ZL17mul_mat_vec_q_moeIL9ggml_type41ELi2EEvPKvS2_PKiPfj15HIP_vector_typeIjLj3EEjjjjjjjjj
    .private_segment_fixed_size: 0
    .sgpr_count:     33
    .sgpr_spill_count: 0
    .symbol:         _ZL17mul_mat_vec_q_moeIL9ggml_type41ELi2EEvPKvS2_PKiPfj15HIP_vector_typeIjLj3EEjjjjjjjjj.kd
    .uniform_work_group_size: 1
    .uses_dynamic_stack: false
    .vgpr_count:     58
    .vgpr_spill_count: 0
    .wavefront_size: 32
    .workgroup_processor_mode: 1
  - .args:
      - .address_space:  global
        .offset:         0
        .size:           8
        .value_kind:     global_buffer
      - .address_space:  global
        .offset:         8
        .size:           8
        .value_kind:     global_buffer
      - .address_space:  global
        .offset:         16
        .size:           8
        .value_kind:     global_buffer
      - .offset:         24
        .size:           32
        .value_kind:     by_value
      - .address_space:  global
        .offset:         56
        .size:           8
        .value_kind:     global_buffer
      - .offset:         64
        .size:           4
        .value_kind:     by_value
      - .offset:         68
        .size:           12
        .value_kind:     by_value
      - .offset:         80
        .size:           4
        .value_kind:     by_value
      - .offset:         84
        .size:           4
        .value_kind:     by_value
      - .offset:         88
        .size:           4
        .value_kind:     by_value
      - .offset:         92
        .size:           12
        .value_kind:     by_value
      - .offset:         104
        .size:           4
        .value_kind:     by_value
      - .offset:         108
        .size:           4
        .value_kind:     by_value
      - .offset:         112
        .size:           4
        .value_kind:     by_value
      - .offset:         116
        .size:           12
        .value_kind:     by_value
      - .offset:         128
        .size:           4
        .value_kind:     by_value
      - .offset:         132
        .size:           4
        .value_kind:     by_value
      - .offset:         136
        .size:           4
        .value_kind:     by_value
      - .offset:         140
        .size:           4
        .value_kind:     by_value
    .group_segment_fixed_size: 0
    .kernarg_segment_align: 8
    .kernarg_segment_size: 144
    .language:       OpenCL C
    .language_version:
      - 2
      - 0
    .max_flat_workgroup_size: 32
    .name:           _ZL13mul_mat_vec_qIL9ggml_type41ELi1ELb1ELb1EEvPKvS2_PKi31ggml_cuda_mm_fusion_args_devicePfj15HIP_vector_typeIjLj3EEjjjS8_jjjS8_jjjj
    .private_segment_fixed_size: 0
    .sgpr_count:     42
    .sgpr_spill_count: 0
    .symbol:         _ZL13mul_mat_vec_qIL9ggml_type41ELi1ELb1ELb1EEvPKvS2_PKi31ggml_cuda_mm_fusion_args_devicePfj15HIP_vector_typeIjLj3EEjjjS8_jjjS8_jjjj.kd
    .uniform_work_group_size: 1
    .uses_dynamic_stack: false
    .vgpr_count:     57
    .vgpr_spill_count: 0
    .wavefront_size: 32
    .workgroup_processor_mode: 1
  - .args:
      - .address_space:  global
        .offset:         0
        .size:           8
        .value_kind:     global_buffer
      - .address_space:  global
        .offset:         8
        .size:           8
        .value_kind:     global_buffer
      - .address_space:  global
        .offset:         16
        .size:           8
        .value_kind:     global_buffer
      - .offset:         24
        .size:           32
        .value_kind:     by_value
      - .address_space:  global
        .offset:         56
        .size:           8
        .value_kind:     global_buffer
      - .offset:         64
        .size:           4
        .value_kind:     by_value
      - .offset:         68
        .size:           12
        .value_kind:     by_value
      - .offset:         80
        .size:           4
        .value_kind:     by_value
      - .offset:         84
        .size:           4
        .value_kind:     by_value
      - .offset:         88
        .size:           4
        .value_kind:     by_value
      - .offset:         92
        .size:           12
        .value_kind:     by_value
      - .offset:         104
        .size:           4
        .value_kind:     by_value
      - .offset:         108
        .size:           4
        .value_kind:     by_value
      - .offset:         112
        .size:           4
        .value_kind:     by_value
      - .offset:         116
        .size:           12
        .value_kind:     by_value
      - .offset:         128
        .size:           4
        .value_kind:     by_value
      - .offset:         132
        .size:           4
        .value_kind:     by_value
      - .offset:         136
        .size:           4
        .value_kind:     by_value
      - .offset:         140
        .size:           4
        .value_kind:     by_value
    .group_segment_fixed_size: 0
    .kernarg_segment_align: 8
    .kernarg_segment_size: 144
    .language:       OpenCL C
    .language_version:
      - 2
      - 0
    .max_flat_workgroup_size: 32
    .name:           _ZL13mul_mat_vec_qIL9ggml_type41ELi1ELb0ELb1EEvPKvS2_PKi31ggml_cuda_mm_fusion_args_devicePfj15HIP_vector_typeIjLj3EEjjjS8_jjjS8_jjjj
    .private_segment_fixed_size: 0
    .sgpr_count:     24
    .sgpr_spill_count: 0
    .symbol:         _ZL13mul_mat_vec_qIL9ggml_type41ELi1ELb0ELb1EEvPKvS2_PKi31ggml_cuda_mm_fusion_args_devicePfj15HIP_vector_typeIjLj3EEjjjS8_jjjS8_jjjj.kd
    .uniform_work_group_size: 1
    .uses_dynamic_stack: false
    .vgpr_count:     51
    .vgpr_spill_count: 0
    .wavefront_size: 32
    .workgroup_processor_mode: 1
  - .args:
      - .address_space:  global
        .offset:         0
        .size:           8
        .value_kind:     global_buffer
      - .address_space:  global
        .offset:         8
        .size:           8
        .value_kind:     global_buffer
      - .address_space:  global
        .offset:         16
        .size:           8
        .value_kind:     global_buffer
      - .offset:         24
        .size:           32
        .value_kind:     by_value
      - .address_space:  global
        .offset:         56
        .size:           8
        .value_kind:     global_buffer
      - .offset:         64
        .size:           4
        .value_kind:     by_value
      - .offset:         68
        .size:           12
        .value_kind:     by_value
      - .offset:         80
        .size:           4
        .value_kind:     by_value
      - .offset:         84
        .size:           4
        .value_kind:     by_value
      - .offset:         88
        .size:           4
        .value_kind:     by_value
      - .offset:         92
        .size:           12
        .value_kind:     by_value
      - .offset:         104
        .size:           4
        .value_kind:     by_value
      - .offset:         108
        .size:           4
        .value_kind:     by_value
      - .offset:         112
        .size:           4
        .value_kind:     by_value
      - .offset:         116
        .size:           12
        .value_kind:     by_value
      - .offset:         128
        .size:           4
        .value_kind:     by_value
      - .offset:         132
        .size:           4
        .value_kind:     by_value
      - .offset:         136
        .size:           4
        .value_kind:     by_value
      - .offset:         140
        .size:           4
        .value_kind:     by_value
    .group_segment_fixed_size: 0
    .kernarg_segment_align: 8
    .kernarg_segment_size: 144
    .language:       OpenCL C
    .language_version:
      - 2
      - 0
    .max_flat_workgroup_size: 32
    .name:           _ZL13mul_mat_vec_qIL9ggml_type41ELi1ELb1ELb0EEvPKvS2_PKi31ggml_cuda_mm_fusion_args_devicePfj15HIP_vector_typeIjLj3EEjjjS8_jjjS8_jjjj
    .private_segment_fixed_size: 0
    .sgpr_count:     42
    .sgpr_spill_count: 0
    .symbol:         _ZL13mul_mat_vec_qIL9ggml_type41ELi1ELb1ELb0EEvPKvS2_PKi31ggml_cuda_mm_fusion_args_devicePfj15HIP_vector_typeIjLj3EEjjjS8_jjjS8_jjjj.kd
    .uniform_work_group_size: 1
    .uses_dynamic_stack: false
    .vgpr_count:     57
    .vgpr_spill_count: 0
    .wavefront_size: 32
    .workgroup_processor_mode: 1
  - .args:
      - .address_space:  global
        .offset:         0
        .size:           8
        .value_kind:     global_buffer
      - .address_space:  global
        .offset:         8
        .size:           8
        .value_kind:     global_buffer
      - .address_space:  global
        .offset:         16
        .size:           8
        .value_kind:     global_buffer
      - .offset:         24
        .size:           32
        .value_kind:     by_value
      - .address_space:  global
        .offset:         56
        .size:           8
        .value_kind:     global_buffer
      - .offset:         64
        .size:           4
        .value_kind:     by_value
      - .offset:         68
        .size:           12
        .value_kind:     by_value
      - .offset:         80
        .size:           4
        .value_kind:     by_value
      - .offset:         84
        .size:           4
        .value_kind:     by_value
      - .offset:         88
        .size:           4
        .value_kind:     by_value
      - .offset:         92
        .size:           12
        .value_kind:     by_value
      - .offset:         104
        .size:           4
        .value_kind:     by_value
      - .offset:         108
        .size:           4
        .value_kind:     by_value
      - .offset:         112
        .size:           4
        .value_kind:     by_value
      - .offset:         116
        .size:           12
        .value_kind:     by_value
      - .offset:         128
        .size:           4
        .value_kind:     by_value
      - .offset:         132
        .size:           4
        .value_kind:     by_value
      - .offset:         136
        .size:           4
        .value_kind:     by_value
      - .offset:         140
        .size:           4
        .value_kind:     by_value
    .group_segment_fixed_size: 0
    .kernarg_segment_align: 8
    .kernarg_segment_size: 144
    .language:       OpenCL C
    .language_version:
      - 2
      - 0
    .max_flat_workgroup_size: 32
    .name:           _ZL13mul_mat_vec_qIL9ggml_type41ELi1ELb0ELb0EEvPKvS2_PKi31ggml_cuda_mm_fusion_args_devicePfj15HIP_vector_typeIjLj3EEjjjS8_jjjS8_jjjj
    .private_segment_fixed_size: 0
    .sgpr_count:     24
    .sgpr_spill_count: 0
    .symbol:         _ZL13mul_mat_vec_qIL9ggml_type41ELi1ELb0ELb0EEvPKvS2_PKi31ggml_cuda_mm_fusion_args_devicePfj15HIP_vector_typeIjLj3EEjjjS8_jjjS8_jjjj.kd
    .uniform_work_group_size: 1
    .uses_dynamic_stack: false
    .vgpr_count:     51
    .vgpr_spill_count: 0
    .wavefront_size: 32
    .workgroup_processor_mode: 1
  - .args:
      - .address_space:  global
        .offset:         0
        .size:           8
        .value_kind:     global_buffer
      - .address_space:  global
        .offset:         8
        .size:           8
        .value_kind:     global_buffer
      - .address_space:  global
        .offset:         16
        .size:           8
        .value_kind:     global_buffer
      - .offset:         24
        .size:           32
        .value_kind:     by_value
      - .address_space:  global
        .offset:         56
        .size:           8
        .value_kind:     global_buffer
      - .offset:         64
        .size:           4
        .value_kind:     by_value
      - .offset:         68
        .size:           12
        .value_kind:     by_value
      - .offset:         80
        .size:           4
        .value_kind:     by_value
      - .offset:         84
        .size:           4
        .value_kind:     by_value
      - .offset:         88
        .size:           4
        .value_kind:     by_value
      - .offset:         92
        .size:           12
        .value_kind:     by_value
      - .offset:         104
        .size:           4
        .value_kind:     by_value
      - .offset:         108
        .size:           4
        .value_kind:     by_value
      - .offset:         112
        .size:           4
        .value_kind:     by_value
      - .offset:         116
        .size:           12
        .value_kind:     by_value
      - .offset:         128
        .size:           4
        .value_kind:     by_value
      - .offset:         132
        .size:           4
        .value_kind:     by_value
      - .offset:         136
        .size:           4
        .value_kind:     by_value
      - .offset:         140
        .size:           4
        .value_kind:     by_value
    .group_segment_fixed_size: 0
    .kernarg_segment_align: 8
    .kernarg_segment_size: 144
    .language:       OpenCL C
    .language_version:
      - 2
      - 0
    .max_flat_workgroup_size: 32
    .name:           _ZL13mul_mat_vec_qIL9ggml_type41ELi2ELb0ELb0EEvPKvS2_PKi31ggml_cuda_mm_fusion_args_devicePfj15HIP_vector_typeIjLj3EEjjjS8_jjjS8_jjjj
    .private_segment_fixed_size: 0
    .sgpr_count:     30
    .sgpr_spill_count: 0
    .symbol:         _ZL13mul_mat_vec_qIL9ggml_type41ELi2ELb0ELb0EEvPKvS2_PKi31ggml_cuda_mm_fusion_args_devicePfj15HIP_vector_typeIjLj3EEjjjS8_jjjS8_jjjj.kd
    .uniform_work_group_size: 1
    .uses_dynamic_stack: false
    .vgpr_count:     62
    .vgpr_spill_count: 0
    .wavefront_size: 32
    .workgroup_processor_mode: 1
  - .args:
      - .address_space:  global
        .offset:         0
        .size:           8
        .value_kind:     global_buffer
      - .address_space:  global
        .offset:         8
        .size:           8
        .value_kind:     global_buffer
      - .address_space:  global
        .offset:         16
        .size:           8
        .value_kind:     global_buffer
      - .offset:         24
        .size:           32
        .value_kind:     by_value
      - .address_space:  global
        .offset:         56
        .size:           8
        .value_kind:     global_buffer
      - .offset:         64
        .size:           4
        .value_kind:     by_value
      - .offset:         68
        .size:           12
        .value_kind:     by_value
      - .offset:         80
        .size:           4
        .value_kind:     by_value
      - .offset:         84
        .size:           4
        .value_kind:     by_value
      - .offset:         88
        .size:           4
        .value_kind:     by_value
      - .offset:         92
        .size:           12
        .value_kind:     by_value
      - .offset:         104
        .size:           4
        .value_kind:     by_value
      - .offset:         108
        .size:           4
        .value_kind:     by_value
      - .offset:         112
        .size:           4
        .value_kind:     by_value
      - .offset:         116
        .size:           12
        .value_kind:     by_value
      - .offset:         128
        .size:           4
        .value_kind:     by_value
      - .offset:         132
        .size:           4
        .value_kind:     by_value
      - .offset:         136
        .size:           4
        .value_kind:     by_value
      - .offset:         140
        .size:           4
        .value_kind:     by_value
    .group_segment_fixed_size: 0
    .kernarg_segment_align: 8
    .kernarg_segment_size: 144
    .language:       OpenCL C
    .language_version:
      - 2
      - 0
    .max_flat_workgroup_size: 32
    .name:           _ZL13mul_mat_vec_qIL9ggml_type41ELi3ELb0ELb0EEvPKvS2_PKi31ggml_cuda_mm_fusion_args_devicePfj15HIP_vector_typeIjLj3EEjjjS8_jjjS8_jjjj
    .private_segment_fixed_size: 0
    .sgpr_count:     30
    .sgpr_spill_count: 0
    .symbol:         _ZL13mul_mat_vec_qIL9ggml_type41ELi3ELb0ELb0EEvPKvS2_PKi31ggml_cuda_mm_fusion_args_devicePfj15HIP_vector_typeIjLj3EEjjjS8_jjjS8_jjjj.kd
    .uniform_work_group_size: 1
    .uses_dynamic_stack: false
    .vgpr_count:     60
    .vgpr_spill_count: 0
    .wavefront_size: 32
    .workgroup_processor_mode: 1
  - .args:
      - .address_space:  global
        .offset:         0
        .size:           8
        .value_kind:     global_buffer
      - .address_space:  global
        .offset:         8
        .size:           8
        .value_kind:     global_buffer
      - .address_space:  global
        .offset:         16
        .size:           8
        .value_kind:     global_buffer
      - .offset:         24
        .size:           32
        .value_kind:     by_value
      - .address_space:  global
        .offset:         56
        .size:           8
        .value_kind:     global_buffer
      - .offset:         64
        .size:           4
        .value_kind:     by_value
      - .offset:         68
        .size:           12
        .value_kind:     by_value
      - .offset:         80
        .size:           4
        .value_kind:     by_value
      - .offset:         84
        .size:           4
        .value_kind:     by_value
      - .offset:         88
        .size:           4
        .value_kind:     by_value
      - .offset:         92
        .size:           12
        .value_kind:     by_value
      - .offset:         104
        .size:           4
        .value_kind:     by_value
      - .offset:         108
        .size:           4
        .value_kind:     by_value
      - .offset:         112
        .size:           4
        .value_kind:     by_value
      - .offset:         116
        .size:           12
        .value_kind:     by_value
      - .offset:         128
        .size:           4
        .value_kind:     by_value
      - .offset:         132
        .size:           4
        .value_kind:     by_value
      - .offset:         136
        .size:           4
        .value_kind:     by_value
      - .offset:         140
        .size:           4
        .value_kind:     by_value
    .group_segment_fixed_size: 0
    .kernarg_segment_align: 8
    .kernarg_segment_size: 144
    .language:       OpenCL C
    .language_version:
      - 2
      - 0
    .max_flat_workgroup_size: 32
    .name:           _ZL13mul_mat_vec_qIL9ggml_type41ELi4ELb0ELb0EEvPKvS2_PKi31ggml_cuda_mm_fusion_args_devicePfj15HIP_vector_typeIjLj3EEjjjS8_jjjS8_jjjj
    .private_segment_fixed_size: 0
    .sgpr_count:     30
    .sgpr_spill_count: 0
    .symbol:         _ZL13mul_mat_vec_qIL9ggml_type41ELi4ELb0ELb0EEvPKvS2_PKi31ggml_cuda_mm_fusion_args_devicePfj15HIP_vector_typeIjLj3EEjjjS8_jjjS8_jjjj.kd
    .uniform_work_group_size: 1
    .uses_dynamic_stack: false
    .vgpr_count:     61
    .vgpr_spill_count: 0
    .wavefront_size: 32
    .workgroup_processor_mode: 1
  - .args:
      - .address_space:  global
        .offset:         0
        .size:           8
        .value_kind:     global_buffer
      - .address_space:  global
        .offset:         8
        .size:           8
        .value_kind:     global_buffer
      - .address_space:  global
        .offset:         16
        .size:           8
        .value_kind:     global_buffer
      - .offset:         24
        .size:           32
        .value_kind:     by_value
      - .address_space:  global
        .offset:         56
        .size:           8
        .value_kind:     global_buffer
      - .offset:         64
        .size:           4
        .value_kind:     by_value
      - .offset:         68
        .size:           12
        .value_kind:     by_value
      - .offset:         80
        .size:           4
        .value_kind:     by_value
      - .offset:         84
        .size:           4
        .value_kind:     by_value
      - .offset:         88
        .size:           4
        .value_kind:     by_value
      - .offset:         92
        .size:           12
        .value_kind:     by_value
      - .offset:         104
        .size:           4
        .value_kind:     by_value
      - .offset:         108
        .size:           4
        .value_kind:     by_value
      - .offset:         112
        .size:           4
        .value_kind:     by_value
      - .offset:         116
        .size:           12
        .value_kind:     by_value
      - .offset:         128
        .size:           4
        .value_kind:     by_value
      - .offset:         132
        .size:           4
        .value_kind:     by_value
      - .offset:         136
        .size:           4
        .value_kind:     by_value
      - .offset:         140
        .size:           4
        .value_kind:     by_value
    .group_segment_fixed_size: 0
    .kernarg_segment_align: 8
    .kernarg_segment_size: 144
    .language:       OpenCL C
    .language_version:
      - 2
      - 0
    .max_flat_workgroup_size: 32
    .name:           _ZL13mul_mat_vec_qIL9ggml_type41ELi5ELb0ELb0EEvPKvS2_PKi31ggml_cuda_mm_fusion_args_devicePfj15HIP_vector_typeIjLj3EEjjjS8_jjjS8_jjjj
    .private_segment_fixed_size: 0
    .sgpr_count:     30
    .sgpr_spill_count: 0
    .symbol:         _ZL13mul_mat_vec_qIL9ggml_type41ELi5ELb0ELb0EEvPKvS2_PKi31ggml_cuda_mm_fusion_args_devicePfj15HIP_vector_typeIjLj3EEjjjS8_jjjS8_jjjj.kd
    .uniform_work_group_size: 1
    .uses_dynamic_stack: false
    .vgpr_count:     64
    .vgpr_spill_count: 0
    .wavefront_size: 32
    .workgroup_processor_mode: 1
  - .args:
      - .address_space:  global
        .offset:         0
        .size:           8
        .value_kind:     global_buffer
      - .address_space:  global
        .offset:         8
        .size:           8
        .value_kind:     global_buffer
      - .address_space:  global
        .offset:         16
        .size:           8
        .value_kind:     global_buffer
      - .offset:         24
        .size:           32
        .value_kind:     by_value
      - .address_space:  global
        .offset:         56
        .size:           8
        .value_kind:     global_buffer
      - .offset:         64
        .size:           4
        .value_kind:     by_value
      - .offset:         68
        .size:           12
        .value_kind:     by_value
      - .offset:         80
        .size:           4
        .value_kind:     by_value
      - .offset:         84
        .size:           4
        .value_kind:     by_value
      - .offset:         88
        .size:           4
        .value_kind:     by_value
      - .offset:         92
        .size:           12
        .value_kind:     by_value
      - .offset:         104
        .size:           4
        .value_kind:     by_value
      - .offset:         108
        .size:           4
        .value_kind:     by_value
      - .offset:         112
        .size:           4
        .value_kind:     by_value
      - .offset:         116
        .size:           12
        .value_kind:     by_value
      - .offset:         128
        .size:           4
        .value_kind:     by_value
      - .offset:         132
        .size:           4
        .value_kind:     by_value
      - .offset:         136
        .size:           4
        .value_kind:     by_value
      - .offset:         140
        .size:           4
        .value_kind:     by_value
    .group_segment_fixed_size: 0
    .kernarg_segment_align: 8
    .kernarg_segment_size: 144
    .language:       OpenCL C
    .language_version:
      - 2
      - 0
    .max_flat_workgroup_size: 32
    .name:           _ZL13mul_mat_vec_qIL9ggml_type41ELi6ELb0ELb0EEvPKvS2_PKi31ggml_cuda_mm_fusion_args_devicePfj15HIP_vector_typeIjLj3EEjjjS8_jjjS8_jjjj
    .private_segment_fixed_size: 0
    .sgpr_count:     30
    .sgpr_spill_count: 0
    .symbol:         _ZL13mul_mat_vec_qIL9ggml_type41ELi6ELb0ELb0EEvPKvS2_PKi31ggml_cuda_mm_fusion_args_devicePfj15HIP_vector_typeIjLj3EEjjjS8_jjjS8_jjjj.kd
    .uniform_work_group_size: 1
    .uses_dynamic_stack: false
    .vgpr_count:     40
    .vgpr_spill_count: 0
    .wavefront_size: 32
    .workgroup_processor_mode: 1
  - .args:
      - .address_space:  global
        .offset:         0
        .size:           8
        .value_kind:     global_buffer
      - .address_space:  global
        .offset:         8
        .size:           8
        .value_kind:     global_buffer
      - .address_space:  global
        .offset:         16
        .size:           8
        .value_kind:     global_buffer
      - .offset:         24
        .size:           32
        .value_kind:     by_value
      - .address_space:  global
        .offset:         56
        .size:           8
        .value_kind:     global_buffer
      - .offset:         64
        .size:           4
        .value_kind:     by_value
      - .offset:         68
        .size:           12
        .value_kind:     by_value
      - .offset:         80
        .size:           4
        .value_kind:     by_value
      - .offset:         84
        .size:           4
        .value_kind:     by_value
      - .offset:         88
        .size:           4
        .value_kind:     by_value
      - .offset:         92
        .size:           12
        .value_kind:     by_value
      - .offset:         104
        .size:           4
        .value_kind:     by_value
      - .offset:         108
        .size:           4
        .value_kind:     by_value
      - .offset:         112
        .size:           4
        .value_kind:     by_value
      - .offset:         116
        .size:           12
        .value_kind:     by_value
      - .offset:         128
        .size:           4
        .value_kind:     by_value
      - .offset:         132
        .size:           4
        .value_kind:     by_value
      - .offset:         136
        .size:           4
        .value_kind:     by_value
      - .offset:         140
        .size:           4
        .value_kind:     by_value
    .group_segment_fixed_size: 0
    .kernarg_segment_align: 8
    .kernarg_segment_size: 144
    .language:       OpenCL C
    .language_version:
      - 2
      - 0
    .max_flat_workgroup_size: 32
    .name:           _ZL13mul_mat_vec_qIL9ggml_type41ELi7ELb0ELb0EEvPKvS2_PKi31ggml_cuda_mm_fusion_args_devicePfj15HIP_vector_typeIjLj3EEjjjS8_jjjS8_jjjj
    .private_segment_fixed_size: 0
    .sgpr_count:     30
    .sgpr_spill_count: 0
    .symbol:         _ZL13mul_mat_vec_qIL9ggml_type41ELi7ELb0ELb0EEvPKvS2_PKi31ggml_cuda_mm_fusion_args_devicePfj15HIP_vector_typeIjLj3EEjjjS8_jjjS8_jjjj.kd
    .uniform_work_group_size: 1
    .uses_dynamic_stack: false
    .vgpr_count:     67
    .vgpr_spill_count: 0
    .wavefront_size: 32
    .workgroup_processor_mode: 1
  - .args:
      - .address_space:  global
        .offset:         0
        .size:           8
        .value_kind:     global_buffer
      - .address_space:  global
        .offset:         8
        .size:           8
        .value_kind:     global_buffer
      - .address_space:  global
        .offset:         16
        .size:           8
        .value_kind:     global_buffer
      - .offset:         24
        .size:           32
        .value_kind:     by_value
      - .address_space:  global
        .offset:         56
        .size:           8
        .value_kind:     global_buffer
      - .offset:         64
        .size:           4
        .value_kind:     by_value
      - .offset:         68
        .size:           12
        .value_kind:     by_value
      - .offset:         80
        .size:           4
        .value_kind:     by_value
      - .offset:         84
        .size:           4
        .value_kind:     by_value
      - .offset:         88
        .size:           4
        .value_kind:     by_value
      - .offset:         92
        .size:           12
        .value_kind:     by_value
      - .offset:         104
        .size:           4
        .value_kind:     by_value
      - .offset:         108
        .size:           4
        .value_kind:     by_value
      - .offset:         112
        .size:           4
        .value_kind:     by_value
      - .offset:         116
        .size:           12
        .value_kind:     by_value
      - .offset:         128
        .size:           4
        .value_kind:     by_value
      - .offset:         132
        .size:           4
        .value_kind:     by_value
      - .offset:         136
        .size:           4
        .value_kind:     by_value
      - .offset:         140
        .size:           4
        .value_kind:     by_value
    .group_segment_fixed_size: 0
    .kernarg_segment_align: 8
    .kernarg_segment_size: 144
    .language:       OpenCL C
    .language_version:
      - 2
      - 0
    .max_flat_workgroup_size: 32
    .name:           _ZL13mul_mat_vec_qIL9ggml_type41ELi8ELb0ELb0EEvPKvS2_PKi31ggml_cuda_mm_fusion_args_devicePfj15HIP_vector_typeIjLj3EEjjjS8_jjjS8_jjjj
    .private_segment_fixed_size: 0
    .sgpr_count:     30
    .sgpr_spill_count: 0
    .symbol:         _ZL13mul_mat_vec_qIL9ggml_type41ELi8ELb0ELb0EEvPKvS2_PKi31ggml_cuda_mm_fusion_args_devicePfj15HIP_vector_typeIjLj3EEjjjS8_jjjS8_jjjj.kd
    .uniform_work_group_size: 1
    .uses_dynamic_stack: false
    .vgpr_count:     38
    .vgpr_spill_count: 0
    .wavefront_size: 32
    .workgroup_processor_mode: 1
  - .args:
      - .address_space:  global
        .offset:         0
        .size:           8
        .value_kind:     global_buffer
      - .address_space:  global
        .offset:         8
        .size:           8
        .value_kind:     global_buffer
      - .address_space:  global
        .offset:         16
        .size:           8
        .value_kind:     global_buffer
      - .address_space:  global
        .offset:         24
        .size:           8
        .value_kind:     global_buffer
      - .offset:         32
        .size:           4
        .value_kind:     by_value
      - .offset:         36
        .size:           12
        .value_kind:     by_value
      - .offset:         48
        .size:           4
        .value_kind:     by_value
      - .offset:         52
        .size:           4
        .value_kind:     by_value
      - .offset:         56
        .size:           4
        .value_kind:     by_value
      - .offset:         60
        .size:           4
        .value_kind:     by_value
      - .offset:         64
        .size:           4
        .value_kind:     by_value
      - .offset:         68
        .size:           4
        .value_kind:     by_value
      - .offset:         72
        .size:           4
        .value_kind:     by_value
      - .offset:         76
        .size:           4
        .value_kind:     by_value
      - .offset:         80
        .size:           4
        .value_kind:     by_value
    .group_segment_fixed_size: 0
    .kernarg_segment_align: 8
    .kernarg_segment_size: 84
    .language:       OpenCL C
    .language_version:
      - 2
      - 0
    .max_flat_workgroup_size: 256
    .name:           _ZL17mul_mat_vec_q_moeIL9ggml_type2ELi2EEvPKvS2_PKiPfj15HIP_vector_typeIjLj3EEjjjjjjjjj
    .private_segment_fixed_size: 0
    .sgpr_count:     30
    .sgpr_spill_count: 0
    .symbol:         _ZL17mul_mat_vec_q_moeIL9ggml_type2ELi2EEvPKvS2_PKiPfj15HIP_vector_typeIjLj3EEjjjjjjjjj.kd
    .uniform_work_group_size: 1
    .uses_dynamic_stack: false
    .vgpr_count:     27
    .vgpr_spill_count: 0
    .wavefront_size: 32
    .workgroup_processor_mode: 1
  - .args:
      - .address_space:  global
        .offset:         0
        .size:           8
        .value_kind:     global_buffer
      - .address_space:  global
        .offset:         8
        .size:           8
        .value_kind:     global_buffer
      - .address_space:  global
        .offset:         16
        .size:           8
        .value_kind:     global_buffer
      - .offset:         24
        .size:           32
        .value_kind:     by_value
      - .address_space:  global
        .offset:         56
        .size:           8
        .value_kind:     global_buffer
      - .offset:         64
        .size:           4
        .value_kind:     by_value
      - .offset:         68
        .size:           12
        .value_kind:     by_value
      - .offset:         80
        .size:           4
        .value_kind:     by_value
      - .offset:         84
        .size:           4
        .value_kind:     by_value
      - .offset:         88
        .size:           4
        .value_kind:     by_value
      - .offset:         92
        .size:           12
        .value_kind:     by_value
      - .offset:         104
        .size:           4
        .value_kind:     by_value
      - .offset:         108
        .size:           4
        .value_kind:     by_value
      - .offset:         112
        .size:           4
        .value_kind:     by_value
      - .offset:         116
        .size:           12
        .value_kind:     by_value
      - .offset:         128
        .size:           4
        .value_kind:     by_value
      - .offset:         132
        .size:           4
        .value_kind:     by_value
      - .offset:         136
        .size:           4
        .value_kind:     by_value
      - .offset:         140
        .size:           4
        .value_kind:     by_value
    .group_segment_fixed_size: 0
    .kernarg_segment_align: 8
    .kernarg_segment_size: 144
    .language:       OpenCL C
    .language_version:
      - 2
      - 0
    .max_flat_workgroup_size: 32
    .name:           _ZL13mul_mat_vec_qIL9ggml_type2ELi1ELb1ELb1EEvPKvS2_PKi31ggml_cuda_mm_fusion_args_devicePfj15HIP_vector_typeIjLj3EEjjjS8_jjjS8_jjjj
    .private_segment_fixed_size: 0
    .sgpr_count:     42
    .sgpr_spill_count: 0
    .symbol:         _ZL13mul_mat_vec_qIL9ggml_type2ELi1ELb1ELb1EEvPKvS2_PKi31ggml_cuda_mm_fusion_args_devicePfj15HIP_vector_typeIjLj3EEjjjS8_jjjS8_jjjj.kd
    .uniform_work_group_size: 1
    .uses_dynamic_stack: false
    .vgpr_count:     26
    .vgpr_spill_count: 0
    .wavefront_size: 32
    .workgroup_processor_mode: 1
  - .args:
      - .address_space:  global
        .offset:         0
        .size:           8
        .value_kind:     global_buffer
      - .address_space:  global
        .offset:         8
        .size:           8
        .value_kind:     global_buffer
      - .address_space:  global
        .offset:         16
        .size:           8
        .value_kind:     global_buffer
      - .offset:         24
        .size:           32
        .value_kind:     by_value
      - .address_space:  global
        .offset:         56
        .size:           8
        .value_kind:     global_buffer
      - .offset:         64
        .size:           4
        .value_kind:     by_value
      - .offset:         68
        .size:           12
        .value_kind:     by_value
      - .offset:         80
        .size:           4
        .value_kind:     by_value
      - .offset:         84
        .size:           4
        .value_kind:     by_value
      - .offset:         88
        .size:           4
        .value_kind:     by_value
      - .offset:         92
        .size:           12
        .value_kind:     by_value
      - .offset:         104
        .size:           4
        .value_kind:     by_value
      - .offset:         108
        .size:           4
        .value_kind:     by_value
      - .offset:         112
        .size:           4
        .value_kind:     by_value
      - .offset:         116
        .size:           12
        .value_kind:     by_value
      - .offset:         128
        .size:           4
        .value_kind:     by_value
      - .offset:         132
        .size:           4
        .value_kind:     by_value
      - .offset:         136
        .size:           4
        .value_kind:     by_value
      - .offset:         140
        .size:           4
        .value_kind:     by_value
    .group_segment_fixed_size: 0
    .kernarg_segment_align: 8
    .kernarg_segment_size: 144
    .language:       OpenCL C
    .language_version:
      - 2
      - 0
    .max_flat_workgroup_size: 32
    .name:           _ZL13mul_mat_vec_qIL9ggml_type2ELi1ELb0ELb1EEvPKvS2_PKi31ggml_cuda_mm_fusion_args_devicePfj15HIP_vector_typeIjLj3EEjjjS8_jjjS8_jjjj
    .private_segment_fixed_size: 0
    .sgpr_count:     25
    .sgpr_spill_count: 0
    .symbol:         _ZL13mul_mat_vec_qIL9ggml_type2ELi1ELb0ELb1EEvPKvS2_PKi31ggml_cuda_mm_fusion_args_devicePfj15HIP_vector_typeIjLj3EEjjjS8_jjjS8_jjjj.kd
    .uniform_work_group_size: 1
    .uses_dynamic_stack: false
    .vgpr_count:     18
    .vgpr_spill_count: 0
    .wavefront_size: 32
    .workgroup_processor_mode: 1
  - .args:
      - .address_space:  global
        .offset:         0
        .size:           8
        .value_kind:     global_buffer
      - .address_space:  global
        .offset:         8
        .size:           8
        .value_kind:     global_buffer
      - .address_space:  global
        .offset:         16
        .size:           8
        .value_kind:     global_buffer
      - .offset:         24
        .size:           32
        .value_kind:     by_value
      - .address_space:  global
        .offset:         56
        .size:           8
        .value_kind:     global_buffer
      - .offset:         64
        .size:           4
        .value_kind:     by_value
      - .offset:         68
        .size:           12
        .value_kind:     by_value
      - .offset:         80
        .size:           4
        .value_kind:     by_value
      - .offset:         84
        .size:           4
        .value_kind:     by_value
      - .offset:         88
        .size:           4
        .value_kind:     by_value
      - .offset:         92
        .size:           12
        .value_kind:     by_value
      - .offset:         104
        .size:           4
        .value_kind:     by_value
      - .offset:         108
        .size:           4
        .value_kind:     by_value
      - .offset:         112
        .size:           4
        .value_kind:     by_value
      - .offset:         116
        .size:           12
        .value_kind:     by_value
      - .offset:         128
        .size:           4
        .value_kind:     by_value
      - .offset:         132
        .size:           4
        .value_kind:     by_value
      - .offset:         136
        .size:           4
        .value_kind:     by_value
      - .offset:         140
        .size:           4
        .value_kind:     by_value
    .group_segment_fixed_size: 0
    .kernarg_segment_align: 8
    .kernarg_segment_size: 144
    .language:       OpenCL C
    .language_version:
      - 2
      - 0
    .max_flat_workgroup_size: 32
    .name:           _ZL13mul_mat_vec_qIL9ggml_type2ELi1ELb1ELb0EEvPKvS2_PKi31ggml_cuda_mm_fusion_args_devicePfj15HIP_vector_typeIjLj3EEjjjS8_jjjS8_jjjj
    .private_segment_fixed_size: 0
    .sgpr_count:     42
    .sgpr_spill_count: 0
    .symbol:         _ZL13mul_mat_vec_qIL9ggml_type2ELi1ELb1ELb0EEvPKvS2_PKi31ggml_cuda_mm_fusion_args_devicePfj15HIP_vector_typeIjLj3EEjjjS8_jjjS8_jjjj.kd
    .uniform_work_group_size: 1
    .uses_dynamic_stack: false
    .vgpr_count:     26
    .vgpr_spill_count: 0
    .wavefront_size: 32
    .workgroup_processor_mode: 1
  - .args:
      - .address_space:  global
        .offset:         0
        .size:           8
        .value_kind:     global_buffer
      - .address_space:  global
        .offset:         8
        .size:           8
        .value_kind:     global_buffer
      - .address_space:  global
        .offset:         16
        .size:           8
        .value_kind:     global_buffer
      - .offset:         24
        .size:           32
        .value_kind:     by_value
      - .address_space:  global
        .offset:         56
        .size:           8
        .value_kind:     global_buffer
      - .offset:         64
        .size:           4
        .value_kind:     by_value
      - .offset:         68
        .size:           12
        .value_kind:     by_value
      - .offset:         80
        .size:           4
        .value_kind:     by_value
      - .offset:         84
        .size:           4
        .value_kind:     by_value
      - .offset:         88
        .size:           4
        .value_kind:     by_value
      - .offset:         92
        .size:           12
        .value_kind:     by_value
      - .offset:         104
        .size:           4
        .value_kind:     by_value
      - .offset:         108
        .size:           4
        .value_kind:     by_value
      - .offset:         112
        .size:           4
        .value_kind:     by_value
      - .offset:         116
        .size:           12
        .value_kind:     by_value
      - .offset:         128
        .size:           4
        .value_kind:     by_value
      - .offset:         132
        .size:           4
        .value_kind:     by_value
      - .offset:         136
        .size:           4
        .value_kind:     by_value
      - .offset:         140
        .size:           4
        .value_kind:     by_value
    .group_segment_fixed_size: 0
    .kernarg_segment_align: 8
    .kernarg_segment_size: 144
    .language:       OpenCL C
    .language_version:
      - 2
      - 0
    .max_flat_workgroup_size: 32
    .name:           _ZL13mul_mat_vec_qIL9ggml_type2ELi1ELb0ELb0EEvPKvS2_PKi31ggml_cuda_mm_fusion_args_devicePfj15HIP_vector_typeIjLj3EEjjjS8_jjjS8_jjjj
    .private_segment_fixed_size: 0
    .sgpr_count:     25
    .sgpr_spill_count: 0
    .symbol:         _ZL13mul_mat_vec_qIL9ggml_type2ELi1ELb0ELb0EEvPKvS2_PKi31ggml_cuda_mm_fusion_args_devicePfj15HIP_vector_typeIjLj3EEjjjS8_jjjS8_jjjj.kd
    .uniform_work_group_size: 1
    .uses_dynamic_stack: false
    .vgpr_count:     18
    .vgpr_spill_count: 0
    .wavefront_size: 32
    .workgroup_processor_mode: 1
  - .args:
      - .address_space:  global
        .offset:         0
        .size:           8
        .value_kind:     global_buffer
      - .address_space:  global
        .offset:         8
        .size:           8
        .value_kind:     global_buffer
      - .address_space:  global
        .offset:         16
        .size:           8
        .value_kind:     global_buffer
      - .offset:         24
        .size:           32
        .value_kind:     by_value
      - .address_space:  global
        .offset:         56
        .size:           8
        .value_kind:     global_buffer
      - .offset:         64
        .size:           4
        .value_kind:     by_value
      - .offset:         68
        .size:           12
        .value_kind:     by_value
      - .offset:         80
        .size:           4
        .value_kind:     by_value
      - .offset:         84
        .size:           4
        .value_kind:     by_value
      - .offset:         88
        .size:           4
        .value_kind:     by_value
      - .offset:         92
        .size:           12
        .value_kind:     by_value
      - .offset:         104
        .size:           4
        .value_kind:     by_value
      - .offset:         108
        .size:           4
        .value_kind:     by_value
      - .offset:         112
        .size:           4
        .value_kind:     by_value
      - .offset:         116
        .size:           12
        .value_kind:     by_value
      - .offset:         128
        .size:           4
        .value_kind:     by_value
      - .offset:         132
        .size:           4
        .value_kind:     by_value
      - .offset:         136
        .size:           4
        .value_kind:     by_value
      - .offset:         140
        .size:           4
        .value_kind:     by_value
    .group_segment_fixed_size: 0
    .kernarg_segment_align: 8
    .kernarg_segment_size: 144
    .language:       OpenCL C
    .language_version:
      - 2
      - 0
    .max_flat_workgroup_size: 32
    .name:           _ZL13mul_mat_vec_qIL9ggml_type2ELi2ELb0ELb0EEvPKvS2_PKi31ggml_cuda_mm_fusion_args_devicePfj15HIP_vector_typeIjLj3EEjjjS8_jjjS8_jjjj
    .private_segment_fixed_size: 0
    .sgpr_count:     28
    .sgpr_spill_count: 0
    .symbol:         _ZL13mul_mat_vec_qIL9ggml_type2ELi2ELb0ELb0EEvPKvS2_PKi31ggml_cuda_mm_fusion_args_devicePfj15HIP_vector_typeIjLj3EEjjjS8_jjjS8_jjjj.kd
    .uniform_work_group_size: 1
    .uses_dynamic_stack: false
    .vgpr_count:     26
    .vgpr_spill_count: 0
    .wavefront_size: 32
    .workgroup_processor_mode: 1
  - .args:
      - .address_space:  global
        .offset:         0
        .size:           8
        .value_kind:     global_buffer
      - .address_space:  global
        .offset:         8
        .size:           8
        .value_kind:     global_buffer
      - .address_space:  global
        .offset:         16
        .size:           8
        .value_kind:     global_buffer
      - .offset:         24
        .size:           32
        .value_kind:     by_value
      - .address_space:  global
        .offset:         56
        .size:           8
        .value_kind:     global_buffer
      - .offset:         64
        .size:           4
        .value_kind:     by_value
      - .offset:         68
        .size:           12
        .value_kind:     by_value
      - .offset:         80
        .size:           4
        .value_kind:     by_value
      - .offset:         84
        .size:           4
        .value_kind:     by_value
      - .offset:         88
        .size:           4
        .value_kind:     by_value
      - .offset:         92
        .size:           12
        .value_kind:     by_value
      - .offset:         104
        .size:           4
        .value_kind:     by_value
      - .offset:         108
        .size:           4
        .value_kind:     by_value
      - .offset:         112
        .size:           4
        .value_kind:     by_value
      - .offset:         116
        .size:           12
        .value_kind:     by_value
      - .offset:         128
        .size:           4
        .value_kind:     by_value
      - .offset:         132
        .size:           4
        .value_kind:     by_value
      - .offset:         136
        .size:           4
        .value_kind:     by_value
      - .offset:         140
        .size:           4
        .value_kind:     by_value
    .group_segment_fixed_size: 0
    .kernarg_segment_align: 8
    .kernarg_segment_size: 144
    .language:       OpenCL C
    .language_version:
      - 2
      - 0
    .max_flat_workgroup_size: 32
    .name:           _ZL13mul_mat_vec_qIL9ggml_type2ELi3ELb0ELb0EEvPKvS2_PKi31ggml_cuda_mm_fusion_args_devicePfj15HIP_vector_typeIjLj3EEjjjS8_jjjS8_jjjj
    .private_segment_fixed_size: 0
    .sgpr_count:     28
    .sgpr_spill_count: 0
    .symbol:         _ZL13mul_mat_vec_qIL9ggml_type2ELi3ELb0ELb0EEvPKvS2_PKi31ggml_cuda_mm_fusion_args_devicePfj15HIP_vector_typeIjLj3EEjjjS8_jjjS8_jjjj.kd
    .uniform_work_group_size: 1
    .uses_dynamic_stack: false
    .vgpr_count:     36
    .vgpr_spill_count: 0
    .wavefront_size: 32
    .workgroup_processor_mode: 1
  - .args:
      - .address_space:  global
        .offset:         0
        .size:           8
        .value_kind:     global_buffer
      - .address_space:  global
        .offset:         8
        .size:           8
        .value_kind:     global_buffer
      - .address_space:  global
        .offset:         16
        .size:           8
        .value_kind:     global_buffer
      - .offset:         24
        .size:           32
        .value_kind:     by_value
      - .address_space:  global
        .offset:         56
        .size:           8
        .value_kind:     global_buffer
      - .offset:         64
        .size:           4
        .value_kind:     by_value
      - .offset:         68
        .size:           12
        .value_kind:     by_value
      - .offset:         80
        .size:           4
        .value_kind:     by_value
      - .offset:         84
        .size:           4
        .value_kind:     by_value
      - .offset:         88
        .size:           4
        .value_kind:     by_value
      - .offset:         92
        .size:           12
        .value_kind:     by_value
      - .offset:         104
        .size:           4
        .value_kind:     by_value
      - .offset:         108
        .size:           4
        .value_kind:     by_value
      - .offset:         112
        .size:           4
        .value_kind:     by_value
      - .offset:         116
        .size:           12
        .value_kind:     by_value
      - .offset:         128
        .size:           4
        .value_kind:     by_value
      - .offset:         132
        .size:           4
        .value_kind:     by_value
      - .offset:         136
        .size:           4
        .value_kind:     by_value
      - .offset:         140
        .size:           4
        .value_kind:     by_value
    .group_segment_fixed_size: 0
    .kernarg_segment_align: 8
    .kernarg_segment_size: 144
    .language:       OpenCL C
    .language_version:
      - 2
      - 0
    .max_flat_workgroup_size: 32
    .name:           _ZL13mul_mat_vec_qIL9ggml_type2ELi4ELb0ELb0EEvPKvS2_PKi31ggml_cuda_mm_fusion_args_devicePfj15HIP_vector_typeIjLj3EEjjjS8_jjjS8_jjjj
    .private_segment_fixed_size: 0
    .sgpr_count:     28
    .sgpr_spill_count: 0
    .symbol:         _ZL13mul_mat_vec_qIL9ggml_type2ELi4ELb0ELb0EEvPKvS2_PKi31ggml_cuda_mm_fusion_args_devicePfj15HIP_vector_typeIjLj3EEjjjS8_jjjS8_jjjj.kd
    .uniform_work_group_size: 1
    .uses_dynamic_stack: false
    .vgpr_count:     45
    .vgpr_spill_count: 0
    .wavefront_size: 32
    .workgroup_processor_mode: 1
  - .args:
      - .address_space:  global
        .offset:         0
        .size:           8
        .value_kind:     global_buffer
      - .address_space:  global
        .offset:         8
        .size:           8
        .value_kind:     global_buffer
      - .address_space:  global
        .offset:         16
        .size:           8
        .value_kind:     global_buffer
      - .offset:         24
        .size:           32
        .value_kind:     by_value
      - .address_space:  global
        .offset:         56
        .size:           8
        .value_kind:     global_buffer
      - .offset:         64
        .size:           4
        .value_kind:     by_value
      - .offset:         68
        .size:           12
        .value_kind:     by_value
      - .offset:         80
        .size:           4
        .value_kind:     by_value
      - .offset:         84
        .size:           4
        .value_kind:     by_value
      - .offset:         88
        .size:           4
        .value_kind:     by_value
      - .offset:         92
        .size:           12
        .value_kind:     by_value
      - .offset:         104
        .size:           4
        .value_kind:     by_value
      - .offset:         108
        .size:           4
        .value_kind:     by_value
      - .offset:         112
        .size:           4
        .value_kind:     by_value
      - .offset:         116
        .size:           12
        .value_kind:     by_value
      - .offset:         128
        .size:           4
        .value_kind:     by_value
      - .offset:         132
        .size:           4
        .value_kind:     by_value
      - .offset:         136
        .size:           4
        .value_kind:     by_value
      - .offset:         140
        .size:           4
        .value_kind:     by_value
    .group_segment_fixed_size: 0
    .kernarg_segment_align: 8
    .kernarg_segment_size: 144
    .language:       OpenCL C
    .language_version:
      - 2
      - 0
    .max_flat_workgroup_size: 32
    .name:           _ZL13mul_mat_vec_qIL9ggml_type2ELi5ELb0ELb0EEvPKvS2_PKi31ggml_cuda_mm_fusion_args_devicePfj15HIP_vector_typeIjLj3EEjjjS8_jjjS8_jjjj
    .private_segment_fixed_size: 0
    .sgpr_count:     28
    .sgpr_spill_count: 0
    .symbol:         _ZL13mul_mat_vec_qIL9ggml_type2ELi5ELb0ELb0EEvPKvS2_PKi31ggml_cuda_mm_fusion_args_devicePfj15HIP_vector_typeIjLj3EEjjjS8_jjjS8_jjjj.kd
    .uniform_work_group_size: 1
    .uses_dynamic_stack: false
    .vgpr_count:     53
    .vgpr_spill_count: 0
    .wavefront_size: 32
    .workgroup_processor_mode: 1
  - .args:
      - .address_space:  global
        .offset:         0
        .size:           8
        .value_kind:     global_buffer
      - .address_space:  global
        .offset:         8
        .size:           8
        .value_kind:     global_buffer
      - .address_space:  global
        .offset:         16
        .size:           8
        .value_kind:     global_buffer
      - .offset:         24
        .size:           32
        .value_kind:     by_value
      - .address_space:  global
        .offset:         56
        .size:           8
        .value_kind:     global_buffer
      - .offset:         64
        .size:           4
        .value_kind:     by_value
      - .offset:         68
        .size:           12
        .value_kind:     by_value
      - .offset:         80
        .size:           4
        .value_kind:     by_value
      - .offset:         84
        .size:           4
        .value_kind:     by_value
      - .offset:         88
        .size:           4
        .value_kind:     by_value
      - .offset:         92
        .size:           12
        .value_kind:     by_value
      - .offset:         104
        .size:           4
        .value_kind:     by_value
      - .offset:         108
        .size:           4
        .value_kind:     by_value
      - .offset:         112
        .size:           4
        .value_kind:     by_value
      - .offset:         116
        .size:           12
        .value_kind:     by_value
      - .offset:         128
        .size:           4
        .value_kind:     by_value
      - .offset:         132
        .size:           4
        .value_kind:     by_value
      - .offset:         136
        .size:           4
        .value_kind:     by_value
      - .offset:         140
        .size:           4
        .value_kind:     by_value
    .group_segment_fixed_size: 0
    .kernarg_segment_align: 8
    .kernarg_segment_size: 144
    .language:       OpenCL C
    .language_version:
      - 2
      - 0
    .max_flat_workgroup_size: 32
    .name:           _ZL13mul_mat_vec_qIL9ggml_type2ELi6ELb0ELb0EEvPKvS2_PKi31ggml_cuda_mm_fusion_args_devicePfj15HIP_vector_typeIjLj3EEjjjS8_jjjS8_jjjj
    .private_segment_fixed_size: 0
    .sgpr_count:     28
    .sgpr_spill_count: 0
    .symbol:         _ZL13mul_mat_vec_qIL9ggml_type2ELi6ELb0ELb0EEvPKvS2_PKi31ggml_cuda_mm_fusion_args_devicePfj15HIP_vector_typeIjLj3EEjjjS8_jjjS8_jjjj.kd
    .uniform_work_group_size: 1
    .uses_dynamic_stack: false
    .vgpr_count:     61
    .vgpr_spill_count: 0
    .wavefront_size: 32
    .workgroup_processor_mode: 1
  - .args:
      - .address_space:  global
        .offset:         0
        .size:           8
        .value_kind:     global_buffer
      - .address_space:  global
        .offset:         8
        .size:           8
        .value_kind:     global_buffer
      - .address_space:  global
        .offset:         16
        .size:           8
        .value_kind:     global_buffer
      - .offset:         24
        .size:           32
        .value_kind:     by_value
      - .address_space:  global
        .offset:         56
        .size:           8
        .value_kind:     global_buffer
      - .offset:         64
        .size:           4
        .value_kind:     by_value
      - .offset:         68
        .size:           12
        .value_kind:     by_value
      - .offset:         80
        .size:           4
        .value_kind:     by_value
      - .offset:         84
        .size:           4
        .value_kind:     by_value
      - .offset:         88
        .size:           4
        .value_kind:     by_value
      - .offset:         92
        .size:           12
        .value_kind:     by_value
      - .offset:         104
        .size:           4
        .value_kind:     by_value
      - .offset:         108
        .size:           4
        .value_kind:     by_value
      - .offset:         112
        .size:           4
        .value_kind:     by_value
      - .offset:         116
        .size:           12
        .value_kind:     by_value
      - .offset:         128
        .size:           4
        .value_kind:     by_value
      - .offset:         132
        .size:           4
        .value_kind:     by_value
      - .offset:         136
        .size:           4
        .value_kind:     by_value
      - .offset:         140
        .size:           4
        .value_kind:     by_value
    .group_segment_fixed_size: 0
    .kernarg_segment_align: 8
    .kernarg_segment_size: 144
    .language:       OpenCL C
    .language_version:
      - 2
      - 0
    .max_flat_workgroup_size: 32
    .name:           _ZL13mul_mat_vec_qIL9ggml_type2ELi7ELb0ELb0EEvPKvS2_PKi31ggml_cuda_mm_fusion_args_devicePfj15HIP_vector_typeIjLj3EEjjjS8_jjjS8_jjjj
    .private_segment_fixed_size: 0
    .sgpr_count:     28
    .sgpr_spill_count: 0
    .symbol:         _ZL13mul_mat_vec_qIL9ggml_type2ELi7ELb0ELb0EEvPKvS2_PKi31ggml_cuda_mm_fusion_args_devicePfj15HIP_vector_typeIjLj3EEjjjS8_jjjS8_jjjj.kd
    .uniform_work_group_size: 1
    .uses_dynamic_stack: false
    .vgpr_count:     61
    .vgpr_spill_count: 0
    .wavefront_size: 32
    .workgroup_processor_mode: 1
  - .args:
      - .address_space:  global
        .offset:         0
        .size:           8
        .value_kind:     global_buffer
      - .address_space:  global
        .offset:         8
        .size:           8
        .value_kind:     global_buffer
      - .address_space:  global
        .offset:         16
        .size:           8
        .value_kind:     global_buffer
      - .offset:         24
        .size:           32
        .value_kind:     by_value
      - .address_space:  global
        .offset:         56
        .size:           8
        .value_kind:     global_buffer
      - .offset:         64
        .size:           4
        .value_kind:     by_value
      - .offset:         68
        .size:           12
        .value_kind:     by_value
      - .offset:         80
        .size:           4
        .value_kind:     by_value
      - .offset:         84
        .size:           4
        .value_kind:     by_value
      - .offset:         88
        .size:           4
        .value_kind:     by_value
      - .offset:         92
        .size:           12
        .value_kind:     by_value
      - .offset:         104
        .size:           4
        .value_kind:     by_value
      - .offset:         108
        .size:           4
        .value_kind:     by_value
      - .offset:         112
        .size:           4
        .value_kind:     by_value
      - .offset:         116
        .size:           12
        .value_kind:     by_value
      - .offset:         128
        .size:           4
        .value_kind:     by_value
      - .offset:         132
        .size:           4
        .value_kind:     by_value
      - .offset:         136
        .size:           4
        .value_kind:     by_value
      - .offset:         140
        .size:           4
        .value_kind:     by_value
    .group_segment_fixed_size: 0
    .kernarg_segment_align: 8
    .kernarg_segment_size: 144
    .language:       OpenCL C
    .language_version:
      - 2
      - 0
    .max_flat_workgroup_size: 32
    .name:           _ZL13mul_mat_vec_qIL9ggml_type2ELi8ELb0ELb0EEvPKvS2_PKi31ggml_cuda_mm_fusion_args_devicePfj15HIP_vector_typeIjLj3EEjjjS8_jjjS8_jjjj
    .private_segment_fixed_size: 0
    .sgpr_count:     28
    .sgpr_spill_count: 0
    .symbol:         _ZL13mul_mat_vec_qIL9ggml_type2ELi8ELb0ELb0EEvPKvS2_PKi31ggml_cuda_mm_fusion_args_devicePfj15HIP_vector_typeIjLj3EEjjjS8_jjjS8_jjjj.kd
    .uniform_work_group_size: 1
    .uses_dynamic_stack: false
    .vgpr_count:     67
    .vgpr_spill_count: 0
    .wavefront_size: 32
    .workgroup_processor_mode: 1
  - .args:
      - .address_space:  global
        .offset:         0
        .size:           8
        .value_kind:     global_buffer
      - .address_space:  global
        .offset:         8
        .size:           8
        .value_kind:     global_buffer
      - .address_space:  global
        .offset:         16
        .size:           8
        .value_kind:     global_buffer
      - .address_space:  global
        .offset:         24
        .size:           8
        .value_kind:     global_buffer
      - .offset:         32
        .size:           4
        .value_kind:     by_value
      - .offset:         36
        .size:           12
        .value_kind:     by_value
      - .offset:         48
        .size:           4
        .value_kind:     by_value
      - .offset:         52
        .size:           4
        .value_kind:     by_value
      - .offset:         56
        .size:           4
        .value_kind:     by_value
      - .offset:         60
        .size:           4
        .value_kind:     by_value
      - .offset:         64
        .size:           4
        .value_kind:     by_value
      - .offset:         68
        .size:           4
        .value_kind:     by_value
      - .offset:         72
        .size:           4
        .value_kind:     by_value
      - .offset:         76
        .size:           4
        .value_kind:     by_value
      - .offset:         80
        .size:           4
        .value_kind:     by_value
    .group_segment_fixed_size: 0
    .kernarg_segment_align: 8
    .kernarg_segment_size: 84
    .language:       OpenCL C
    .language_version:
      - 2
      - 0
    .max_flat_workgroup_size: 256
    .name:           _ZL17mul_mat_vec_q_moeIL9ggml_type3ELi2EEvPKvS2_PKiPfj15HIP_vector_typeIjLj3EEjjjjjjjjj
    .private_segment_fixed_size: 0
    .sgpr_count:     30
    .sgpr_spill_count: 0
    .symbol:         _ZL17mul_mat_vec_q_moeIL9ggml_type3ELi2EEvPKvS2_PKiPfj15HIP_vector_typeIjLj3EEjjjjjjjjj.kd
    .uniform_work_group_size: 1
    .uses_dynamic_stack: false
    .vgpr_count:     27
    .vgpr_spill_count: 0
    .wavefront_size: 32
    .workgroup_processor_mode: 1
  - .args:
      - .address_space:  global
        .offset:         0
        .size:           8
        .value_kind:     global_buffer
      - .address_space:  global
        .offset:         8
        .size:           8
        .value_kind:     global_buffer
      - .address_space:  global
        .offset:         16
        .size:           8
        .value_kind:     global_buffer
      - .offset:         24
        .size:           32
        .value_kind:     by_value
      - .address_space:  global
        .offset:         56
        .size:           8
        .value_kind:     global_buffer
      - .offset:         64
        .size:           4
        .value_kind:     by_value
      - .offset:         68
        .size:           12
        .value_kind:     by_value
      - .offset:         80
        .size:           4
        .value_kind:     by_value
      - .offset:         84
        .size:           4
        .value_kind:     by_value
      - .offset:         88
        .size:           4
        .value_kind:     by_value
      - .offset:         92
        .size:           12
        .value_kind:     by_value
      - .offset:         104
        .size:           4
        .value_kind:     by_value
      - .offset:         108
        .size:           4
        .value_kind:     by_value
      - .offset:         112
        .size:           4
        .value_kind:     by_value
      - .offset:         116
        .size:           12
        .value_kind:     by_value
      - .offset:         128
        .size:           4
        .value_kind:     by_value
      - .offset:         132
        .size:           4
        .value_kind:     by_value
      - .offset:         136
        .size:           4
        .value_kind:     by_value
      - .offset:         140
        .size:           4
        .value_kind:     by_value
    .group_segment_fixed_size: 0
    .kernarg_segment_align: 8
    .kernarg_segment_size: 144
    .language:       OpenCL C
    .language_version:
      - 2
      - 0
    .max_flat_workgroup_size: 32
    .name:           _ZL13mul_mat_vec_qIL9ggml_type3ELi1ELb1ELb1EEvPKvS2_PKi31ggml_cuda_mm_fusion_args_devicePfj15HIP_vector_typeIjLj3EEjjjS8_jjjS8_jjjj
    .private_segment_fixed_size: 0
    .sgpr_count:     42
    .sgpr_spill_count: 0
    .symbol:         _ZL13mul_mat_vec_qIL9ggml_type3ELi1ELb1ELb1EEvPKvS2_PKi31ggml_cuda_mm_fusion_args_devicePfj15HIP_vector_typeIjLj3EEjjjS8_jjjS8_jjjj.kd
    .uniform_work_group_size: 1
    .uses_dynamic_stack: false
    .vgpr_count:     25
    .vgpr_spill_count: 0
    .wavefront_size: 32
    .workgroup_processor_mode: 1
  - .args:
      - .address_space:  global
        .offset:         0
        .size:           8
        .value_kind:     global_buffer
      - .address_space:  global
        .offset:         8
        .size:           8
        .value_kind:     global_buffer
      - .address_space:  global
        .offset:         16
        .size:           8
        .value_kind:     global_buffer
      - .offset:         24
        .size:           32
        .value_kind:     by_value
      - .address_space:  global
        .offset:         56
        .size:           8
        .value_kind:     global_buffer
      - .offset:         64
        .size:           4
        .value_kind:     by_value
      - .offset:         68
        .size:           12
        .value_kind:     by_value
      - .offset:         80
        .size:           4
        .value_kind:     by_value
      - .offset:         84
        .size:           4
        .value_kind:     by_value
      - .offset:         88
        .size:           4
        .value_kind:     by_value
      - .offset:         92
        .size:           12
        .value_kind:     by_value
      - .offset:         104
        .size:           4
        .value_kind:     by_value
      - .offset:         108
        .size:           4
        .value_kind:     by_value
      - .offset:         112
        .size:           4
        .value_kind:     by_value
      - .offset:         116
        .size:           12
        .value_kind:     by_value
      - .offset:         128
        .size:           4
        .value_kind:     by_value
      - .offset:         132
        .size:           4
        .value_kind:     by_value
      - .offset:         136
        .size:           4
        .value_kind:     by_value
      - .offset:         140
        .size:           4
        .value_kind:     by_value
    .group_segment_fixed_size: 0
    .kernarg_segment_align: 8
    .kernarg_segment_size: 144
    .language:       OpenCL C
    .language_version:
      - 2
      - 0
    .max_flat_workgroup_size: 32
    .name:           _ZL13mul_mat_vec_qIL9ggml_type3ELi1ELb0ELb1EEvPKvS2_PKi31ggml_cuda_mm_fusion_args_devicePfj15HIP_vector_typeIjLj3EEjjjS8_jjjS8_jjjj
    .private_segment_fixed_size: 0
    .sgpr_count:     25
    .sgpr_spill_count: 0
    .symbol:         _ZL13mul_mat_vec_qIL9ggml_type3ELi1ELb0ELb1EEvPKvS2_PKi31ggml_cuda_mm_fusion_args_devicePfj15HIP_vector_typeIjLj3EEjjjS8_jjjS8_jjjj.kd
    .uniform_work_group_size: 1
    .uses_dynamic_stack: false
    .vgpr_count:     18
    .vgpr_spill_count: 0
    .wavefront_size: 32
    .workgroup_processor_mode: 1
  - .args:
      - .address_space:  global
        .offset:         0
        .size:           8
        .value_kind:     global_buffer
      - .address_space:  global
        .offset:         8
        .size:           8
        .value_kind:     global_buffer
      - .address_space:  global
        .offset:         16
        .size:           8
        .value_kind:     global_buffer
      - .offset:         24
        .size:           32
        .value_kind:     by_value
      - .address_space:  global
        .offset:         56
        .size:           8
        .value_kind:     global_buffer
      - .offset:         64
        .size:           4
        .value_kind:     by_value
      - .offset:         68
        .size:           12
        .value_kind:     by_value
      - .offset:         80
        .size:           4
        .value_kind:     by_value
      - .offset:         84
        .size:           4
        .value_kind:     by_value
      - .offset:         88
        .size:           4
        .value_kind:     by_value
      - .offset:         92
        .size:           12
        .value_kind:     by_value
      - .offset:         104
        .size:           4
        .value_kind:     by_value
      - .offset:         108
        .size:           4
        .value_kind:     by_value
      - .offset:         112
        .size:           4
        .value_kind:     by_value
      - .offset:         116
        .size:           12
        .value_kind:     by_value
      - .offset:         128
        .size:           4
        .value_kind:     by_value
      - .offset:         132
        .size:           4
        .value_kind:     by_value
      - .offset:         136
        .size:           4
        .value_kind:     by_value
      - .offset:         140
        .size:           4
        .value_kind:     by_value
    .group_segment_fixed_size: 0
    .kernarg_segment_align: 8
    .kernarg_segment_size: 144
    .language:       OpenCL C
    .language_version:
      - 2
      - 0
    .max_flat_workgroup_size: 32
    .name:           _ZL13mul_mat_vec_qIL9ggml_type3ELi1ELb1ELb0EEvPKvS2_PKi31ggml_cuda_mm_fusion_args_devicePfj15HIP_vector_typeIjLj3EEjjjS8_jjjS8_jjjj
    .private_segment_fixed_size: 0
    .sgpr_count:     42
    .sgpr_spill_count: 0
    .symbol:         _ZL13mul_mat_vec_qIL9ggml_type3ELi1ELb1ELb0EEvPKvS2_PKi31ggml_cuda_mm_fusion_args_devicePfj15HIP_vector_typeIjLj3EEjjjS8_jjjS8_jjjj.kd
    .uniform_work_group_size: 1
    .uses_dynamic_stack: false
    .vgpr_count:     25
    .vgpr_spill_count: 0
    .wavefront_size: 32
    .workgroup_processor_mode: 1
  - .args:
      - .address_space:  global
        .offset:         0
        .size:           8
        .value_kind:     global_buffer
      - .address_space:  global
        .offset:         8
        .size:           8
        .value_kind:     global_buffer
      - .address_space:  global
        .offset:         16
        .size:           8
        .value_kind:     global_buffer
      - .offset:         24
        .size:           32
        .value_kind:     by_value
      - .address_space:  global
        .offset:         56
        .size:           8
        .value_kind:     global_buffer
      - .offset:         64
        .size:           4
        .value_kind:     by_value
      - .offset:         68
        .size:           12
        .value_kind:     by_value
      - .offset:         80
        .size:           4
        .value_kind:     by_value
      - .offset:         84
        .size:           4
        .value_kind:     by_value
      - .offset:         88
        .size:           4
        .value_kind:     by_value
      - .offset:         92
        .size:           12
        .value_kind:     by_value
      - .offset:         104
        .size:           4
        .value_kind:     by_value
      - .offset:         108
        .size:           4
        .value_kind:     by_value
      - .offset:         112
        .size:           4
        .value_kind:     by_value
      - .offset:         116
        .size:           12
        .value_kind:     by_value
      - .offset:         128
        .size:           4
        .value_kind:     by_value
      - .offset:         132
        .size:           4
        .value_kind:     by_value
      - .offset:         136
        .size:           4
        .value_kind:     by_value
      - .offset:         140
        .size:           4
        .value_kind:     by_value
    .group_segment_fixed_size: 0
    .kernarg_segment_align: 8
    .kernarg_segment_size: 144
    .language:       OpenCL C
    .language_version:
      - 2
      - 0
    .max_flat_workgroup_size: 32
    .name:           _ZL13mul_mat_vec_qIL9ggml_type3ELi1ELb0ELb0EEvPKvS2_PKi31ggml_cuda_mm_fusion_args_devicePfj15HIP_vector_typeIjLj3EEjjjS8_jjjS8_jjjj
    .private_segment_fixed_size: 0
    .sgpr_count:     25
    .sgpr_spill_count: 0
    .symbol:         _ZL13mul_mat_vec_qIL9ggml_type3ELi1ELb0ELb0EEvPKvS2_PKi31ggml_cuda_mm_fusion_args_devicePfj15HIP_vector_typeIjLj3EEjjjS8_jjjS8_jjjj.kd
    .uniform_work_group_size: 1
    .uses_dynamic_stack: false
    .vgpr_count:     18
    .vgpr_spill_count: 0
    .wavefront_size: 32
    .workgroup_processor_mode: 1
  - .args:
      - .address_space:  global
        .offset:         0
        .size:           8
        .value_kind:     global_buffer
      - .address_space:  global
        .offset:         8
        .size:           8
        .value_kind:     global_buffer
      - .address_space:  global
        .offset:         16
        .size:           8
        .value_kind:     global_buffer
      - .offset:         24
        .size:           32
        .value_kind:     by_value
      - .address_space:  global
        .offset:         56
        .size:           8
        .value_kind:     global_buffer
      - .offset:         64
        .size:           4
        .value_kind:     by_value
      - .offset:         68
        .size:           12
        .value_kind:     by_value
      - .offset:         80
        .size:           4
        .value_kind:     by_value
      - .offset:         84
        .size:           4
        .value_kind:     by_value
      - .offset:         88
        .size:           4
        .value_kind:     by_value
      - .offset:         92
        .size:           12
        .value_kind:     by_value
      - .offset:         104
        .size:           4
        .value_kind:     by_value
      - .offset:         108
        .size:           4
        .value_kind:     by_value
      - .offset:         112
        .size:           4
        .value_kind:     by_value
      - .offset:         116
        .size:           12
        .value_kind:     by_value
      - .offset:         128
        .size:           4
        .value_kind:     by_value
      - .offset:         132
        .size:           4
        .value_kind:     by_value
      - .offset:         136
        .size:           4
        .value_kind:     by_value
      - .offset:         140
        .size:           4
        .value_kind:     by_value
    .group_segment_fixed_size: 0
    .kernarg_segment_align: 8
    .kernarg_segment_size: 144
    .language:       OpenCL C
    .language_version:
      - 2
      - 0
    .max_flat_workgroup_size: 32
    .name:           _ZL13mul_mat_vec_qIL9ggml_type3ELi2ELb0ELb0EEvPKvS2_PKi31ggml_cuda_mm_fusion_args_devicePfj15HIP_vector_typeIjLj3EEjjjS8_jjjS8_jjjj
    .private_segment_fixed_size: 0
    .sgpr_count:     28
    .sgpr_spill_count: 0
    .symbol:         _ZL13mul_mat_vec_qIL9ggml_type3ELi2ELb0ELb0EEvPKvS2_PKi31ggml_cuda_mm_fusion_args_devicePfj15HIP_vector_typeIjLj3EEjjjS8_jjjS8_jjjj.kd
    .uniform_work_group_size: 1
    .uses_dynamic_stack: false
    .vgpr_count:     25
    .vgpr_spill_count: 0
    .wavefront_size: 32
    .workgroup_processor_mode: 1
  - .args:
      - .address_space:  global
        .offset:         0
        .size:           8
        .value_kind:     global_buffer
      - .address_space:  global
        .offset:         8
        .size:           8
        .value_kind:     global_buffer
      - .address_space:  global
        .offset:         16
        .size:           8
        .value_kind:     global_buffer
      - .offset:         24
        .size:           32
        .value_kind:     by_value
      - .address_space:  global
        .offset:         56
        .size:           8
        .value_kind:     global_buffer
      - .offset:         64
        .size:           4
        .value_kind:     by_value
      - .offset:         68
        .size:           12
        .value_kind:     by_value
      - .offset:         80
        .size:           4
        .value_kind:     by_value
      - .offset:         84
        .size:           4
        .value_kind:     by_value
      - .offset:         88
        .size:           4
        .value_kind:     by_value
      - .offset:         92
        .size:           12
        .value_kind:     by_value
      - .offset:         104
        .size:           4
        .value_kind:     by_value
      - .offset:         108
        .size:           4
        .value_kind:     by_value
      - .offset:         112
        .size:           4
        .value_kind:     by_value
      - .offset:         116
        .size:           12
        .value_kind:     by_value
      - .offset:         128
        .size:           4
        .value_kind:     by_value
      - .offset:         132
        .size:           4
        .value_kind:     by_value
      - .offset:         136
        .size:           4
        .value_kind:     by_value
      - .offset:         140
        .size:           4
        .value_kind:     by_value
    .group_segment_fixed_size: 0
    .kernarg_segment_align: 8
    .kernarg_segment_size: 144
    .language:       OpenCL C
    .language_version:
      - 2
      - 0
    .max_flat_workgroup_size: 32
    .name:           _ZL13mul_mat_vec_qIL9ggml_type3ELi3ELb0ELb0EEvPKvS2_PKi31ggml_cuda_mm_fusion_args_devicePfj15HIP_vector_typeIjLj3EEjjjS8_jjjS8_jjjj
    .private_segment_fixed_size: 0
    .sgpr_count:     28
    .sgpr_spill_count: 0
    .symbol:         _ZL13mul_mat_vec_qIL9ggml_type3ELi3ELb0ELb0EEvPKvS2_PKi31ggml_cuda_mm_fusion_args_devicePfj15HIP_vector_typeIjLj3EEjjjS8_jjjS8_jjjj.kd
    .uniform_work_group_size: 1
    .uses_dynamic_stack: false
    .vgpr_count:     33
    .vgpr_spill_count: 0
    .wavefront_size: 32
    .workgroup_processor_mode: 1
  - .args:
      - .address_space:  global
        .offset:         0
        .size:           8
        .value_kind:     global_buffer
      - .address_space:  global
        .offset:         8
        .size:           8
        .value_kind:     global_buffer
      - .address_space:  global
        .offset:         16
        .size:           8
        .value_kind:     global_buffer
      - .offset:         24
        .size:           32
        .value_kind:     by_value
      - .address_space:  global
        .offset:         56
        .size:           8
        .value_kind:     global_buffer
      - .offset:         64
        .size:           4
        .value_kind:     by_value
      - .offset:         68
        .size:           12
        .value_kind:     by_value
      - .offset:         80
        .size:           4
        .value_kind:     by_value
      - .offset:         84
        .size:           4
        .value_kind:     by_value
      - .offset:         88
        .size:           4
        .value_kind:     by_value
      - .offset:         92
        .size:           12
        .value_kind:     by_value
      - .offset:         104
        .size:           4
        .value_kind:     by_value
      - .offset:         108
        .size:           4
        .value_kind:     by_value
      - .offset:         112
        .size:           4
        .value_kind:     by_value
      - .offset:         116
        .size:           12
        .value_kind:     by_value
      - .offset:         128
        .size:           4
        .value_kind:     by_value
      - .offset:         132
        .size:           4
        .value_kind:     by_value
      - .offset:         136
        .size:           4
        .value_kind:     by_value
      - .offset:         140
        .size:           4
        .value_kind:     by_value
    .group_segment_fixed_size: 0
    .kernarg_segment_align: 8
    .kernarg_segment_size: 144
    .language:       OpenCL C
    .language_version:
      - 2
      - 0
    .max_flat_workgroup_size: 32
    .name:           _ZL13mul_mat_vec_qIL9ggml_type3ELi4ELb0ELb0EEvPKvS2_PKi31ggml_cuda_mm_fusion_args_devicePfj15HIP_vector_typeIjLj3EEjjjS8_jjjS8_jjjj
    .private_segment_fixed_size: 0
    .sgpr_count:     28
    .sgpr_spill_count: 0
    .symbol:         _ZL13mul_mat_vec_qIL9ggml_type3ELi4ELb0ELb0EEvPKvS2_PKi31ggml_cuda_mm_fusion_args_devicePfj15HIP_vector_typeIjLj3EEjjjS8_jjjS8_jjjj.kd
    .uniform_work_group_size: 1
    .uses_dynamic_stack: false
    .vgpr_count:     40
    .vgpr_spill_count: 0
    .wavefront_size: 32
    .workgroup_processor_mode: 1
  - .args:
      - .address_space:  global
        .offset:         0
        .size:           8
        .value_kind:     global_buffer
      - .address_space:  global
        .offset:         8
        .size:           8
        .value_kind:     global_buffer
      - .address_space:  global
        .offset:         16
        .size:           8
        .value_kind:     global_buffer
      - .offset:         24
        .size:           32
        .value_kind:     by_value
      - .address_space:  global
        .offset:         56
        .size:           8
        .value_kind:     global_buffer
      - .offset:         64
        .size:           4
        .value_kind:     by_value
      - .offset:         68
        .size:           12
        .value_kind:     by_value
      - .offset:         80
        .size:           4
        .value_kind:     by_value
      - .offset:         84
        .size:           4
        .value_kind:     by_value
      - .offset:         88
        .size:           4
        .value_kind:     by_value
      - .offset:         92
        .size:           12
        .value_kind:     by_value
      - .offset:         104
        .size:           4
        .value_kind:     by_value
      - .offset:         108
        .size:           4
        .value_kind:     by_value
      - .offset:         112
        .size:           4
        .value_kind:     by_value
      - .offset:         116
        .size:           12
        .value_kind:     by_value
      - .offset:         128
        .size:           4
        .value_kind:     by_value
      - .offset:         132
        .size:           4
        .value_kind:     by_value
      - .offset:         136
        .size:           4
        .value_kind:     by_value
      - .offset:         140
        .size:           4
        .value_kind:     by_value
    .group_segment_fixed_size: 0
    .kernarg_segment_align: 8
    .kernarg_segment_size: 144
    .language:       OpenCL C
    .language_version:
      - 2
      - 0
    .max_flat_workgroup_size: 32
    .name:           _ZL13mul_mat_vec_qIL9ggml_type3ELi5ELb0ELb0EEvPKvS2_PKi31ggml_cuda_mm_fusion_args_devicePfj15HIP_vector_typeIjLj3EEjjjS8_jjjS8_jjjj
    .private_segment_fixed_size: 0
    .sgpr_count:     28
    .sgpr_spill_count: 0
    .symbol:         _ZL13mul_mat_vec_qIL9ggml_type3ELi5ELb0ELb0EEvPKvS2_PKi31ggml_cuda_mm_fusion_args_devicePfj15HIP_vector_typeIjLj3EEjjjS8_jjjS8_jjjj.kd
    .uniform_work_group_size: 1
    .uses_dynamic_stack: false
    .vgpr_count:     47
    .vgpr_spill_count: 0
    .wavefront_size: 32
    .workgroup_processor_mode: 1
  - .args:
      - .address_space:  global
        .offset:         0
        .size:           8
        .value_kind:     global_buffer
      - .address_space:  global
        .offset:         8
        .size:           8
        .value_kind:     global_buffer
      - .address_space:  global
        .offset:         16
        .size:           8
        .value_kind:     global_buffer
      - .offset:         24
        .size:           32
        .value_kind:     by_value
      - .address_space:  global
        .offset:         56
        .size:           8
        .value_kind:     global_buffer
      - .offset:         64
        .size:           4
        .value_kind:     by_value
      - .offset:         68
        .size:           12
        .value_kind:     by_value
      - .offset:         80
        .size:           4
        .value_kind:     by_value
      - .offset:         84
        .size:           4
        .value_kind:     by_value
      - .offset:         88
        .size:           4
        .value_kind:     by_value
      - .offset:         92
        .size:           12
        .value_kind:     by_value
      - .offset:         104
        .size:           4
        .value_kind:     by_value
      - .offset:         108
        .size:           4
        .value_kind:     by_value
      - .offset:         112
        .size:           4
        .value_kind:     by_value
      - .offset:         116
        .size:           12
        .value_kind:     by_value
      - .offset:         128
        .size:           4
        .value_kind:     by_value
      - .offset:         132
        .size:           4
        .value_kind:     by_value
      - .offset:         136
        .size:           4
        .value_kind:     by_value
      - .offset:         140
        .size:           4
        .value_kind:     by_value
    .group_segment_fixed_size: 0
    .kernarg_segment_align: 8
    .kernarg_segment_size: 144
    .language:       OpenCL C
    .language_version:
      - 2
      - 0
    .max_flat_workgroup_size: 32
    .name:           _ZL13mul_mat_vec_qIL9ggml_type3ELi6ELb0ELb0EEvPKvS2_PKi31ggml_cuda_mm_fusion_args_devicePfj15HIP_vector_typeIjLj3EEjjjS8_jjjS8_jjjj
    .private_segment_fixed_size: 0
    .sgpr_count:     29
    .sgpr_spill_count: 0
    .symbol:         _ZL13mul_mat_vec_qIL9ggml_type3ELi6ELb0ELb0EEvPKvS2_PKi31ggml_cuda_mm_fusion_args_devicePfj15HIP_vector_typeIjLj3EEjjjS8_jjjS8_jjjj.kd
    .uniform_work_group_size: 1
    .uses_dynamic_stack: false
    .vgpr_count:     54
    .vgpr_spill_count: 0
    .wavefront_size: 32
    .workgroup_processor_mode: 1
  - .args:
      - .address_space:  global
        .offset:         0
        .size:           8
        .value_kind:     global_buffer
      - .address_space:  global
        .offset:         8
        .size:           8
        .value_kind:     global_buffer
      - .address_space:  global
        .offset:         16
        .size:           8
        .value_kind:     global_buffer
      - .offset:         24
        .size:           32
        .value_kind:     by_value
      - .address_space:  global
        .offset:         56
        .size:           8
        .value_kind:     global_buffer
      - .offset:         64
        .size:           4
        .value_kind:     by_value
      - .offset:         68
        .size:           12
        .value_kind:     by_value
      - .offset:         80
        .size:           4
        .value_kind:     by_value
      - .offset:         84
        .size:           4
        .value_kind:     by_value
      - .offset:         88
        .size:           4
        .value_kind:     by_value
      - .offset:         92
        .size:           12
        .value_kind:     by_value
      - .offset:         104
        .size:           4
        .value_kind:     by_value
      - .offset:         108
        .size:           4
        .value_kind:     by_value
      - .offset:         112
        .size:           4
        .value_kind:     by_value
      - .offset:         116
        .size:           12
        .value_kind:     by_value
      - .offset:         128
        .size:           4
        .value_kind:     by_value
      - .offset:         132
        .size:           4
        .value_kind:     by_value
      - .offset:         136
        .size:           4
        .value_kind:     by_value
      - .offset:         140
        .size:           4
        .value_kind:     by_value
    .group_segment_fixed_size: 0
    .kernarg_segment_align: 8
    .kernarg_segment_size: 144
    .language:       OpenCL C
    .language_version:
      - 2
      - 0
    .max_flat_workgroup_size: 32
    .name:           _ZL13mul_mat_vec_qIL9ggml_type3ELi7ELb0ELb0EEvPKvS2_PKi31ggml_cuda_mm_fusion_args_devicePfj15HIP_vector_typeIjLj3EEjjjS8_jjjS8_jjjj
    .private_segment_fixed_size: 0
    .sgpr_count:     29
    .sgpr_spill_count: 0
    .symbol:         _ZL13mul_mat_vec_qIL9ggml_type3ELi7ELb0ELb0EEvPKvS2_PKi31ggml_cuda_mm_fusion_args_devicePfj15HIP_vector_typeIjLj3EEjjjS8_jjjS8_jjjj.kd
    .uniform_work_group_size: 1
    .uses_dynamic_stack: false
    .vgpr_count:     61
    .vgpr_spill_count: 0
    .wavefront_size: 32
    .workgroup_processor_mode: 1
  - .args:
      - .address_space:  global
        .offset:         0
        .size:           8
        .value_kind:     global_buffer
      - .address_space:  global
        .offset:         8
        .size:           8
        .value_kind:     global_buffer
      - .address_space:  global
        .offset:         16
        .size:           8
        .value_kind:     global_buffer
      - .offset:         24
        .size:           32
        .value_kind:     by_value
      - .address_space:  global
        .offset:         56
        .size:           8
        .value_kind:     global_buffer
      - .offset:         64
        .size:           4
        .value_kind:     by_value
      - .offset:         68
        .size:           12
        .value_kind:     by_value
      - .offset:         80
        .size:           4
        .value_kind:     by_value
      - .offset:         84
        .size:           4
        .value_kind:     by_value
      - .offset:         88
        .size:           4
        .value_kind:     by_value
      - .offset:         92
        .size:           12
        .value_kind:     by_value
      - .offset:         104
        .size:           4
        .value_kind:     by_value
      - .offset:         108
        .size:           4
        .value_kind:     by_value
      - .offset:         112
        .size:           4
        .value_kind:     by_value
      - .offset:         116
        .size:           12
        .value_kind:     by_value
      - .offset:         128
        .size:           4
        .value_kind:     by_value
      - .offset:         132
        .size:           4
        .value_kind:     by_value
      - .offset:         136
        .size:           4
        .value_kind:     by_value
      - .offset:         140
        .size:           4
        .value_kind:     by_value
    .group_segment_fixed_size: 0
    .kernarg_segment_align: 8
    .kernarg_segment_size: 144
    .language:       OpenCL C
    .language_version:
      - 2
      - 0
    .max_flat_workgroup_size: 32
    .name:           _ZL13mul_mat_vec_qIL9ggml_type3ELi8ELb0ELb0EEvPKvS2_PKi31ggml_cuda_mm_fusion_args_devicePfj15HIP_vector_typeIjLj3EEjjjS8_jjjS8_jjjj
    .private_segment_fixed_size: 0
    .sgpr_count:     29
    .sgpr_spill_count: 0
    .symbol:         _ZL13mul_mat_vec_qIL9ggml_type3ELi8ELb0ELb0EEvPKvS2_PKi31ggml_cuda_mm_fusion_args_devicePfj15HIP_vector_typeIjLj3EEjjjS8_jjjS8_jjjj.kd
    .uniform_work_group_size: 1
    .uses_dynamic_stack: false
    .vgpr_count:     63
    .vgpr_spill_count: 0
    .wavefront_size: 32
    .workgroup_processor_mode: 1
  - .args:
      - .address_space:  global
        .offset:         0
        .size:           8
        .value_kind:     global_buffer
      - .address_space:  global
        .offset:         8
        .size:           8
        .value_kind:     global_buffer
      - .address_space:  global
        .offset:         16
        .size:           8
        .value_kind:     global_buffer
      - .address_space:  global
        .offset:         24
        .size:           8
        .value_kind:     global_buffer
      - .offset:         32
        .size:           4
        .value_kind:     by_value
      - .offset:         36
        .size:           12
        .value_kind:     by_value
      - .offset:         48
        .size:           4
        .value_kind:     by_value
      - .offset:         52
        .size:           4
        .value_kind:     by_value
      - .offset:         56
        .size:           4
        .value_kind:     by_value
      - .offset:         60
        .size:           4
        .value_kind:     by_value
      - .offset:         64
        .size:           4
        .value_kind:     by_value
      - .offset:         68
        .size:           4
        .value_kind:     by_value
      - .offset:         72
        .size:           4
        .value_kind:     by_value
      - .offset:         76
        .size:           4
        .value_kind:     by_value
      - .offset:         80
        .size:           4
        .value_kind:     by_value
    .group_segment_fixed_size: 0
    .kernarg_segment_align: 8
    .kernarg_segment_size: 84
    .language:       OpenCL C
    .language_version:
      - 2
      - 0
    .max_flat_workgroup_size: 256
    .name:           _ZL17mul_mat_vec_q_moeIL9ggml_type6ELi2EEvPKvS2_PKiPfj15HIP_vector_typeIjLj3EEjjjjjjjjj
    .private_segment_fixed_size: 0
    .sgpr_count:     30
    .sgpr_spill_count: 0
    .symbol:         _ZL17mul_mat_vec_q_moeIL9ggml_type6ELi2EEvPKvS2_PKiPfj15HIP_vector_typeIjLj3EEjjjjjjjjj.kd
    .uniform_work_group_size: 1
    .uses_dynamic_stack: false
    .vgpr_count:     59
    .vgpr_spill_count: 0
    .wavefront_size: 32
    .workgroup_processor_mode: 1
  - .args:
      - .address_space:  global
        .offset:         0
        .size:           8
        .value_kind:     global_buffer
      - .address_space:  global
        .offset:         8
        .size:           8
        .value_kind:     global_buffer
      - .address_space:  global
        .offset:         16
        .size:           8
        .value_kind:     global_buffer
      - .offset:         24
        .size:           32
        .value_kind:     by_value
      - .address_space:  global
        .offset:         56
        .size:           8
        .value_kind:     global_buffer
      - .offset:         64
        .size:           4
        .value_kind:     by_value
      - .offset:         68
        .size:           12
        .value_kind:     by_value
      - .offset:         80
        .size:           4
        .value_kind:     by_value
      - .offset:         84
        .size:           4
        .value_kind:     by_value
      - .offset:         88
        .size:           4
        .value_kind:     by_value
      - .offset:         92
        .size:           12
        .value_kind:     by_value
      - .offset:         104
        .size:           4
        .value_kind:     by_value
      - .offset:         108
        .size:           4
        .value_kind:     by_value
      - .offset:         112
        .size:           4
        .value_kind:     by_value
      - .offset:         116
        .size:           12
        .value_kind:     by_value
      - .offset:         128
        .size:           4
        .value_kind:     by_value
      - .offset:         132
        .size:           4
        .value_kind:     by_value
      - .offset:         136
        .size:           4
        .value_kind:     by_value
      - .offset:         140
        .size:           4
        .value_kind:     by_value
    .group_segment_fixed_size: 0
    .kernarg_segment_align: 8
    .kernarg_segment_size: 144
    .language:       OpenCL C
    .language_version:
      - 2
      - 0
    .max_flat_workgroup_size: 32
    .name:           _ZL13mul_mat_vec_qIL9ggml_type6ELi1ELb1ELb1EEvPKvS2_PKi31ggml_cuda_mm_fusion_args_devicePfj15HIP_vector_typeIjLj3EEjjjS8_jjjS8_jjjj
    .private_segment_fixed_size: 0
    .sgpr_count:     42
    .sgpr_spill_count: 0
    .symbol:         _ZL13mul_mat_vec_qIL9ggml_type6ELi1ELb1ELb1EEvPKvS2_PKi31ggml_cuda_mm_fusion_args_devicePfj15HIP_vector_typeIjLj3EEjjjS8_jjjS8_jjjj.kd
    .uniform_work_group_size: 1
    .uses_dynamic_stack: false
    .vgpr_count:     46
    .vgpr_spill_count: 0
    .wavefront_size: 32
    .workgroup_processor_mode: 1
  - .args:
      - .address_space:  global
        .offset:         0
        .size:           8
        .value_kind:     global_buffer
      - .address_space:  global
        .offset:         8
        .size:           8
        .value_kind:     global_buffer
      - .address_space:  global
        .offset:         16
        .size:           8
        .value_kind:     global_buffer
      - .offset:         24
        .size:           32
        .value_kind:     by_value
      - .address_space:  global
        .offset:         56
        .size:           8
        .value_kind:     global_buffer
      - .offset:         64
        .size:           4
        .value_kind:     by_value
      - .offset:         68
        .size:           12
        .value_kind:     by_value
      - .offset:         80
        .size:           4
        .value_kind:     by_value
      - .offset:         84
        .size:           4
        .value_kind:     by_value
      - .offset:         88
        .size:           4
        .value_kind:     by_value
      - .offset:         92
        .size:           12
        .value_kind:     by_value
      - .offset:         104
        .size:           4
        .value_kind:     by_value
      - .offset:         108
        .size:           4
        .value_kind:     by_value
      - .offset:         112
        .size:           4
        .value_kind:     by_value
      - .offset:         116
        .size:           12
        .value_kind:     by_value
      - .offset:         128
        .size:           4
        .value_kind:     by_value
      - .offset:         132
        .size:           4
        .value_kind:     by_value
      - .offset:         136
        .size:           4
        .value_kind:     by_value
      - .offset:         140
        .size:           4
        .value_kind:     by_value
    .group_segment_fixed_size: 0
    .kernarg_segment_align: 8
    .kernarg_segment_size: 144
    .language:       OpenCL C
    .language_version:
      - 2
      - 0
    .max_flat_workgroup_size: 32
    .name:           _ZL13mul_mat_vec_qIL9ggml_type6ELi1ELb0ELb1EEvPKvS2_PKi31ggml_cuda_mm_fusion_args_devicePfj15HIP_vector_typeIjLj3EEjjjS8_jjjS8_jjjj
    .private_segment_fixed_size: 0
    .sgpr_count:     25
    .sgpr_spill_count: 0
    .symbol:         _ZL13mul_mat_vec_qIL9ggml_type6ELi1ELb0ELb1EEvPKvS2_PKi31ggml_cuda_mm_fusion_args_devicePfj15HIP_vector_typeIjLj3EEjjjS8_jjjS8_jjjj.kd
    .uniform_work_group_size: 1
    .uses_dynamic_stack: false
    .vgpr_count:     37
    .vgpr_spill_count: 0
    .wavefront_size: 32
    .workgroup_processor_mode: 1
  - .args:
      - .address_space:  global
        .offset:         0
        .size:           8
        .value_kind:     global_buffer
      - .address_space:  global
        .offset:         8
        .size:           8
        .value_kind:     global_buffer
      - .address_space:  global
        .offset:         16
        .size:           8
        .value_kind:     global_buffer
      - .offset:         24
        .size:           32
        .value_kind:     by_value
      - .address_space:  global
        .offset:         56
        .size:           8
        .value_kind:     global_buffer
      - .offset:         64
        .size:           4
        .value_kind:     by_value
      - .offset:         68
        .size:           12
        .value_kind:     by_value
      - .offset:         80
        .size:           4
        .value_kind:     by_value
      - .offset:         84
        .size:           4
        .value_kind:     by_value
      - .offset:         88
        .size:           4
        .value_kind:     by_value
      - .offset:         92
        .size:           12
        .value_kind:     by_value
      - .offset:         104
        .size:           4
        .value_kind:     by_value
      - .offset:         108
        .size:           4
        .value_kind:     by_value
      - .offset:         112
        .size:           4
        .value_kind:     by_value
      - .offset:         116
        .size:           12
        .value_kind:     by_value
      - .offset:         128
        .size:           4
        .value_kind:     by_value
      - .offset:         132
        .size:           4
        .value_kind:     by_value
      - .offset:         136
        .size:           4
        .value_kind:     by_value
      - .offset:         140
        .size:           4
        .value_kind:     by_value
    .group_segment_fixed_size: 0
    .kernarg_segment_align: 8
    .kernarg_segment_size: 144
    .language:       OpenCL C
    .language_version:
      - 2
      - 0
    .max_flat_workgroup_size: 32
    .name:           _ZL13mul_mat_vec_qIL9ggml_type6ELi1ELb1ELb0EEvPKvS2_PKi31ggml_cuda_mm_fusion_args_devicePfj15HIP_vector_typeIjLj3EEjjjS8_jjjS8_jjjj
    .private_segment_fixed_size: 0
    .sgpr_count:     42
    .sgpr_spill_count: 0
    .symbol:         _ZL13mul_mat_vec_qIL9ggml_type6ELi1ELb1ELb0EEvPKvS2_PKi31ggml_cuda_mm_fusion_args_devicePfj15HIP_vector_typeIjLj3EEjjjS8_jjjS8_jjjj.kd
    .uniform_work_group_size: 1
    .uses_dynamic_stack: false
    .vgpr_count:     46
    .vgpr_spill_count: 0
    .wavefront_size: 32
    .workgroup_processor_mode: 1
  - .args:
      - .address_space:  global
        .offset:         0
        .size:           8
        .value_kind:     global_buffer
      - .address_space:  global
        .offset:         8
        .size:           8
        .value_kind:     global_buffer
      - .address_space:  global
        .offset:         16
        .size:           8
        .value_kind:     global_buffer
      - .offset:         24
        .size:           32
        .value_kind:     by_value
      - .address_space:  global
        .offset:         56
        .size:           8
        .value_kind:     global_buffer
      - .offset:         64
        .size:           4
        .value_kind:     by_value
      - .offset:         68
        .size:           12
        .value_kind:     by_value
      - .offset:         80
        .size:           4
        .value_kind:     by_value
      - .offset:         84
        .size:           4
        .value_kind:     by_value
      - .offset:         88
        .size:           4
        .value_kind:     by_value
      - .offset:         92
        .size:           12
        .value_kind:     by_value
      - .offset:         104
        .size:           4
        .value_kind:     by_value
      - .offset:         108
        .size:           4
        .value_kind:     by_value
      - .offset:         112
        .size:           4
        .value_kind:     by_value
      - .offset:         116
        .size:           12
        .value_kind:     by_value
      - .offset:         128
        .size:           4
        .value_kind:     by_value
      - .offset:         132
        .size:           4
        .value_kind:     by_value
      - .offset:         136
        .size:           4
        .value_kind:     by_value
      - .offset:         140
        .size:           4
        .value_kind:     by_value
    .group_segment_fixed_size: 0
    .kernarg_segment_align: 8
    .kernarg_segment_size: 144
    .language:       OpenCL C
    .language_version:
      - 2
      - 0
    .max_flat_workgroup_size: 32
    .name:           _ZL13mul_mat_vec_qIL9ggml_type6ELi1ELb0ELb0EEvPKvS2_PKi31ggml_cuda_mm_fusion_args_devicePfj15HIP_vector_typeIjLj3EEjjjS8_jjjS8_jjjj
    .private_segment_fixed_size: 0
    .sgpr_count:     25
    .sgpr_spill_count: 0
    .symbol:         _ZL13mul_mat_vec_qIL9ggml_type6ELi1ELb0ELb0EEvPKvS2_PKi31ggml_cuda_mm_fusion_args_devicePfj15HIP_vector_typeIjLj3EEjjjS8_jjjS8_jjjj.kd
    .uniform_work_group_size: 1
    .uses_dynamic_stack: false
    .vgpr_count:     37
    .vgpr_spill_count: 0
    .wavefront_size: 32
    .workgroup_processor_mode: 1
  - .args:
      - .address_space:  global
        .offset:         0
        .size:           8
        .value_kind:     global_buffer
      - .address_space:  global
        .offset:         8
        .size:           8
        .value_kind:     global_buffer
      - .address_space:  global
        .offset:         16
        .size:           8
        .value_kind:     global_buffer
      - .offset:         24
        .size:           32
        .value_kind:     by_value
      - .address_space:  global
        .offset:         56
        .size:           8
        .value_kind:     global_buffer
      - .offset:         64
        .size:           4
        .value_kind:     by_value
      - .offset:         68
        .size:           12
        .value_kind:     by_value
      - .offset:         80
        .size:           4
        .value_kind:     by_value
      - .offset:         84
        .size:           4
        .value_kind:     by_value
      - .offset:         88
        .size:           4
        .value_kind:     by_value
      - .offset:         92
        .size:           12
        .value_kind:     by_value
      - .offset:         104
        .size:           4
        .value_kind:     by_value
      - .offset:         108
        .size:           4
        .value_kind:     by_value
      - .offset:         112
        .size:           4
        .value_kind:     by_value
      - .offset:         116
        .size:           12
        .value_kind:     by_value
      - .offset:         128
        .size:           4
        .value_kind:     by_value
      - .offset:         132
        .size:           4
        .value_kind:     by_value
      - .offset:         136
        .size:           4
        .value_kind:     by_value
      - .offset:         140
        .size:           4
        .value_kind:     by_value
    .group_segment_fixed_size: 0
    .kernarg_segment_align: 8
    .kernarg_segment_size: 144
    .language:       OpenCL C
    .language_version:
      - 2
      - 0
    .max_flat_workgroup_size: 32
    .name:           _ZL13mul_mat_vec_qIL9ggml_type6ELi2ELb0ELb0EEvPKvS2_PKi31ggml_cuda_mm_fusion_args_devicePfj15HIP_vector_typeIjLj3EEjjjS8_jjjS8_jjjj
    .private_segment_fixed_size: 0
    .sgpr_count:     28
    .sgpr_spill_count: 0
    .symbol:         _ZL13mul_mat_vec_qIL9ggml_type6ELi2ELb0ELb0EEvPKvS2_PKi31ggml_cuda_mm_fusion_args_devicePfj15HIP_vector_typeIjLj3EEjjjS8_jjjS8_jjjj.kd
    .uniform_work_group_size: 1
    .uses_dynamic_stack: false
    .vgpr_count:     45
    .vgpr_spill_count: 0
    .wavefront_size: 32
    .workgroup_processor_mode: 1
  - .args:
      - .address_space:  global
        .offset:         0
        .size:           8
        .value_kind:     global_buffer
      - .address_space:  global
        .offset:         8
        .size:           8
        .value_kind:     global_buffer
      - .address_space:  global
        .offset:         16
        .size:           8
        .value_kind:     global_buffer
      - .offset:         24
        .size:           32
        .value_kind:     by_value
      - .address_space:  global
        .offset:         56
        .size:           8
        .value_kind:     global_buffer
      - .offset:         64
        .size:           4
        .value_kind:     by_value
      - .offset:         68
        .size:           12
        .value_kind:     by_value
      - .offset:         80
        .size:           4
        .value_kind:     by_value
      - .offset:         84
        .size:           4
        .value_kind:     by_value
      - .offset:         88
        .size:           4
        .value_kind:     by_value
      - .offset:         92
        .size:           12
        .value_kind:     by_value
      - .offset:         104
        .size:           4
        .value_kind:     by_value
      - .offset:         108
        .size:           4
        .value_kind:     by_value
      - .offset:         112
        .size:           4
        .value_kind:     by_value
      - .offset:         116
        .size:           12
        .value_kind:     by_value
      - .offset:         128
        .size:           4
        .value_kind:     by_value
      - .offset:         132
        .size:           4
        .value_kind:     by_value
      - .offset:         136
        .size:           4
        .value_kind:     by_value
      - .offset:         140
        .size:           4
        .value_kind:     by_value
    .group_segment_fixed_size: 0
    .kernarg_segment_align: 8
    .kernarg_segment_size: 144
    .language:       OpenCL C
    .language_version:
      - 2
      - 0
    .max_flat_workgroup_size: 32
    .name:           _ZL13mul_mat_vec_qIL9ggml_type6ELi3ELb0ELb0EEvPKvS2_PKi31ggml_cuda_mm_fusion_args_devicePfj15HIP_vector_typeIjLj3EEjjjS8_jjjS8_jjjj
    .private_segment_fixed_size: 0
    .sgpr_count:     28
    .sgpr_spill_count: 0
    .symbol:         _ZL13mul_mat_vec_qIL9ggml_type6ELi3ELb0ELb0EEvPKvS2_PKi31ggml_cuda_mm_fusion_args_devicePfj15HIP_vector_typeIjLj3EEjjjS8_jjjS8_jjjj.kd
    .uniform_work_group_size: 1
    .uses_dynamic_stack: false
    .vgpr_count:     55
    .vgpr_spill_count: 0
    .wavefront_size: 32
    .workgroup_processor_mode: 1
  - .args:
      - .address_space:  global
        .offset:         0
        .size:           8
        .value_kind:     global_buffer
      - .address_space:  global
        .offset:         8
        .size:           8
        .value_kind:     global_buffer
      - .address_space:  global
        .offset:         16
        .size:           8
        .value_kind:     global_buffer
      - .offset:         24
        .size:           32
        .value_kind:     by_value
      - .address_space:  global
        .offset:         56
        .size:           8
        .value_kind:     global_buffer
      - .offset:         64
        .size:           4
        .value_kind:     by_value
      - .offset:         68
        .size:           12
        .value_kind:     by_value
      - .offset:         80
        .size:           4
        .value_kind:     by_value
      - .offset:         84
        .size:           4
        .value_kind:     by_value
      - .offset:         88
        .size:           4
        .value_kind:     by_value
      - .offset:         92
        .size:           12
        .value_kind:     by_value
      - .offset:         104
        .size:           4
        .value_kind:     by_value
      - .offset:         108
        .size:           4
        .value_kind:     by_value
      - .offset:         112
        .size:           4
        .value_kind:     by_value
      - .offset:         116
        .size:           12
        .value_kind:     by_value
      - .offset:         128
        .size:           4
        .value_kind:     by_value
      - .offset:         132
        .size:           4
        .value_kind:     by_value
      - .offset:         136
        .size:           4
        .value_kind:     by_value
      - .offset:         140
        .size:           4
        .value_kind:     by_value
    .group_segment_fixed_size: 0
    .kernarg_segment_align: 8
    .kernarg_segment_size: 144
    .language:       OpenCL C
    .language_version:
      - 2
      - 0
    .max_flat_workgroup_size: 32
    .name:           _ZL13mul_mat_vec_qIL9ggml_type6ELi4ELb0ELb0EEvPKvS2_PKi31ggml_cuda_mm_fusion_args_devicePfj15HIP_vector_typeIjLj3EEjjjS8_jjjS8_jjjj
    .private_segment_fixed_size: 0
    .sgpr_count:     28
    .sgpr_spill_count: 0
    .symbol:         _ZL13mul_mat_vec_qIL9ggml_type6ELi4ELb0ELb0EEvPKvS2_PKi31ggml_cuda_mm_fusion_args_devicePfj15HIP_vector_typeIjLj3EEjjjS8_jjjS8_jjjj.kd
    .uniform_work_group_size: 1
    .uses_dynamic_stack: false
    .vgpr_count:     62
    .vgpr_spill_count: 0
    .wavefront_size: 32
    .workgroup_processor_mode: 1
  - .args:
      - .address_space:  global
        .offset:         0
        .size:           8
        .value_kind:     global_buffer
      - .address_space:  global
        .offset:         8
        .size:           8
        .value_kind:     global_buffer
      - .address_space:  global
        .offset:         16
        .size:           8
        .value_kind:     global_buffer
      - .offset:         24
        .size:           32
        .value_kind:     by_value
      - .address_space:  global
        .offset:         56
        .size:           8
        .value_kind:     global_buffer
      - .offset:         64
        .size:           4
        .value_kind:     by_value
      - .offset:         68
        .size:           12
        .value_kind:     by_value
      - .offset:         80
        .size:           4
        .value_kind:     by_value
      - .offset:         84
        .size:           4
        .value_kind:     by_value
      - .offset:         88
        .size:           4
        .value_kind:     by_value
      - .offset:         92
        .size:           12
        .value_kind:     by_value
      - .offset:         104
        .size:           4
        .value_kind:     by_value
      - .offset:         108
        .size:           4
        .value_kind:     by_value
      - .offset:         112
        .size:           4
        .value_kind:     by_value
      - .offset:         116
        .size:           12
        .value_kind:     by_value
      - .offset:         128
        .size:           4
        .value_kind:     by_value
      - .offset:         132
        .size:           4
        .value_kind:     by_value
      - .offset:         136
        .size:           4
        .value_kind:     by_value
      - .offset:         140
        .size:           4
        .value_kind:     by_value
    .group_segment_fixed_size: 0
    .kernarg_segment_align: 8
    .kernarg_segment_size: 144
    .language:       OpenCL C
    .language_version:
      - 2
      - 0
    .max_flat_workgroup_size: 32
    .name:           _ZL13mul_mat_vec_qIL9ggml_type6ELi5ELb0ELb0EEvPKvS2_PKi31ggml_cuda_mm_fusion_args_devicePfj15HIP_vector_typeIjLj3EEjjjS8_jjjS8_jjjj
    .private_segment_fixed_size: 0
    .sgpr_count:     28
    .sgpr_spill_count: 0
    .symbol:         _ZL13mul_mat_vec_qIL9ggml_type6ELi5ELb0ELb0EEvPKvS2_PKi31ggml_cuda_mm_fusion_args_devicePfj15HIP_vector_typeIjLj3EEjjjS8_jjjS8_jjjj.kd
    .uniform_work_group_size: 1
    .uses_dynamic_stack: false
    .vgpr_count:     62
    .vgpr_spill_count: 0
    .wavefront_size: 32
    .workgroup_processor_mode: 1
  - .args:
      - .address_space:  global
        .offset:         0
        .size:           8
        .value_kind:     global_buffer
      - .address_space:  global
        .offset:         8
        .size:           8
        .value_kind:     global_buffer
      - .address_space:  global
        .offset:         16
        .size:           8
        .value_kind:     global_buffer
      - .offset:         24
        .size:           32
        .value_kind:     by_value
      - .address_space:  global
        .offset:         56
        .size:           8
        .value_kind:     global_buffer
      - .offset:         64
        .size:           4
        .value_kind:     by_value
      - .offset:         68
        .size:           12
        .value_kind:     by_value
      - .offset:         80
        .size:           4
        .value_kind:     by_value
      - .offset:         84
        .size:           4
        .value_kind:     by_value
      - .offset:         88
        .size:           4
        .value_kind:     by_value
      - .offset:         92
        .size:           12
        .value_kind:     by_value
      - .offset:         104
        .size:           4
        .value_kind:     by_value
      - .offset:         108
        .size:           4
        .value_kind:     by_value
      - .offset:         112
        .size:           4
        .value_kind:     by_value
      - .offset:         116
        .size:           12
        .value_kind:     by_value
      - .offset:         128
        .size:           4
        .value_kind:     by_value
      - .offset:         132
        .size:           4
        .value_kind:     by_value
      - .offset:         136
        .size:           4
        .value_kind:     by_value
      - .offset:         140
        .size:           4
        .value_kind:     by_value
    .group_segment_fixed_size: 0
    .kernarg_segment_align: 8
    .kernarg_segment_size: 144
    .language:       OpenCL C
    .language_version:
      - 2
      - 0
    .max_flat_workgroup_size: 32
    .name:           _ZL13mul_mat_vec_qIL9ggml_type6ELi6ELb0ELb0EEvPKvS2_PKi31ggml_cuda_mm_fusion_args_devicePfj15HIP_vector_typeIjLj3EEjjjS8_jjjS8_jjjj
    .private_segment_fixed_size: 0
    .sgpr_count:     28
    .sgpr_spill_count: 0
    .symbol:         _ZL13mul_mat_vec_qIL9ggml_type6ELi6ELb0ELb0EEvPKvS2_PKi31ggml_cuda_mm_fusion_args_devicePfj15HIP_vector_typeIjLj3EEjjjS8_jjjS8_jjjj.kd
    .uniform_work_group_size: 1
    .uses_dynamic_stack: false
    .vgpr_count:     62
    .vgpr_spill_count: 0
    .wavefront_size: 32
    .workgroup_processor_mode: 1
  - .args:
      - .address_space:  global
        .offset:         0
        .size:           8
        .value_kind:     global_buffer
      - .address_space:  global
        .offset:         8
        .size:           8
        .value_kind:     global_buffer
      - .address_space:  global
        .offset:         16
        .size:           8
        .value_kind:     global_buffer
      - .offset:         24
        .size:           32
        .value_kind:     by_value
      - .address_space:  global
        .offset:         56
        .size:           8
        .value_kind:     global_buffer
      - .offset:         64
        .size:           4
        .value_kind:     by_value
      - .offset:         68
        .size:           12
        .value_kind:     by_value
      - .offset:         80
        .size:           4
        .value_kind:     by_value
      - .offset:         84
        .size:           4
        .value_kind:     by_value
      - .offset:         88
        .size:           4
        .value_kind:     by_value
      - .offset:         92
        .size:           12
        .value_kind:     by_value
      - .offset:         104
        .size:           4
        .value_kind:     by_value
      - .offset:         108
        .size:           4
        .value_kind:     by_value
      - .offset:         112
        .size:           4
        .value_kind:     by_value
      - .offset:         116
        .size:           12
        .value_kind:     by_value
      - .offset:         128
        .size:           4
        .value_kind:     by_value
      - .offset:         132
        .size:           4
        .value_kind:     by_value
      - .offset:         136
        .size:           4
        .value_kind:     by_value
      - .offset:         140
        .size:           4
        .value_kind:     by_value
    .group_segment_fixed_size: 0
    .kernarg_segment_align: 8
    .kernarg_segment_size: 144
    .language:       OpenCL C
    .language_version:
      - 2
      - 0
    .max_flat_workgroup_size: 32
    .name:           _ZL13mul_mat_vec_qIL9ggml_type6ELi7ELb0ELb0EEvPKvS2_PKi31ggml_cuda_mm_fusion_args_devicePfj15HIP_vector_typeIjLj3EEjjjS8_jjjS8_jjjj
    .private_segment_fixed_size: 0
    .sgpr_count:     28
    .sgpr_spill_count: 0
    .symbol:         _ZL13mul_mat_vec_qIL9ggml_type6ELi7ELb0ELb0EEvPKvS2_PKi31ggml_cuda_mm_fusion_args_devicePfj15HIP_vector_typeIjLj3EEjjjS8_jjjS8_jjjj.kd
    .uniform_work_group_size: 1
    .uses_dynamic_stack: false
    .vgpr_count:     62
    .vgpr_spill_count: 0
    .wavefront_size: 32
    .workgroup_processor_mode: 1
  - .args:
      - .address_space:  global
        .offset:         0
        .size:           8
        .value_kind:     global_buffer
      - .address_space:  global
        .offset:         8
        .size:           8
        .value_kind:     global_buffer
      - .address_space:  global
        .offset:         16
        .size:           8
        .value_kind:     global_buffer
      - .offset:         24
        .size:           32
        .value_kind:     by_value
      - .address_space:  global
        .offset:         56
        .size:           8
        .value_kind:     global_buffer
      - .offset:         64
        .size:           4
        .value_kind:     by_value
      - .offset:         68
        .size:           12
        .value_kind:     by_value
      - .offset:         80
        .size:           4
        .value_kind:     by_value
      - .offset:         84
        .size:           4
        .value_kind:     by_value
      - .offset:         88
        .size:           4
        .value_kind:     by_value
      - .offset:         92
        .size:           12
        .value_kind:     by_value
      - .offset:         104
        .size:           4
        .value_kind:     by_value
      - .offset:         108
        .size:           4
        .value_kind:     by_value
      - .offset:         112
        .size:           4
        .value_kind:     by_value
      - .offset:         116
        .size:           12
        .value_kind:     by_value
      - .offset:         128
        .size:           4
        .value_kind:     by_value
      - .offset:         132
        .size:           4
        .value_kind:     by_value
      - .offset:         136
        .size:           4
        .value_kind:     by_value
      - .offset:         140
        .size:           4
        .value_kind:     by_value
    .group_segment_fixed_size: 0
    .kernarg_segment_align: 8
    .kernarg_segment_size: 144
    .language:       OpenCL C
    .language_version:
      - 2
      - 0
    .max_flat_workgroup_size: 32
    .name:           _ZL13mul_mat_vec_qIL9ggml_type6ELi8ELb0ELb0EEvPKvS2_PKi31ggml_cuda_mm_fusion_args_devicePfj15HIP_vector_typeIjLj3EEjjjS8_jjjS8_jjjj
    .private_segment_fixed_size: 0
    .sgpr_count:     28
    .sgpr_spill_count: 0
    .symbol:         _ZL13mul_mat_vec_qIL9ggml_type6ELi8ELb0ELb0EEvPKvS2_PKi31ggml_cuda_mm_fusion_args_devicePfj15HIP_vector_typeIjLj3EEjjjS8_jjjS8_jjjj.kd
    .uniform_work_group_size: 1
    .uses_dynamic_stack: false
    .vgpr_count:     67
    .vgpr_spill_count: 0
    .wavefront_size: 32
    .workgroup_processor_mode: 1
  - .args:
      - .address_space:  global
        .offset:         0
        .size:           8
        .value_kind:     global_buffer
      - .address_space:  global
        .offset:         8
        .size:           8
        .value_kind:     global_buffer
      - .address_space:  global
        .offset:         16
        .size:           8
        .value_kind:     global_buffer
      - .address_space:  global
        .offset:         24
        .size:           8
        .value_kind:     global_buffer
      - .offset:         32
        .size:           4
        .value_kind:     by_value
      - .offset:         36
        .size:           12
        .value_kind:     by_value
      - .offset:         48
        .size:           4
        .value_kind:     by_value
      - .offset:         52
        .size:           4
        .value_kind:     by_value
      - .offset:         56
        .size:           4
        .value_kind:     by_value
      - .offset:         60
        .size:           4
        .value_kind:     by_value
      - .offset:         64
        .size:           4
        .value_kind:     by_value
      - .offset:         68
        .size:           4
        .value_kind:     by_value
      - .offset:         72
        .size:           4
        .value_kind:     by_value
      - .offset:         76
        .size:           4
        .value_kind:     by_value
      - .offset:         80
        .size:           4
        .value_kind:     by_value
    .group_segment_fixed_size: 0
    .kernarg_segment_align: 8
    .kernarg_segment_size: 84
    .language:       OpenCL C
    .language_version:
      - 2
      - 0
    .max_flat_workgroup_size: 256
    .name:           _ZL17mul_mat_vec_q_moeIL9ggml_type7ELi2EEvPKvS2_PKiPfj15HIP_vector_typeIjLj3EEjjjjjjjjj
    .private_segment_fixed_size: 0
    .sgpr_count:     30
    .sgpr_spill_count: 0
    .symbol:         _ZL17mul_mat_vec_q_moeIL9ggml_type7ELi2EEvPKvS2_PKiPfj15HIP_vector_typeIjLj3EEjjjjjjjjj.kd
    .uniform_work_group_size: 1
    .uses_dynamic_stack: false
    .vgpr_count:     58
    .vgpr_spill_count: 0
    .wavefront_size: 32
    .workgroup_processor_mode: 1
  - .args:
      - .address_space:  global
        .offset:         0
        .size:           8
        .value_kind:     global_buffer
      - .address_space:  global
        .offset:         8
        .size:           8
        .value_kind:     global_buffer
      - .address_space:  global
        .offset:         16
        .size:           8
        .value_kind:     global_buffer
      - .offset:         24
        .size:           32
        .value_kind:     by_value
      - .address_space:  global
        .offset:         56
        .size:           8
        .value_kind:     global_buffer
      - .offset:         64
        .size:           4
        .value_kind:     by_value
      - .offset:         68
        .size:           12
        .value_kind:     by_value
      - .offset:         80
        .size:           4
        .value_kind:     by_value
      - .offset:         84
        .size:           4
        .value_kind:     by_value
      - .offset:         88
        .size:           4
        .value_kind:     by_value
      - .offset:         92
        .size:           12
        .value_kind:     by_value
      - .offset:         104
        .size:           4
        .value_kind:     by_value
      - .offset:         108
        .size:           4
        .value_kind:     by_value
      - .offset:         112
        .size:           4
        .value_kind:     by_value
      - .offset:         116
        .size:           12
        .value_kind:     by_value
      - .offset:         128
        .size:           4
        .value_kind:     by_value
      - .offset:         132
        .size:           4
        .value_kind:     by_value
      - .offset:         136
        .size:           4
        .value_kind:     by_value
      - .offset:         140
        .size:           4
        .value_kind:     by_value
    .group_segment_fixed_size: 0
    .kernarg_segment_align: 8
    .kernarg_segment_size: 144
    .language:       OpenCL C
    .language_version:
      - 2
      - 0
    .max_flat_workgroup_size: 32
    .name:           _ZL13mul_mat_vec_qIL9ggml_type7ELi1ELb1ELb1EEvPKvS2_PKi31ggml_cuda_mm_fusion_args_devicePfj15HIP_vector_typeIjLj3EEjjjS8_jjjS8_jjjj
    .private_segment_fixed_size: 0
    .sgpr_count:     42
    .sgpr_spill_count: 0
    .symbol:         _ZL13mul_mat_vec_qIL9ggml_type7ELi1ELb1ELb1EEvPKvS2_PKi31ggml_cuda_mm_fusion_args_devicePfj15HIP_vector_typeIjLj3EEjjjS8_jjjS8_jjjj.kd
    .uniform_work_group_size: 1
    .uses_dynamic_stack: false
    .vgpr_count:     45
    .vgpr_spill_count: 0
    .wavefront_size: 32
    .workgroup_processor_mode: 1
  - .args:
      - .address_space:  global
        .offset:         0
        .size:           8
        .value_kind:     global_buffer
      - .address_space:  global
        .offset:         8
        .size:           8
        .value_kind:     global_buffer
      - .address_space:  global
        .offset:         16
        .size:           8
        .value_kind:     global_buffer
      - .offset:         24
        .size:           32
        .value_kind:     by_value
      - .address_space:  global
        .offset:         56
        .size:           8
        .value_kind:     global_buffer
      - .offset:         64
        .size:           4
        .value_kind:     by_value
      - .offset:         68
        .size:           12
        .value_kind:     by_value
      - .offset:         80
        .size:           4
        .value_kind:     by_value
      - .offset:         84
        .size:           4
        .value_kind:     by_value
      - .offset:         88
        .size:           4
        .value_kind:     by_value
      - .offset:         92
        .size:           12
        .value_kind:     by_value
      - .offset:         104
        .size:           4
        .value_kind:     by_value
      - .offset:         108
        .size:           4
        .value_kind:     by_value
      - .offset:         112
        .size:           4
        .value_kind:     by_value
      - .offset:         116
        .size:           12
        .value_kind:     by_value
      - .offset:         128
        .size:           4
        .value_kind:     by_value
      - .offset:         132
        .size:           4
        .value_kind:     by_value
      - .offset:         136
        .size:           4
        .value_kind:     by_value
      - .offset:         140
        .size:           4
        .value_kind:     by_value
    .group_segment_fixed_size: 0
    .kernarg_segment_align: 8
    .kernarg_segment_size: 144
    .language:       OpenCL C
    .language_version:
      - 2
      - 0
    .max_flat_workgroup_size: 32
    .name:           _ZL13mul_mat_vec_qIL9ggml_type7ELi1ELb0ELb1EEvPKvS2_PKi31ggml_cuda_mm_fusion_args_devicePfj15HIP_vector_typeIjLj3EEjjjS8_jjjS8_jjjj
    .private_segment_fixed_size: 0
    .sgpr_count:     25
    .sgpr_spill_count: 0
    .symbol:         _ZL13mul_mat_vec_qIL9ggml_type7ELi1ELb0ELb1EEvPKvS2_PKi31ggml_cuda_mm_fusion_args_devicePfj15HIP_vector_typeIjLj3EEjjjS8_jjjS8_jjjj.kd
    .uniform_work_group_size: 1
    .uses_dynamic_stack: false
    .vgpr_count:     37
    .vgpr_spill_count: 0
    .wavefront_size: 32
    .workgroup_processor_mode: 1
  - .args:
      - .address_space:  global
        .offset:         0
        .size:           8
        .value_kind:     global_buffer
      - .address_space:  global
        .offset:         8
        .size:           8
        .value_kind:     global_buffer
      - .address_space:  global
        .offset:         16
        .size:           8
        .value_kind:     global_buffer
      - .offset:         24
        .size:           32
        .value_kind:     by_value
      - .address_space:  global
        .offset:         56
        .size:           8
        .value_kind:     global_buffer
      - .offset:         64
        .size:           4
        .value_kind:     by_value
      - .offset:         68
        .size:           12
        .value_kind:     by_value
      - .offset:         80
        .size:           4
        .value_kind:     by_value
      - .offset:         84
        .size:           4
        .value_kind:     by_value
      - .offset:         88
        .size:           4
        .value_kind:     by_value
      - .offset:         92
        .size:           12
        .value_kind:     by_value
      - .offset:         104
        .size:           4
        .value_kind:     by_value
      - .offset:         108
        .size:           4
        .value_kind:     by_value
      - .offset:         112
        .size:           4
        .value_kind:     by_value
      - .offset:         116
        .size:           12
        .value_kind:     by_value
      - .offset:         128
        .size:           4
        .value_kind:     by_value
      - .offset:         132
        .size:           4
        .value_kind:     by_value
      - .offset:         136
        .size:           4
        .value_kind:     by_value
      - .offset:         140
        .size:           4
        .value_kind:     by_value
    .group_segment_fixed_size: 0
    .kernarg_segment_align: 8
    .kernarg_segment_size: 144
    .language:       OpenCL C
    .language_version:
      - 2
      - 0
    .max_flat_workgroup_size: 32
    .name:           _ZL13mul_mat_vec_qIL9ggml_type7ELi1ELb1ELb0EEvPKvS2_PKi31ggml_cuda_mm_fusion_args_devicePfj15HIP_vector_typeIjLj3EEjjjS8_jjjS8_jjjj
    .private_segment_fixed_size: 0
    .sgpr_count:     42
    .sgpr_spill_count: 0
    .symbol:         _ZL13mul_mat_vec_qIL9ggml_type7ELi1ELb1ELb0EEvPKvS2_PKi31ggml_cuda_mm_fusion_args_devicePfj15HIP_vector_typeIjLj3EEjjjS8_jjjS8_jjjj.kd
    .uniform_work_group_size: 1
    .uses_dynamic_stack: false
    .vgpr_count:     45
    .vgpr_spill_count: 0
    .wavefront_size: 32
    .workgroup_processor_mode: 1
  - .args:
      - .address_space:  global
        .offset:         0
        .size:           8
        .value_kind:     global_buffer
      - .address_space:  global
        .offset:         8
        .size:           8
        .value_kind:     global_buffer
      - .address_space:  global
        .offset:         16
        .size:           8
        .value_kind:     global_buffer
      - .offset:         24
        .size:           32
        .value_kind:     by_value
      - .address_space:  global
        .offset:         56
        .size:           8
        .value_kind:     global_buffer
      - .offset:         64
        .size:           4
        .value_kind:     by_value
      - .offset:         68
        .size:           12
        .value_kind:     by_value
      - .offset:         80
        .size:           4
        .value_kind:     by_value
      - .offset:         84
        .size:           4
        .value_kind:     by_value
      - .offset:         88
        .size:           4
        .value_kind:     by_value
      - .offset:         92
        .size:           12
        .value_kind:     by_value
      - .offset:         104
        .size:           4
        .value_kind:     by_value
      - .offset:         108
        .size:           4
        .value_kind:     by_value
      - .offset:         112
        .size:           4
        .value_kind:     by_value
      - .offset:         116
        .size:           12
        .value_kind:     by_value
      - .offset:         128
        .size:           4
        .value_kind:     by_value
      - .offset:         132
        .size:           4
        .value_kind:     by_value
      - .offset:         136
        .size:           4
        .value_kind:     by_value
      - .offset:         140
        .size:           4
        .value_kind:     by_value
    .group_segment_fixed_size: 0
    .kernarg_segment_align: 8
    .kernarg_segment_size: 144
    .language:       OpenCL C
    .language_version:
      - 2
      - 0
    .max_flat_workgroup_size: 32
    .name:           _ZL13mul_mat_vec_qIL9ggml_type7ELi1ELb0ELb0EEvPKvS2_PKi31ggml_cuda_mm_fusion_args_devicePfj15HIP_vector_typeIjLj3EEjjjS8_jjjS8_jjjj
    .private_segment_fixed_size: 0
    .sgpr_count:     25
    .sgpr_spill_count: 0
    .symbol:         _ZL13mul_mat_vec_qIL9ggml_type7ELi1ELb0ELb0EEvPKvS2_PKi31ggml_cuda_mm_fusion_args_devicePfj15HIP_vector_typeIjLj3EEjjjS8_jjjS8_jjjj.kd
    .uniform_work_group_size: 1
    .uses_dynamic_stack: false
    .vgpr_count:     37
    .vgpr_spill_count: 0
    .wavefront_size: 32
    .workgroup_processor_mode: 1
  - .args:
      - .address_space:  global
        .offset:         0
        .size:           8
        .value_kind:     global_buffer
      - .address_space:  global
        .offset:         8
        .size:           8
        .value_kind:     global_buffer
      - .address_space:  global
        .offset:         16
        .size:           8
        .value_kind:     global_buffer
      - .offset:         24
        .size:           32
        .value_kind:     by_value
      - .address_space:  global
        .offset:         56
        .size:           8
        .value_kind:     global_buffer
      - .offset:         64
        .size:           4
        .value_kind:     by_value
      - .offset:         68
        .size:           12
        .value_kind:     by_value
      - .offset:         80
        .size:           4
        .value_kind:     by_value
      - .offset:         84
        .size:           4
        .value_kind:     by_value
      - .offset:         88
        .size:           4
        .value_kind:     by_value
      - .offset:         92
        .size:           12
        .value_kind:     by_value
      - .offset:         104
        .size:           4
        .value_kind:     by_value
      - .offset:         108
        .size:           4
        .value_kind:     by_value
      - .offset:         112
        .size:           4
        .value_kind:     by_value
      - .offset:         116
        .size:           12
        .value_kind:     by_value
      - .offset:         128
        .size:           4
        .value_kind:     by_value
      - .offset:         132
        .size:           4
        .value_kind:     by_value
      - .offset:         136
        .size:           4
        .value_kind:     by_value
      - .offset:         140
        .size:           4
        .value_kind:     by_value
    .group_segment_fixed_size: 0
    .kernarg_segment_align: 8
    .kernarg_segment_size: 144
    .language:       OpenCL C
    .language_version:
      - 2
      - 0
    .max_flat_workgroup_size: 32
    .name:           _ZL13mul_mat_vec_qIL9ggml_type7ELi2ELb0ELb0EEvPKvS2_PKi31ggml_cuda_mm_fusion_args_devicePfj15HIP_vector_typeIjLj3EEjjjS8_jjjS8_jjjj
    .private_segment_fixed_size: 0
    .sgpr_count:     28
    .sgpr_spill_count: 0
    .symbol:         _ZL13mul_mat_vec_qIL9ggml_type7ELi2ELb0ELb0EEvPKvS2_PKi31ggml_cuda_mm_fusion_args_devicePfj15HIP_vector_typeIjLj3EEjjjS8_jjjS8_jjjj.kd
    .uniform_work_group_size: 1
    .uses_dynamic_stack: false
    .vgpr_count:     44
    .vgpr_spill_count: 0
    .wavefront_size: 32
    .workgroup_processor_mode: 1
  - .args:
      - .address_space:  global
        .offset:         0
        .size:           8
        .value_kind:     global_buffer
      - .address_space:  global
        .offset:         8
        .size:           8
        .value_kind:     global_buffer
      - .address_space:  global
        .offset:         16
        .size:           8
        .value_kind:     global_buffer
      - .offset:         24
        .size:           32
        .value_kind:     by_value
      - .address_space:  global
        .offset:         56
        .size:           8
        .value_kind:     global_buffer
      - .offset:         64
        .size:           4
        .value_kind:     by_value
      - .offset:         68
        .size:           12
        .value_kind:     by_value
      - .offset:         80
        .size:           4
        .value_kind:     by_value
      - .offset:         84
        .size:           4
        .value_kind:     by_value
      - .offset:         88
        .size:           4
        .value_kind:     by_value
      - .offset:         92
        .size:           12
        .value_kind:     by_value
      - .offset:         104
        .size:           4
        .value_kind:     by_value
      - .offset:         108
        .size:           4
        .value_kind:     by_value
      - .offset:         112
        .size:           4
        .value_kind:     by_value
      - .offset:         116
        .size:           12
        .value_kind:     by_value
      - .offset:         128
        .size:           4
        .value_kind:     by_value
      - .offset:         132
        .size:           4
        .value_kind:     by_value
      - .offset:         136
        .size:           4
        .value_kind:     by_value
      - .offset:         140
        .size:           4
        .value_kind:     by_value
    .group_segment_fixed_size: 0
    .kernarg_segment_align: 8
    .kernarg_segment_size: 144
    .language:       OpenCL C
    .language_version:
      - 2
      - 0
    .max_flat_workgroup_size: 32
    .name:           _ZL13mul_mat_vec_qIL9ggml_type7ELi3ELb0ELb0EEvPKvS2_PKi31ggml_cuda_mm_fusion_args_devicePfj15HIP_vector_typeIjLj3EEjjjS8_jjjS8_jjjj
    .private_segment_fixed_size: 0
    .sgpr_count:     28
    .sgpr_spill_count: 0
    .symbol:         _ZL13mul_mat_vec_qIL9ggml_type7ELi3ELb0ELb0EEvPKvS2_PKi31ggml_cuda_mm_fusion_args_devicePfj15HIP_vector_typeIjLj3EEjjjS8_jjjS8_jjjj.kd
    .uniform_work_group_size: 1
    .uses_dynamic_stack: false
    .vgpr_count:     53
    .vgpr_spill_count: 0
    .wavefront_size: 32
    .workgroup_processor_mode: 1
  - .args:
      - .address_space:  global
        .offset:         0
        .size:           8
        .value_kind:     global_buffer
      - .address_space:  global
        .offset:         8
        .size:           8
        .value_kind:     global_buffer
      - .address_space:  global
        .offset:         16
        .size:           8
        .value_kind:     global_buffer
      - .offset:         24
        .size:           32
        .value_kind:     by_value
      - .address_space:  global
        .offset:         56
        .size:           8
        .value_kind:     global_buffer
      - .offset:         64
        .size:           4
        .value_kind:     by_value
      - .offset:         68
        .size:           12
        .value_kind:     by_value
      - .offset:         80
        .size:           4
        .value_kind:     by_value
      - .offset:         84
        .size:           4
        .value_kind:     by_value
      - .offset:         88
        .size:           4
        .value_kind:     by_value
      - .offset:         92
        .size:           12
        .value_kind:     by_value
      - .offset:         104
        .size:           4
        .value_kind:     by_value
      - .offset:         108
        .size:           4
        .value_kind:     by_value
      - .offset:         112
        .size:           4
        .value_kind:     by_value
      - .offset:         116
        .size:           12
        .value_kind:     by_value
      - .offset:         128
        .size:           4
        .value_kind:     by_value
      - .offset:         132
        .size:           4
        .value_kind:     by_value
      - .offset:         136
        .size:           4
        .value_kind:     by_value
      - .offset:         140
        .size:           4
        .value_kind:     by_value
    .group_segment_fixed_size: 0
    .kernarg_segment_align: 8
    .kernarg_segment_size: 144
    .language:       OpenCL C
    .language_version:
      - 2
      - 0
    .max_flat_workgroup_size: 32
    .name:           _ZL13mul_mat_vec_qIL9ggml_type7ELi4ELb0ELb0EEvPKvS2_PKi31ggml_cuda_mm_fusion_args_devicePfj15HIP_vector_typeIjLj3EEjjjS8_jjjS8_jjjj
    .private_segment_fixed_size: 0
    .sgpr_count:     28
    .sgpr_spill_count: 0
    .symbol:         _ZL13mul_mat_vec_qIL9ggml_type7ELi4ELb0ELb0EEvPKvS2_PKi31ggml_cuda_mm_fusion_args_devicePfj15HIP_vector_typeIjLj3EEjjjS8_jjjS8_jjjj.kd
    .uniform_work_group_size: 1
    .uses_dynamic_stack: false
    .vgpr_count:     61
    .vgpr_spill_count: 0
    .wavefront_size: 32
    .workgroup_processor_mode: 1
  - .args:
      - .address_space:  global
        .offset:         0
        .size:           8
        .value_kind:     global_buffer
      - .address_space:  global
        .offset:         8
        .size:           8
        .value_kind:     global_buffer
      - .address_space:  global
        .offset:         16
        .size:           8
        .value_kind:     global_buffer
      - .offset:         24
        .size:           32
        .value_kind:     by_value
      - .address_space:  global
        .offset:         56
        .size:           8
        .value_kind:     global_buffer
      - .offset:         64
        .size:           4
        .value_kind:     by_value
      - .offset:         68
        .size:           12
        .value_kind:     by_value
      - .offset:         80
        .size:           4
        .value_kind:     by_value
      - .offset:         84
        .size:           4
        .value_kind:     by_value
      - .offset:         88
        .size:           4
        .value_kind:     by_value
      - .offset:         92
        .size:           12
        .value_kind:     by_value
      - .offset:         104
        .size:           4
        .value_kind:     by_value
      - .offset:         108
        .size:           4
        .value_kind:     by_value
      - .offset:         112
        .size:           4
        .value_kind:     by_value
      - .offset:         116
        .size:           12
        .value_kind:     by_value
      - .offset:         128
        .size:           4
        .value_kind:     by_value
      - .offset:         132
        .size:           4
        .value_kind:     by_value
      - .offset:         136
        .size:           4
        .value_kind:     by_value
      - .offset:         140
        .size:           4
        .value_kind:     by_value
    .group_segment_fixed_size: 0
    .kernarg_segment_align: 8
    .kernarg_segment_size: 144
    .language:       OpenCL C
    .language_version:
      - 2
      - 0
    .max_flat_workgroup_size: 32
    .name:           _ZL13mul_mat_vec_qIL9ggml_type7ELi5ELb0ELb0EEvPKvS2_PKi31ggml_cuda_mm_fusion_args_devicePfj15HIP_vector_typeIjLj3EEjjjS8_jjjS8_jjjj
    .private_segment_fixed_size: 0
    .sgpr_count:     28
    .sgpr_spill_count: 0
    .symbol:         _ZL13mul_mat_vec_qIL9ggml_type7ELi5ELb0ELb0EEvPKvS2_PKi31ggml_cuda_mm_fusion_args_devicePfj15HIP_vector_typeIjLj3EEjjjS8_jjjS8_jjjj.kd
    .uniform_work_group_size: 1
    .uses_dynamic_stack: false
    .vgpr_count:     62
    .vgpr_spill_count: 0
    .wavefront_size: 32
    .workgroup_processor_mode: 1
  - .args:
      - .address_space:  global
        .offset:         0
        .size:           8
        .value_kind:     global_buffer
      - .address_space:  global
        .offset:         8
        .size:           8
        .value_kind:     global_buffer
      - .address_space:  global
        .offset:         16
        .size:           8
        .value_kind:     global_buffer
      - .offset:         24
        .size:           32
        .value_kind:     by_value
      - .address_space:  global
        .offset:         56
        .size:           8
        .value_kind:     global_buffer
      - .offset:         64
        .size:           4
        .value_kind:     by_value
      - .offset:         68
        .size:           12
        .value_kind:     by_value
      - .offset:         80
        .size:           4
        .value_kind:     by_value
      - .offset:         84
        .size:           4
        .value_kind:     by_value
      - .offset:         88
        .size:           4
        .value_kind:     by_value
      - .offset:         92
        .size:           12
        .value_kind:     by_value
      - .offset:         104
        .size:           4
        .value_kind:     by_value
      - .offset:         108
        .size:           4
        .value_kind:     by_value
      - .offset:         112
        .size:           4
        .value_kind:     by_value
      - .offset:         116
        .size:           12
        .value_kind:     by_value
      - .offset:         128
        .size:           4
        .value_kind:     by_value
      - .offset:         132
        .size:           4
        .value_kind:     by_value
      - .offset:         136
        .size:           4
        .value_kind:     by_value
      - .offset:         140
        .size:           4
        .value_kind:     by_value
    .group_segment_fixed_size: 0
    .kernarg_segment_align: 8
    .kernarg_segment_size: 144
    .language:       OpenCL C
    .language_version:
      - 2
      - 0
    .max_flat_workgroup_size: 32
    .name:           _ZL13mul_mat_vec_qIL9ggml_type7ELi6ELb0ELb0EEvPKvS2_PKi31ggml_cuda_mm_fusion_args_devicePfj15HIP_vector_typeIjLj3EEjjjS8_jjjS8_jjjj
    .private_segment_fixed_size: 0
    .sgpr_count:     28
    .sgpr_spill_count: 0
    .symbol:         _ZL13mul_mat_vec_qIL9ggml_type7ELi6ELb0ELb0EEvPKvS2_PKi31ggml_cuda_mm_fusion_args_devicePfj15HIP_vector_typeIjLj3EEjjjS8_jjjS8_jjjj.kd
    .uniform_work_group_size: 1
    .uses_dynamic_stack: false
    .vgpr_count:     62
    .vgpr_spill_count: 0
    .wavefront_size: 32
    .workgroup_processor_mode: 1
  - .args:
      - .address_space:  global
        .offset:         0
        .size:           8
        .value_kind:     global_buffer
      - .address_space:  global
        .offset:         8
        .size:           8
        .value_kind:     global_buffer
      - .address_space:  global
        .offset:         16
        .size:           8
        .value_kind:     global_buffer
      - .offset:         24
        .size:           32
        .value_kind:     by_value
      - .address_space:  global
        .offset:         56
        .size:           8
        .value_kind:     global_buffer
      - .offset:         64
        .size:           4
        .value_kind:     by_value
      - .offset:         68
        .size:           12
        .value_kind:     by_value
      - .offset:         80
        .size:           4
        .value_kind:     by_value
      - .offset:         84
        .size:           4
        .value_kind:     by_value
      - .offset:         88
        .size:           4
        .value_kind:     by_value
      - .offset:         92
        .size:           12
        .value_kind:     by_value
      - .offset:         104
        .size:           4
        .value_kind:     by_value
      - .offset:         108
        .size:           4
        .value_kind:     by_value
      - .offset:         112
        .size:           4
        .value_kind:     by_value
      - .offset:         116
        .size:           12
        .value_kind:     by_value
      - .offset:         128
        .size:           4
        .value_kind:     by_value
      - .offset:         132
        .size:           4
        .value_kind:     by_value
      - .offset:         136
        .size:           4
        .value_kind:     by_value
      - .offset:         140
        .size:           4
        .value_kind:     by_value
    .group_segment_fixed_size: 0
    .kernarg_segment_align: 8
    .kernarg_segment_size: 144
    .language:       OpenCL C
    .language_version:
      - 2
      - 0
    .max_flat_workgroup_size: 32
    .name:           _ZL13mul_mat_vec_qIL9ggml_type7ELi7ELb0ELb0EEvPKvS2_PKi31ggml_cuda_mm_fusion_args_devicePfj15HIP_vector_typeIjLj3EEjjjS8_jjjS8_jjjj
    .private_segment_fixed_size: 0
    .sgpr_count:     28
    .sgpr_spill_count: 0
    .symbol:         _ZL13mul_mat_vec_qIL9ggml_type7ELi7ELb0ELb0EEvPKvS2_PKi31ggml_cuda_mm_fusion_args_devicePfj15HIP_vector_typeIjLj3EEjjjS8_jjjS8_jjjj.kd
    .uniform_work_group_size: 1
    .uses_dynamic_stack: false
    .vgpr_count:     62
    .vgpr_spill_count: 0
    .wavefront_size: 32
    .workgroup_processor_mode: 1
  - .args:
      - .address_space:  global
        .offset:         0
        .size:           8
        .value_kind:     global_buffer
      - .address_space:  global
        .offset:         8
        .size:           8
        .value_kind:     global_buffer
      - .address_space:  global
        .offset:         16
        .size:           8
        .value_kind:     global_buffer
      - .offset:         24
        .size:           32
        .value_kind:     by_value
      - .address_space:  global
        .offset:         56
        .size:           8
        .value_kind:     global_buffer
      - .offset:         64
        .size:           4
        .value_kind:     by_value
      - .offset:         68
        .size:           12
        .value_kind:     by_value
      - .offset:         80
        .size:           4
        .value_kind:     by_value
      - .offset:         84
        .size:           4
        .value_kind:     by_value
      - .offset:         88
        .size:           4
        .value_kind:     by_value
      - .offset:         92
        .size:           12
        .value_kind:     by_value
      - .offset:         104
        .size:           4
        .value_kind:     by_value
      - .offset:         108
        .size:           4
        .value_kind:     by_value
      - .offset:         112
        .size:           4
        .value_kind:     by_value
      - .offset:         116
        .size:           12
        .value_kind:     by_value
      - .offset:         128
        .size:           4
        .value_kind:     by_value
      - .offset:         132
        .size:           4
        .value_kind:     by_value
      - .offset:         136
        .size:           4
        .value_kind:     by_value
      - .offset:         140
        .size:           4
        .value_kind:     by_value
    .group_segment_fixed_size: 0
    .kernarg_segment_align: 8
    .kernarg_segment_size: 144
    .language:       OpenCL C
    .language_version:
      - 2
      - 0
    .max_flat_workgroup_size: 32
    .name:           _ZL13mul_mat_vec_qIL9ggml_type7ELi8ELb0ELb0EEvPKvS2_PKi31ggml_cuda_mm_fusion_args_devicePfj15HIP_vector_typeIjLj3EEjjjS8_jjjS8_jjjj
    .private_segment_fixed_size: 0
    .sgpr_count:     28
    .sgpr_spill_count: 0
    .symbol:         _ZL13mul_mat_vec_qIL9ggml_type7ELi8ELb0ELb0EEvPKvS2_PKi31ggml_cuda_mm_fusion_args_devicePfj15HIP_vector_typeIjLj3EEjjjS8_jjjS8_jjjj.kd
    .uniform_work_group_size: 1
    .uses_dynamic_stack: false
    .vgpr_count:     67
    .vgpr_spill_count: 0
    .wavefront_size: 32
    .workgroup_processor_mode: 1
  - .args:
      - .address_space:  global
        .offset:         0
        .size:           8
        .value_kind:     global_buffer
      - .address_space:  global
        .offset:         8
        .size:           8
        .value_kind:     global_buffer
      - .address_space:  global
        .offset:         16
        .size:           8
        .value_kind:     global_buffer
      - .address_space:  global
        .offset:         24
        .size:           8
        .value_kind:     global_buffer
      - .offset:         32
        .size:           4
        .value_kind:     by_value
      - .offset:         36
        .size:           12
        .value_kind:     by_value
      - .offset:         48
        .size:           4
        .value_kind:     by_value
      - .offset:         52
        .size:           4
        .value_kind:     by_value
      - .offset:         56
        .size:           4
        .value_kind:     by_value
      - .offset:         60
        .size:           4
        .value_kind:     by_value
      - .offset:         64
        .size:           4
        .value_kind:     by_value
      - .offset:         68
        .size:           4
        .value_kind:     by_value
      - .offset:         72
        .size:           4
        .value_kind:     by_value
      - .offset:         76
        .size:           4
        .value_kind:     by_value
      - .offset:         80
        .size:           4
        .value_kind:     by_value
    .group_segment_fixed_size: 0
    .kernarg_segment_align: 8
    .kernarg_segment_size: 84
    .language:       OpenCL C
    .language_version:
      - 2
      - 0
    .max_flat_workgroup_size: 256
    .name:           _ZL17mul_mat_vec_q_moeIL9ggml_type8ELi2EEvPKvS2_PKiPfj15HIP_vector_typeIjLj3EEjjjjjjjjj
    .private_segment_fixed_size: 0
    .sgpr_count:     30
    .sgpr_spill_count: 0
    .symbol:         _ZL17mul_mat_vec_q_moeIL9ggml_type8ELi2EEvPKvS2_PKiPfj15HIP_vector_typeIjLj3EEjjjjjjjjj.kd
    .uniform_work_group_size: 1
    .uses_dynamic_stack: false
    .vgpr_count:     22
    .vgpr_spill_count: 0
    .wavefront_size: 32
    .workgroup_processor_mode: 1
  - .args:
      - .address_space:  global
        .offset:         0
        .size:           8
        .value_kind:     global_buffer
      - .address_space:  global
        .offset:         8
        .size:           8
        .value_kind:     global_buffer
      - .address_space:  global
        .offset:         16
        .size:           8
        .value_kind:     global_buffer
      - .offset:         24
        .size:           32
        .value_kind:     by_value
      - .address_space:  global
        .offset:         56
        .size:           8
        .value_kind:     global_buffer
      - .offset:         64
        .size:           4
        .value_kind:     by_value
      - .offset:         68
        .size:           12
        .value_kind:     by_value
      - .offset:         80
        .size:           4
        .value_kind:     by_value
      - .offset:         84
        .size:           4
        .value_kind:     by_value
      - .offset:         88
        .size:           4
        .value_kind:     by_value
      - .offset:         92
        .size:           12
        .value_kind:     by_value
      - .offset:         104
        .size:           4
        .value_kind:     by_value
      - .offset:         108
        .size:           4
        .value_kind:     by_value
      - .offset:         112
        .size:           4
        .value_kind:     by_value
      - .offset:         116
        .size:           12
        .value_kind:     by_value
      - .offset:         128
        .size:           4
        .value_kind:     by_value
      - .offset:         132
        .size:           4
        .value_kind:     by_value
      - .offset:         136
        .size:           4
        .value_kind:     by_value
      - .offset:         140
        .size:           4
        .value_kind:     by_value
    .group_segment_fixed_size: 0
    .kernarg_segment_align: 8
    .kernarg_segment_size: 144
    .language:       OpenCL C
    .language_version:
      - 2
      - 0
    .max_flat_workgroup_size: 32
    .name:           _ZL13mul_mat_vec_qIL9ggml_type8ELi1ELb1ELb1EEvPKvS2_PKi31ggml_cuda_mm_fusion_args_devicePfj15HIP_vector_typeIjLj3EEjjjS8_jjjS8_jjjj
    .private_segment_fixed_size: 0
    .sgpr_count:     42
    .sgpr_spill_count: 0
    .symbol:         _ZL13mul_mat_vec_qIL9ggml_type8ELi1ELb1ELb1EEvPKvS2_PKi31ggml_cuda_mm_fusion_args_devicePfj15HIP_vector_typeIjLj3EEjjjS8_jjjS8_jjjj.kd
    .uniform_work_group_size: 1
    .uses_dynamic_stack: false
    .vgpr_count:     22
    .vgpr_spill_count: 0
    .wavefront_size: 32
    .workgroup_processor_mode: 1
  - .args:
      - .address_space:  global
        .offset:         0
        .size:           8
        .value_kind:     global_buffer
      - .address_space:  global
        .offset:         8
        .size:           8
        .value_kind:     global_buffer
      - .address_space:  global
        .offset:         16
        .size:           8
        .value_kind:     global_buffer
      - .offset:         24
        .size:           32
        .value_kind:     by_value
      - .address_space:  global
        .offset:         56
        .size:           8
        .value_kind:     global_buffer
      - .offset:         64
        .size:           4
        .value_kind:     by_value
      - .offset:         68
        .size:           12
        .value_kind:     by_value
      - .offset:         80
        .size:           4
        .value_kind:     by_value
      - .offset:         84
        .size:           4
        .value_kind:     by_value
      - .offset:         88
        .size:           4
        .value_kind:     by_value
      - .offset:         92
        .size:           12
        .value_kind:     by_value
      - .offset:         104
        .size:           4
        .value_kind:     by_value
      - .offset:         108
        .size:           4
        .value_kind:     by_value
      - .offset:         112
        .size:           4
        .value_kind:     by_value
      - .offset:         116
        .size:           12
        .value_kind:     by_value
      - .offset:         128
        .size:           4
        .value_kind:     by_value
      - .offset:         132
        .size:           4
        .value_kind:     by_value
      - .offset:         136
        .size:           4
        .value_kind:     by_value
      - .offset:         140
        .size:           4
        .value_kind:     by_value
    .group_segment_fixed_size: 0
    .kernarg_segment_align: 8
    .kernarg_segment_size: 144
    .language:       OpenCL C
    .language_version:
      - 2
      - 0
    .max_flat_workgroup_size: 32
    .name:           _ZL13mul_mat_vec_qIL9ggml_type8ELi1ELb0ELb1EEvPKvS2_PKi31ggml_cuda_mm_fusion_args_devicePfj15HIP_vector_typeIjLj3EEjjjS8_jjjS8_jjjj
    .private_segment_fixed_size: 0
    .sgpr_count:     25
    .sgpr_spill_count: 0
    .symbol:         _ZL13mul_mat_vec_qIL9ggml_type8ELi1ELb0ELb1EEvPKvS2_PKi31ggml_cuda_mm_fusion_args_devicePfj15HIP_vector_typeIjLj3EEjjjS8_jjjS8_jjjj.kd
    .uniform_work_group_size: 1
    .uses_dynamic_stack: false
    .vgpr_count:     15
    .vgpr_spill_count: 0
    .wavefront_size: 32
    .workgroup_processor_mode: 1
  - .args:
      - .address_space:  global
        .offset:         0
        .size:           8
        .value_kind:     global_buffer
      - .address_space:  global
        .offset:         8
        .size:           8
        .value_kind:     global_buffer
      - .address_space:  global
        .offset:         16
        .size:           8
        .value_kind:     global_buffer
      - .offset:         24
        .size:           32
        .value_kind:     by_value
      - .address_space:  global
        .offset:         56
        .size:           8
        .value_kind:     global_buffer
      - .offset:         64
        .size:           4
        .value_kind:     by_value
      - .offset:         68
        .size:           12
        .value_kind:     by_value
      - .offset:         80
        .size:           4
        .value_kind:     by_value
      - .offset:         84
        .size:           4
        .value_kind:     by_value
      - .offset:         88
        .size:           4
        .value_kind:     by_value
      - .offset:         92
        .size:           12
        .value_kind:     by_value
      - .offset:         104
        .size:           4
        .value_kind:     by_value
      - .offset:         108
        .size:           4
        .value_kind:     by_value
      - .offset:         112
        .size:           4
        .value_kind:     by_value
      - .offset:         116
        .size:           12
        .value_kind:     by_value
      - .offset:         128
        .size:           4
        .value_kind:     by_value
      - .offset:         132
        .size:           4
        .value_kind:     by_value
      - .offset:         136
        .size:           4
        .value_kind:     by_value
      - .offset:         140
        .size:           4
        .value_kind:     by_value
    .group_segment_fixed_size: 0
    .kernarg_segment_align: 8
    .kernarg_segment_size: 144
    .language:       OpenCL C
    .language_version:
      - 2
      - 0
    .max_flat_workgroup_size: 32
    .name:           _ZL13mul_mat_vec_qIL9ggml_type8ELi1ELb1ELb0EEvPKvS2_PKi31ggml_cuda_mm_fusion_args_devicePfj15HIP_vector_typeIjLj3EEjjjS8_jjjS8_jjjj
    .private_segment_fixed_size: 0
    .sgpr_count:     42
    .sgpr_spill_count: 0
    .symbol:         _ZL13mul_mat_vec_qIL9ggml_type8ELi1ELb1ELb0EEvPKvS2_PKi31ggml_cuda_mm_fusion_args_devicePfj15HIP_vector_typeIjLj3EEjjjS8_jjjS8_jjjj.kd
    .uniform_work_group_size: 1
    .uses_dynamic_stack: false
    .vgpr_count:     22
    .vgpr_spill_count: 0
    .wavefront_size: 32
    .workgroup_processor_mode: 1
  - .args:
      - .address_space:  global
        .offset:         0
        .size:           8
        .value_kind:     global_buffer
      - .address_space:  global
        .offset:         8
        .size:           8
        .value_kind:     global_buffer
      - .address_space:  global
        .offset:         16
        .size:           8
        .value_kind:     global_buffer
      - .offset:         24
        .size:           32
        .value_kind:     by_value
      - .address_space:  global
        .offset:         56
        .size:           8
        .value_kind:     global_buffer
      - .offset:         64
        .size:           4
        .value_kind:     by_value
      - .offset:         68
        .size:           12
        .value_kind:     by_value
      - .offset:         80
        .size:           4
        .value_kind:     by_value
      - .offset:         84
        .size:           4
        .value_kind:     by_value
      - .offset:         88
        .size:           4
        .value_kind:     by_value
      - .offset:         92
        .size:           12
        .value_kind:     by_value
      - .offset:         104
        .size:           4
        .value_kind:     by_value
      - .offset:         108
        .size:           4
        .value_kind:     by_value
      - .offset:         112
        .size:           4
        .value_kind:     by_value
      - .offset:         116
        .size:           12
        .value_kind:     by_value
      - .offset:         128
        .size:           4
        .value_kind:     by_value
      - .offset:         132
        .size:           4
        .value_kind:     by_value
      - .offset:         136
        .size:           4
        .value_kind:     by_value
      - .offset:         140
        .size:           4
        .value_kind:     by_value
    .group_segment_fixed_size: 0
    .kernarg_segment_align: 8
    .kernarg_segment_size: 144
    .language:       OpenCL C
    .language_version:
      - 2
      - 0
    .max_flat_workgroup_size: 32
    .name:           _ZL13mul_mat_vec_qIL9ggml_type8ELi1ELb0ELb0EEvPKvS2_PKi31ggml_cuda_mm_fusion_args_devicePfj15HIP_vector_typeIjLj3EEjjjS8_jjjS8_jjjj
    .private_segment_fixed_size: 0
    .sgpr_count:     25
    .sgpr_spill_count: 0
    .symbol:         _ZL13mul_mat_vec_qIL9ggml_type8ELi1ELb0ELb0EEvPKvS2_PKi31ggml_cuda_mm_fusion_args_devicePfj15HIP_vector_typeIjLj3EEjjjS8_jjjS8_jjjj.kd
    .uniform_work_group_size: 1
    .uses_dynamic_stack: false
    .vgpr_count:     15
    .vgpr_spill_count: 0
    .wavefront_size: 32
    .workgroup_processor_mode: 1
  - .args:
      - .address_space:  global
        .offset:         0
        .size:           8
        .value_kind:     global_buffer
      - .address_space:  global
        .offset:         8
        .size:           8
        .value_kind:     global_buffer
      - .address_space:  global
        .offset:         16
        .size:           8
        .value_kind:     global_buffer
      - .offset:         24
        .size:           32
        .value_kind:     by_value
      - .address_space:  global
        .offset:         56
        .size:           8
        .value_kind:     global_buffer
      - .offset:         64
        .size:           4
        .value_kind:     by_value
      - .offset:         68
        .size:           12
        .value_kind:     by_value
      - .offset:         80
        .size:           4
        .value_kind:     by_value
      - .offset:         84
        .size:           4
        .value_kind:     by_value
      - .offset:         88
        .size:           4
        .value_kind:     by_value
      - .offset:         92
        .size:           12
        .value_kind:     by_value
      - .offset:         104
        .size:           4
        .value_kind:     by_value
      - .offset:         108
        .size:           4
        .value_kind:     by_value
      - .offset:         112
        .size:           4
        .value_kind:     by_value
      - .offset:         116
        .size:           12
        .value_kind:     by_value
      - .offset:         128
        .size:           4
        .value_kind:     by_value
      - .offset:         132
        .size:           4
        .value_kind:     by_value
      - .offset:         136
        .size:           4
        .value_kind:     by_value
      - .offset:         140
        .size:           4
        .value_kind:     by_value
    .group_segment_fixed_size: 0
    .kernarg_segment_align: 8
    .kernarg_segment_size: 144
    .language:       OpenCL C
    .language_version:
      - 2
      - 0
    .max_flat_workgroup_size: 32
    .name:           _ZL13mul_mat_vec_qIL9ggml_type8ELi2ELb0ELb0EEvPKvS2_PKi31ggml_cuda_mm_fusion_args_devicePfj15HIP_vector_typeIjLj3EEjjjS8_jjjS8_jjjj
    .private_segment_fixed_size: 0
    .sgpr_count:     28
    .sgpr_spill_count: 0
    .symbol:         _ZL13mul_mat_vec_qIL9ggml_type8ELi2ELb0ELb0EEvPKvS2_PKi31ggml_cuda_mm_fusion_args_devicePfj15HIP_vector_typeIjLj3EEjjjS8_jjjS8_jjjj.kd
    .uniform_work_group_size: 1
    .uses_dynamic_stack: false
    .vgpr_count:     21
    .vgpr_spill_count: 0
    .wavefront_size: 32
    .workgroup_processor_mode: 1
  - .args:
      - .address_space:  global
        .offset:         0
        .size:           8
        .value_kind:     global_buffer
      - .address_space:  global
        .offset:         8
        .size:           8
        .value_kind:     global_buffer
      - .address_space:  global
        .offset:         16
        .size:           8
        .value_kind:     global_buffer
      - .offset:         24
        .size:           32
        .value_kind:     by_value
      - .address_space:  global
        .offset:         56
        .size:           8
        .value_kind:     global_buffer
      - .offset:         64
        .size:           4
        .value_kind:     by_value
      - .offset:         68
        .size:           12
        .value_kind:     by_value
      - .offset:         80
        .size:           4
        .value_kind:     by_value
      - .offset:         84
        .size:           4
        .value_kind:     by_value
      - .offset:         88
        .size:           4
        .value_kind:     by_value
      - .offset:         92
        .size:           12
        .value_kind:     by_value
      - .offset:         104
        .size:           4
        .value_kind:     by_value
      - .offset:         108
        .size:           4
        .value_kind:     by_value
      - .offset:         112
        .size:           4
        .value_kind:     by_value
      - .offset:         116
        .size:           12
        .value_kind:     by_value
      - .offset:         128
        .size:           4
        .value_kind:     by_value
      - .offset:         132
        .size:           4
        .value_kind:     by_value
      - .offset:         136
        .size:           4
        .value_kind:     by_value
      - .offset:         140
        .size:           4
        .value_kind:     by_value
    .group_segment_fixed_size: 0
    .kernarg_segment_align: 8
    .kernarg_segment_size: 144
    .language:       OpenCL C
    .language_version:
      - 2
      - 0
    .max_flat_workgroup_size: 32
    .name:           _ZL13mul_mat_vec_qIL9ggml_type8ELi3ELb0ELb0EEvPKvS2_PKi31ggml_cuda_mm_fusion_args_devicePfj15HIP_vector_typeIjLj3EEjjjS8_jjjS8_jjjj
    .private_segment_fixed_size: 0
    .sgpr_count:     28
    .sgpr_spill_count: 0
    .symbol:         _ZL13mul_mat_vec_qIL9ggml_type8ELi3ELb0ELb0EEvPKvS2_PKi31ggml_cuda_mm_fusion_args_devicePfj15HIP_vector_typeIjLj3EEjjjS8_jjjS8_jjjj.kd
    .uniform_work_group_size: 1
    .uses_dynamic_stack: false
    .vgpr_count:     27
    .vgpr_spill_count: 0
    .wavefront_size: 32
    .workgroup_processor_mode: 1
  - .args:
      - .address_space:  global
        .offset:         0
        .size:           8
        .value_kind:     global_buffer
      - .address_space:  global
        .offset:         8
        .size:           8
        .value_kind:     global_buffer
      - .address_space:  global
        .offset:         16
        .size:           8
        .value_kind:     global_buffer
      - .offset:         24
        .size:           32
        .value_kind:     by_value
      - .address_space:  global
        .offset:         56
        .size:           8
        .value_kind:     global_buffer
      - .offset:         64
        .size:           4
        .value_kind:     by_value
      - .offset:         68
        .size:           12
        .value_kind:     by_value
      - .offset:         80
        .size:           4
        .value_kind:     by_value
      - .offset:         84
        .size:           4
        .value_kind:     by_value
      - .offset:         88
        .size:           4
        .value_kind:     by_value
      - .offset:         92
        .size:           12
        .value_kind:     by_value
      - .offset:         104
        .size:           4
        .value_kind:     by_value
      - .offset:         108
        .size:           4
        .value_kind:     by_value
      - .offset:         112
        .size:           4
        .value_kind:     by_value
      - .offset:         116
        .size:           12
        .value_kind:     by_value
      - .offset:         128
        .size:           4
        .value_kind:     by_value
      - .offset:         132
        .size:           4
        .value_kind:     by_value
      - .offset:         136
        .size:           4
        .value_kind:     by_value
      - .offset:         140
        .size:           4
        .value_kind:     by_value
    .group_segment_fixed_size: 0
    .kernarg_segment_align: 8
    .kernarg_segment_size: 144
    .language:       OpenCL C
    .language_version:
      - 2
      - 0
    .max_flat_workgroup_size: 32
    .name:           _ZL13mul_mat_vec_qIL9ggml_type8ELi4ELb0ELb0EEvPKvS2_PKi31ggml_cuda_mm_fusion_args_devicePfj15HIP_vector_typeIjLj3EEjjjS8_jjjS8_jjjj
    .private_segment_fixed_size: 0
    .sgpr_count:     28
    .sgpr_spill_count: 0
    .symbol:         _ZL13mul_mat_vec_qIL9ggml_type8ELi4ELb0ELb0EEvPKvS2_PKi31ggml_cuda_mm_fusion_args_devicePfj15HIP_vector_typeIjLj3EEjjjS8_jjjS8_jjjj.kd
    .uniform_work_group_size: 1
    .uses_dynamic_stack: false
    .vgpr_count:     34
    .vgpr_spill_count: 0
    .wavefront_size: 32
    .workgroup_processor_mode: 1
  - .args:
      - .address_space:  global
        .offset:         0
        .size:           8
        .value_kind:     global_buffer
      - .address_space:  global
        .offset:         8
        .size:           8
        .value_kind:     global_buffer
      - .address_space:  global
        .offset:         16
        .size:           8
        .value_kind:     global_buffer
      - .offset:         24
        .size:           32
        .value_kind:     by_value
      - .address_space:  global
        .offset:         56
        .size:           8
        .value_kind:     global_buffer
      - .offset:         64
        .size:           4
        .value_kind:     by_value
      - .offset:         68
        .size:           12
        .value_kind:     by_value
      - .offset:         80
        .size:           4
        .value_kind:     by_value
      - .offset:         84
        .size:           4
        .value_kind:     by_value
      - .offset:         88
        .size:           4
        .value_kind:     by_value
      - .offset:         92
        .size:           12
        .value_kind:     by_value
      - .offset:         104
        .size:           4
        .value_kind:     by_value
      - .offset:         108
        .size:           4
        .value_kind:     by_value
      - .offset:         112
        .size:           4
        .value_kind:     by_value
      - .offset:         116
        .size:           12
        .value_kind:     by_value
      - .offset:         128
        .size:           4
        .value_kind:     by_value
      - .offset:         132
        .size:           4
        .value_kind:     by_value
      - .offset:         136
        .size:           4
        .value_kind:     by_value
      - .offset:         140
        .size:           4
        .value_kind:     by_value
    .group_segment_fixed_size: 0
    .kernarg_segment_align: 8
    .kernarg_segment_size: 144
    .language:       OpenCL C
    .language_version:
      - 2
      - 0
    .max_flat_workgroup_size: 32
    .name:           _ZL13mul_mat_vec_qIL9ggml_type8ELi5ELb0ELb0EEvPKvS2_PKi31ggml_cuda_mm_fusion_args_devicePfj15HIP_vector_typeIjLj3EEjjjS8_jjjS8_jjjj
    .private_segment_fixed_size: 0
    .sgpr_count:     28
    .sgpr_spill_count: 0
    .symbol:         _ZL13mul_mat_vec_qIL9ggml_type8ELi5ELb0ELb0EEvPKvS2_PKi31ggml_cuda_mm_fusion_args_devicePfj15HIP_vector_typeIjLj3EEjjjS8_jjjS8_jjjj.kd
    .uniform_work_group_size: 1
    .uses_dynamic_stack: false
    .vgpr_count:     37
    .vgpr_spill_count: 0
    .wavefront_size: 32
    .workgroup_processor_mode: 1
  - .args:
      - .address_space:  global
        .offset:         0
        .size:           8
        .value_kind:     global_buffer
      - .address_space:  global
        .offset:         8
        .size:           8
        .value_kind:     global_buffer
      - .address_space:  global
        .offset:         16
        .size:           8
        .value_kind:     global_buffer
      - .offset:         24
        .size:           32
        .value_kind:     by_value
      - .address_space:  global
        .offset:         56
        .size:           8
        .value_kind:     global_buffer
      - .offset:         64
        .size:           4
        .value_kind:     by_value
      - .offset:         68
        .size:           12
        .value_kind:     by_value
      - .offset:         80
        .size:           4
        .value_kind:     by_value
      - .offset:         84
        .size:           4
        .value_kind:     by_value
      - .offset:         88
        .size:           4
        .value_kind:     by_value
      - .offset:         92
        .size:           12
        .value_kind:     by_value
      - .offset:         104
        .size:           4
        .value_kind:     by_value
      - .offset:         108
        .size:           4
        .value_kind:     by_value
      - .offset:         112
        .size:           4
        .value_kind:     by_value
      - .offset:         116
        .size:           12
        .value_kind:     by_value
      - .offset:         128
        .size:           4
        .value_kind:     by_value
      - .offset:         132
        .size:           4
        .value_kind:     by_value
      - .offset:         136
        .size:           4
        .value_kind:     by_value
      - .offset:         140
        .size:           4
        .value_kind:     by_value
    .group_segment_fixed_size: 0
    .kernarg_segment_align: 8
    .kernarg_segment_size: 144
    .language:       OpenCL C
    .language_version:
      - 2
      - 0
    .max_flat_workgroup_size: 32
    .name:           _ZL13mul_mat_vec_qIL9ggml_type8ELi6ELb0ELb0EEvPKvS2_PKi31ggml_cuda_mm_fusion_args_devicePfj15HIP_vector_typeIjLj3EEjjjS8_jjjS8_jjjj
    .private_segment_fixed_size: 0
    .sgpr_count:     28
    .sgpr_spill_count: 0
    .symbol:         _ZL13mul_mat_vec_qIL9ggml_type8ELi6ELb0ELb0EEvPKvS2_PKi31ggml_cuda_mm_fusion_args_devicePfj15HIP_vector_typeIjLj3EEjjjS8_jjjS8_jjjj.kd
    .uniform_work_group_size: 1
    .uses_dynamic_stack: false
    .vgpr_count:     44
    .vgpr_spill_count: 0
    .wavefront_size: 32
    .workgroup_processor_mode: 1
  - .args:
      - .address_space:  global
        .offset:         0
        .size:           8
        .value_kind:     global_buffer
      - .address_space:  global
        .offset:         8
        .size:           8
        .value_kind:     global_buffer
      - .address_space:  global
        .offset:         16
        .size:           8
        .value_kind:     global_buffer
      - .offset:         24
        .size:           32
        .value_kind:     by_value
      - .address_space:  global
        .offset:         56
        .size:           8
        .value_kind:     global_buffer
      - .offset:         64
        .size:           4
        .value_kind:     by_value
      - .offset:         68
        .size:           12
        .value_kind:     by_value
      - .offset:         80
        .size:           4
        .value_kind:     by_value
      - .offset:         84
        .size:           4
        .value_kind:     by_value
      - .offset:         88
        .size:           4
        .value_kind:     by_value
      - .offset:         92
        .size:           12
        .value_kind:     by_value
      - .offset:         104
        .size:           4
        .value_kind:     by_value
      - .offset:         108
        .size:           4
        .value_kind:     by_value
      - .offset:         112
        .size:           4
        .value_kind:     by_value
      - .offset:         116
        .size:           12
        .value_kind:     by_value
      - .offset:         128
        .size:           4
        .value_kind:     by_value
      - .offset:         132
        .size:           4
        .value_kind:     by_value
      - .offset:         136
        .size:           4
        .value_kind:     by_value
      - .offset:         140
        .size:           4
        .value_kind:     by_value
    .group_segment_fixed_size: 0
    .kernarg_segment_align: 8
    .kernarg_segment_size: 144
    .language:       OpenCL C
    .language_version:
      - 2
      - 0
    .max_flat_workgroup_size: 32
    .name:           _ZL13mul_mat_vec_qIL9ggml_type8ELi7ELb0ELb0EEvPKvS2_PKi31ggml_cuda_mm_fusion_args_devicePfj15HIP_vector_typeIjLj3EEjjjS8_jjjS8_jjjj
    .private_segment_fixed_size: 0
    .sgpr_count:     28
    .sgpr_spill_count: 0
    .symbol:         _ZL13mul_mat_vec_qIL9ggml_type8ELi7ELb0ELb0EEvPKvS2_PKi31ggml_cuda_mm_fusion_args_devicePfj15HIP_vector_typeIjLj3EEjjjS8_jjjS8_jjjj.kd
    .uniform_work_group_size: 1
    .uses_dynamic_stack: false
    .vgpr_count:     47
    .vgpr_spill_count: 0
    .wavefront_size: 32
    .workgroup_processor_mode: 1
  - .args:
      - .address_space:  global
        .offset:         0
        .size:           8
        .value_kind:     global_buffer
      - .address_space:  global
        .offset:         8
        .size:           8
        .value_kind:     global_buffer
      - .address_space:  global
        .offset:         16
        .size:           8
        .value_kind:     global_buffer
      - .offset:         24
        .size:           32
        .value_kind:     by_value
      - .address_space:  global
        .offset:         56
        .size:           8
        .value_kind:     global_buffer
      - .offset:         64
        .size:           4
        .value_kind:     by_value
      - .offset:         68
        .size:           12
        .value_kind:     by_value
      - .offset:         80
        .size:           4
        .value_kind:     by_value
      - .offset:         84
        .size:           4
        .value_kind:     by_value
      - .offset:         88
        .size:           4
        .value_kind:     by_value
      - .offset:         92
        .size:           12
        .value_kind:     by_value
      - .offset:         104
        .size:           4
        .value_kind:     by_value
      - .offset:         108
        .size:           4
        .value_kind:     by_value
      - .offset:         112
        .size:           4
        .value_kind:     by_value
      - .offset:         116
        .size:           12
        .value_kind:     by_value
      - .offset:         128
        .size:           4
        .value_kind:     by_value
      - .offset:         132
        .size:           4
        .value_kind:     by_value
      - .offset:         136
        .size:           4
        .value_kind:     by_value
      - .offset:         140
        .size:           4
        .value_kind:     by_value
    .group_segment_fixed_size: 0
    .kernarg_segment_align: 8
    .kernarg_segment_size: 144
    .language:       OpenCL C
    .language_version:
      - 2
      - 0
    .max_flat_workgroup_size: 32
    .name:           _ZL13mul_mat_vec_qIL9ggml_type8ELi8ELb0ELb0EEvPKvS2_PKi31ggml_cuda_mm_fusion_args_devicePfj15HIP_vector_typeIjLj3EEjjjS8_jjjS8_jjjj
    .private_segment_fixed_size: 0
    .sgpr_count:     28
    .sgpr_spill_count: 0
    .symbol:         _ZL13mul_mat_vec_qIL9ggml_type8ELi8ELb0ELb0EEvPKvS2_PKi31ggml_cuda_mm_fusion_args_devicePfj15HIP_vector_typeIjLj3EEjjjS8_jjjS8_jjjj.kd
    .uniform_work_group_size: 1
    .uses_dynamic_stack: false
    .vgpr_count:     54
    .vgpr_spill_count: 0
    .wavefront_size: 32
    .workgroup_processor_mode: 1
  - .args:
      - .address_space:  global
        .offset:         0
        .size:           8
        .value_kind:     global_buffer
      - .address_space:  global
        .offset:         8
        .size:           8
        .value_kind:     global_buffer
      - .address_space:  global
        .offset:         16
        .size:           8
        .value_kind:     global_buffer
      - .address_space:  global
        .offset:         24
        .size:           8
        .value_kind:     global_buffer
      - .offset:         32
        .size:           4
        .value_kind:     by_value
      - .offset:         36
        .size:           12
        .value_kind:     by_value
      - .offset:         48
        .size:           4
        .value_kind:     by_value
      - .offset:         52
        .size:           4
        .value_kind:     by_value
      - .offset:         56
        .size:           4
        .value_kind:     by_value
      - .offset:         60
        .size:           4
        .value_kind:     by_value
      - .offset:         64
        .size:           4
        .value_kind:     by_value
      - .offset:         68
        .size:           4
        .value_kind:     by_value
      - .offset:         72
        .size:           4
        .value_kind:     by_value
      - .offset:         76
        .size:           4
        .value_kind:     by_value
      - .offset:         80
        .size:           4
        .value_kind:     by_value
    .group_segment_fixed_size: 0
    .kernarg_segment_align: 8
    .kernarg_segment_size: 84
    .language:       OpenCL C
    .language_version:
      - 2
      - 0
    .max_flat_workgroup_size: 256
    .name:           _ZL17mul_mat_vec_q_moeIL9ggml_type39ELi2EEvPKvS2_PKiPfj15HIP_vector_typeIjLj3EEjjjjjjjjj
    .private_segment_fixed_size: 0
    .sgpr_count:     30
    .sgpr_spill_count: 0
    .symbol:         _ZL17mul_mat_vec_q_moeIL9ggml_type39ELi2EEvPKvS2_PKiPfj15HIP_vector_typeIjLj3EEjjjjjjjjj.kd
    .uniform_work_group_size: 1
    .uses_dynamic_stack: false
    .vgpr_count:     41
    .vgpr_spill_count: 0
    .wavefront_size: 32
    .workgroup_processor_mode: 1
  - .args:
      - .address_space:  global
        .offset:         0
        .size:           8
        .value_kind:     global_buffer
      - .address_space:  global
        .offset:         8
        .size:           8
        .value_kind:     global_buffer
      - .address_space:  global
        .offset:         16
        .size:           8
        .value_kind:     global_buffer
      - .offset:         24
        .size:           32
        .value_kind:     by_value
      - .address_space:  global
        .offset:         56
        .size:           8
        .value_kind:     global_buffer
      - .offset:         64
        .size:           4
        .value_kind:     by_value
      - .offset:         68
        .size:           12
        .value_kind:     by_value
      - .offset:         80
        .size:           4
        .value_kind:     by_value
      - .offset:         84
        .size:           4
        .value_kind:     by_value
      - .offset:         88
        .size:           4
        .value_kind:     by_value
      - .offset:         92
        .size:           12
        .value_kind:     by_value
      - .offset:         104
        .size:           4
        .value_kind:     by_value
      - .offset:         108
        .size:           4
        .value_kind:     by_value
      - .offset:         112
        .size:           4
        .value_kind:     by_value
      - .offset:         116
        .size:           12
        .value_kind:     by_value
      - .offset:         128
        .size:           4
        .value_kind:     by_value
      - .offset:         132
        .size:           4
        .value_kind:     by_value
      - .offset:         136
        .size:           4
        .value_kind:     by_value
      - .offset:         140
        .size:           4
        .value_kind:     by_value
    .group_segment_fixed_size: 0
    .kernarg_segment_align: 8
    .kernarg_segment_size: 144
    .language:       OpenCL C
    .language_version:
      - 2
      - 0
    .max_flat_workgroup_size: 32
    .name:           _ZL13mul_mat_vec_qIL9ggml_type39ELi1ELb1ELb1EEvPKvS2_PKi31ggml_cuda_mm_fusion_args_devicePfj15HIP_vector_typeIjLj3EEjjjS8_jjjS8_jjjj
    .private_segment_fixed_size: 0
    .sgpr_count:     42
    .sgpr_spill_count: 0
    .symbol:         _ZL13mul_mat_vec_qIL9ggml_type39ELi1ELb1ELb1EEvPKvS2_PKi31ggml_cuda_mm_fusion_args_devicePfj15HIP_vector_typeIjLj3EEjjjS8_jjjS8_jjjj.kd
    .uniform_work_group_size: 1
    .uses_dynamic_stack: false
    .vgpr_count:     35
    .vgpr_spill_count: 0
    .wavefront_size: 32
    .workgroup_processor_mode: 1
  - .args:
      - .address_space:  global
        .offset:         0
        .size:           8
        .value_kind:     global_buffer
      - .address_space:  global
        .offset:         8
        .size:           8
        .value_kind:     global_buffer
      - .address_space:  global
        .offset:         16
        .size:           8
        .value_kind:     global_buffer
      - .offset:         24
        .size:           32
        .value_kind:     by_value
      - .address_space:  global
        .offset:         56
        .size:           8
        .value_kind:     global_buffer
      - .offset:         64
        .size:           4
        .value_kind:     by_value
      - .offset:         68
        .size:           12
        .value_kind:     by_value
      - .offset:         80
        .size:           4
        .value_kind:     by_value
      - .offset:         84
        .size:           4
        .value_kind:     by_value
      - .offset:         88
        .size:           4
        .value_kind:     by_value
      - .offset:         92
        .size:           12
        .value_kind:     by_value
      - .offset:         104
        .size:           4
        .value_kind:     by_value
      - .offset:         108
        .size:           4
        .value_kind:     by_value
      - .offset:         112
        .size:           4
        .value_kind:     by_value
      - .offset:         116
        .size:           12
        .value_kind:     by_value
      - .offset:         128
        .size:           4
        .value_kind:     by_value
      - .offset:         132
        .size:           4
        .value_kind:     by_value
      - .offset:         136
        .size:           4
        .value_kind:     by_value
      - .offset:         140
        .size:           4
        .value_kind:     by_value
    .group_segment_fixed_size: 0
    .kernarg_segment_align: 8
    .kernarg_segment_size: 144
    .language:       OpenCL C
    .language_version:
      - 2
      - 0
    .max_flat_workgroup_size: 32
    .name:           _ZL13mul_mat_vec_qIL9ggml_type39ELi1ELb0ELb1EEvPKvS2_PKi31ggml_cuda_mm_fusion_args_devicePfj15HIP_vector_typeIjLj3EEjjjS8_jjjS8_jjjj
    .private_segment_fixed_size: 0
    .sgpr_count:     25
    .sgpr_spill_count: 0
    .symbol:         _ZL13mul_mat_vec_qIL9ggml_type39ELi1ELb0ELb1EEvPKvS2_PKi31ggml_cuda_mm_fusion_args_devicePfj15HIP_vector_typeIjLj3EEjjjS8_jjjS8_jjjj.kd
    .uniform_work_group_size: 1
    .uses_dynamic_stack: false
    .vgpr_count:     27
    .vgpr_spill_count: 0
    .wavefront_size: 32
    .workgroup_processor_mode: 1
  - .args:
      - .address_space:  global
        .offset:         0
        .size:           8
        .value_kind:     global_buffer
      - .address_space:  global
        .offset:         8
        .size:           8
        .value_kind:     global_buffer
      - .address_space:  global
        .offset:         16
        .size:           8
        .value_kind:     global_buffer
      - .offset:         24
        .size:           32
        .value_kind:     by_value
      - .address_space:  global
        .offset:         56
        .size:           8
        .value_kind:     global_buffer
      - .offset:         64
        .size:           4
        .value_kind:     by_value
      - .offset:         68
        .size:           12
        .value_kind:     by_value
      - .offset:         80
        .size:           4
        .value_kind:     by_value
      - .offset:         84
        .size:           4
        .value_kind:     by_value
      - .offset:         88
        .size:           4
        .value_kind:     by_value
      - .offset:         92
        .size:           12
        .value_kind:     by_value
      - .offset:         104
        .size:           4
        .value_kind:     by_value
      - .offset:         108
        .size:           4
        .value_kind:     by_value
      - .offset:         112
        .size:           4
        .value_kind:     by_value
      - .offset:         116
        .size:           12
        .value_kind:     by_value
      - .offset:         128
        .size:           4
        .value_kind:     by_value
      - .offset:         132
        .size:           4
        .value_kind:     by_value
      - .offset:         136
        .size:           4
        .value_kind:     by_value
      - .offset:         140
        .size:           4
        .value_kind:     by_value
    .group_segment_fixed_size: 0
    .kernarg_segment_align: 8
    .kernarg_segment_size: 144
    .language:       OpenCL C
    .language_version:
      - 2
      - 0
    .max_flat_workgroup_size: 32
    .name:           _ZL13mul_mat_vec_qIL9ggml_type39ELi1ELb1ELb0EEvPKvS2_PKi31ggml_cuda_mm_fusion_args_devicePfj15HIP_vector_typeIjLj3EEjjjS8_jjjS8_jjjj
    .private_segment_fixed_size: 0
    .sgpr_count:     42
    .sgpr_spill_count: 0
    .symbol:         _ZL13mul_mat_vec_qIL9ggml_type39ELi1ELb1ELb0EEvPKvS2_PKi31ggml_cuda_mm_fusion_args_devicePfj15HIP_vector_typeIjLj3EEjjjS8_jjjS8_jjjj.kd
    .uniform_work_group_size: 1
    .uses_dynamic_stack: false
    .vgpr_count:     35
    .vgpr_spill_count: 0
    .wavefront_size: 32
    .workgroup_processor_mode: 1
  - .args:
      - .address_space:  global
        .offset:         0
        .size:           8
        .value_kind:     global_buffer
      - .address_space:  global
        .offset:         8
        .size:           8
        .value_kind:     global_buffer
      - .address_space:  global
        .offset:         16
        .size:           8
        .value_kind:     global_buffer
      - .offset:         24
        .size:           32
        .value_kind:     by_value
      - .address_space:  global
        .offset:         56
        .size:           8
        .value_kind:     global_buffer
      - .offset:         64
        .size:           4
        .value_kind:     by_value
      - .offset:         68
        .size:           12
        .value_kind:     by_value
      - .offset:         80
        .size:           4
        .value_kind:     by_value
      - .offset:         84
        .size:           4
        .value_kind:     by_value
      - .offset:         88
        .size:           4
        .value_kind:     by_value
      - .offset:         92
        .size:           12
        .value_kind:     by_value
      - .offset:         104
        .size:           4
        .value_kind:     by_value
      - .offset:         108
        .size:           4
        .value_kind:     by_value
      - .offset:         112
        .size:           4
        .value_kind:     by_value
      - .offset:         116
        .size:           12
        .value_kind:     by_value
      - .offset:         128
        .size:           4
        .value_kind:     by_value
      - .offset:         132
        .size:           4
        .value_kind:     by_value
      - .offset:         136
        .size:           4
        .value_kind:     by_value
      - .offset:         140
        .size:           4
        .value_kind:     by_value
    .group_segment_fixed_size: 0
    .kernarg_segment_align: 8
    .kernarg_segment_size: 144
    .language:       OpenCL C
    .language_version:
      - 2
      - 0
    .max_flat_workgroup_size: 32
    .name:           _ZL13mul_mat_vec_qIL9ggml_type39ELi1ELb0ELb0EEvPKvS2_PKi31ggml_cuda_mm_fusion_args_devicePfj15HIP_vector_typeIjLj3EEjjjS8_jjjS8_jjjj
    .private_segment_fixed_size: 0
    .sgpr_count:     25
    .sgpr_spill_count: 0
    .symbol:         _ZL13mul_mat_vec_qIL9ggml_type39ELi1ELb0ELb0EEvPKvS2_PKi31ggml_cuda_mm_fusion_args_devicePfj15HIP_vector_typeIjLj3EEjjjS8_jjjS8_jjjj.kd
    .uniform_work_group_size: 1
    .uses_dynamic_stack: false
    .vgpr_count:     27
    .vgpr_spill_count: 0
    .wavefront_size: 32
    .workgroup_processor_mode: 1
  - .args:
      - .address_space:  global
        .offset:         0
        .size:           8
        .value_kind:     global_buffer
      - .address_space:  global
        .offset:         8
        .size:           8
        .value_kind:     global_buffer
      - .address_space:  global
        .offset:         16
        .size:           8
        .value_kind:     global_buffer
      - .offset:         24
        .size:           32
        .value_kind:     by_value
      - .address_space:  global
        .offset:         56
        .size:           8
        .value_kind:     global_buffer
      - .offset:         64
        .size:           4
        .value_kind:     by_value
      - .offset:         68
        .size:           12
        .value_kind:     by_value
      - .offset:         80
        .size:           4
        .value_kind:     by_value
      - .offset:         84
        .size:           4
        .value_kind:     by_value
      - .offset:         88
        .size:           4
        .value_kind:     by_value
      - .offset:         92
        .size:           12
        .value_kind:     by_value
      - .offset:         104
        .size:           4
        .value_kind:     by_value
      - .offset:         108
        .size:           4
        .value_kind:     by_value
      - .offset:         112
        .size:           4
        .value_kind:     by_value
      - .offset:         116
        .size:           12
        .value_kind:     by_value
      - .offset:         128
        .size:           4
        .value_kind:     by_value
      - .offset:         132
        .size:           4
        .value_kind:     by_value
      - .offset:         136
        .size:           4
        .value_kind:     by_value
      - .offset:         140
        .size:           4
        .value_kind:     by_value
    .group_segment_fixed_size: 0
    .kernarg_segment_align: 8
    .kernarg_segment_size: 144
    .language:       OpenCL C
    .language_version:
      - 2
      - 0
    .max_flat_workgroup_size: 32
    .name:           _ZL13mul_mat_vec_qIL9ggml_type39ELi2ELb0ELb0EEvPKvS2_PKi31ggml_cuda_mm_fusion_args_devicePfj15HIP_vector_typeIjLj3EEjjjS8_jjjS8_jjjj
    .private_segment_fixed_size: 0
    .sgpr_count:     29
    .sgpr_spill_count: 0
    .symbol:         _ZL13mul_mat_vec_qIL9ggml_type39ELi2ELb0ELb0EEvPKvS2_PKi31ggml_cuda_mm_fusion_args_devicePfj15HIP_vector_typeIjLj3EEjjjS8_jjjS8_jjjj.kd
    .uniform_work_group_size: 1
    .uses_dynamic_stack: false
    .vgpr_count:     35
    .vgpr_spill_count: 0
    .wavefront_size: 32
    .workgroup_processor_mode: 1
  - .args:
      - .address_space:  global
        .offset:         0
        .size:           8
        .value_kind:     global_buffer
      - .address_space:  global
        .offset:         8
        .size:           8
        .value_kind:     global_buffer
      - .address_space:  global
        .offset:         16
        .size:           8
        .value_kind:     global_buffer
      - .offset:         24
        .size:           32
        .value_kind:     by_value
      - .address_space:  global
        .offset:         56
        .size:           8
        .value_kind:     global_buffer
      - .offset:         64
        .size:           4
        .value_kind:     by_value
      - .offset:         68
        .size:           12
        .value_kind:     by_value
      - .offset:         80
        .size:           4
        .value_kind:     by_value
      - .offset:         84
        .size:           4
        .value_kind:     by_value
      - .offset:         88
        .size:           4
        .value_kind:     by_value
      - .offset:         92
        .size:           12
        .value_kind:     by_value
      - .offset:         104
        .size:           4
        .value_kind:     by_value
      - .offset:         108
        .size:           4
        .value_kind:     by_value
      - .offset:         112
        .size:           4
        .value_kind:     by_value
      - .offset:         116
        .size:           12
        .value_kind:     by_value
      - .offset:         128
        .size:           4
        .value_kind:     by_value
      - .offset:         132
        .size:           4
        .value_kind:     by_value
      - .offset:         136
        .size:           4
        .value_kind:     by_value
      - .offset:         140
        .size:           4
        .value_kind:     by_value
    .group_segment_fixed_size: 0
    .kernarg_segment_align: 8
    .kernarg_segment_size: 144
    .language:       OpenCL C
    .language_version:
      - 2
      - 0
    .max_flat_workgroup_size: 32
    .name:           _ZL13mul_mat_vec_qIL9ggml_type39ELi3ELb0ELb0EEvPKvS2_PKi31ggml_cuda_mm_fusion_args_devicePfj15HIP_vector_typeIjLj3EEjjjS8_jjjS8_jjjj
    .private_segment_fixed_size: 0
    .sgpr_count:     28
    .sgpr_spill_count: 0
    .symbol:         _ZL13mul_mat_vec_qIL9ggml_type39ELi3ELb0ELb0EEvPKvS2_PKi31ggml_cuda_mm_fusion_args_devicePfj15HIP_vector_typeIjLj3EEjjjS8_jjjS8_jjjj.kd
    .uniform_work_group_size: 1
    .uses_dynamic_stack: false
    .vgpr_count:     41
    .vgpr_spill_count: 0
    .wavefront_size: 32
    .workgroup_processor_mode: 1
  - .args:
      - .address_space:  global
        .offset:         0
        .size:           8
        .value_kind:     global_buffer
      - .address_space:  global
        .offset:         8
        .size:           8
        .value_kind:     global_buffer
      - .address_space:  global
        .offset:         16
        .size:           8
        .value_kind:     global_buffer
      - .offset:         24
        .size:           32
        .value_kind:     by_value
      - .address_space:  global
        .offset:         56
        .size:           8
        .value_kind:     global_buffer
      - .offset:         64
        .size:           4
        .value_kind:     by_value
      - .offset:         68
        .size:           12
        .value_kind:     by_value
      - .offset:         80
        .size:           4
        .value_kind:     by_value
      - .offset:         84
        .size:           4
        .value_kind:     by_value
      - .offset:         88
        .size:           4
        .value_kind:     by_value
      - .offset:         92
        .size:           12
        .value_kind:     by_value
      - .offset:         104
        .size:           4
        .value_kind:     by_value
      - .offset:         108
        .size:           4
        .value_kind:     by_value
      - .offset:         112
        .size:           4
        .value_kind:     by_value
      - .offset:         116
        .size:           12
        .value_kind:     by_value
      - .offset:         128
        .size:           4
        .value_kind:     by_value
      - .offset:         132
        .size:           4
        .value_kind:     by_value
      - .offset:         136
        .size:           4
        .value_kind:     by_value
      - .offset:         140
        .size:           4
        .value_kind:     by_value
    .group_segment_fixed_size: 0
    .kernarg_segment_align: 8
    .kernarg_segment_size: 144
    .language:       OpenCL C
    .language_version:
      - 2
      - 0
    .max_flat_workgroup_size: 32
    .name:           _ZL13mul_mat_vec_qIL9ggml_type39ELi4ELb0ELb0EEvPKvS2_PKi31ggml_cuda_mm_fusion_args_devicePfj15HIP_vector_typeIjLj3EEjjjS8_jjjS8_jjjj
    .private_segment_fixed_size: 0
    .sgpr_count:     28
    .sgpr_spill_count: 0
    .symbol:         _ZL13mul_mat_vec_qIL9ggml_type39ELi4ELb0ELb0EEvPKvS2_PKi31ggml_cuda_mm_fusion_args_devicePfj15HIP_vector_typeIjLj3EEjjjS8_jjjS8_jjjj.kd
    .uniform_work_group_size: 1
    .uses_dynamic_stack: false
    .vgpr_count:     49
    .vgpr_spill_count: 0
    .wavefront_size: 32
    .workgroup_processor_mode: 1
  - .args:
      - .address_space:  global
        .offset:         0
        .size:           8
        .value_kind:     global_buffer
      - .address_space:  global
        .offset:         8
        .size:           8
        .value_kind:     global_buffer
      - .address_space:  global
        .offset:         16
        .size:           8
        .value_kind:     global_buffer
      - .offset:         24
        .size:           32
        .value_kind:     by_value
      - .address_space:  global
        .offset:         56
        .size:           8
        .value_kind:     global_buffer
      - .offset:         64
        .size:           4
        .value_kind:     by_value
      - .offset:         68
        .size:           12
        .value_kind:     by_value
      - .offset:         80
        .size:           4
        .value_kind:     by_value
      - .offset:         84
        .size:           4
        .value_kind:     by_value
      - .offset:         88
        .size:           4
        .value_kind:     by_value
      - .offset:         92
        .size:           12
        .value_kind:     by_value
      - .offset:         104
        .size:           4
        .value_kind:     by_value
      - .offset:         108
        .size:           4
        .value_kind:     by_value
      - .offset:         112
        .size:           4
        .value_kind:     by_value
      - .offset:         116
        .size:           12
        .value_kind:     by_value
      - .offset:         128
        .size:           4
        .value_kind:     by_value
      - .offset:         132
        .size:           4
        .value_kind:     by_value
      - .offset:         136
        .size:           4
        .value_kind:     by_value
      - .offset:         140
        .size:           4
        .value_kind:     by_value
    .group_segment_fixed_size: 0
    .kernarg_segment_align: 8
    .kernarg_segment_size: 144
    .language:       OpenCL C
    .language_version:
      - 2
      - 0
    .max_flat_workgroup_size: 32
    .name:           _ZL13mul_mat_vec_qIL9ggml_type39ELi5ELb0ELb0EEvPKvS2_PKi31ggml_cuda_mm_fusion_args_devicePfj15HIP_vector_typeIjLj3EEjjjS8_jjjS8_jjjj
    .private_segment_fixed_size: 0
    .sgpr_count:     28
    .sgpr_spill_count: 0
    .symbol:         _ZL13mul_mat_vec_qIL9ggml_type39ELi5ELb0ELb0EEvPKvS2_PKi31ggml_cuda_mm_fusion_args_devicePfj15HIP_vector_typeIjLj3EEjjjS8_jjjS8_jjjj.kd
    .uniform_work_group_size: 1
    .uses_dynamic_stack: false
    .vgpr_count:     56
    .vgpr_spill_count: 0
    .wavefront_size: 32
    .workgroup_processor_mode: 1
  - .args:
      - .address_space:  global
        .offset:         0
        .size:           8
        .value_kind:     global_buffer
      - .address_space:  global
        .offset:         8
        .size:           8
        .value_kind:     global_buffer
      - .address_space:  global
        .offset:         16
        .size:           8
        .value_kind:     global_buffer
      - .offset:         24
        .size:           32
        .value_kind:     by_value
      - .address_space:  global
        .offset:         56
        .size:           8
        .value_kind:     global_buffer
      - .offset:         64
        .size:           4
        .value_kind:     by_value
      - .offset:         68
        .size:           12
        .value_kind:     by_value
      - .offset:         80
        .size:           4
        .value_kind:     by_value
      - .offset:         84
        .size:           4
        .value_kind:     by_value
      - .offset:         88
        .size:           4
        .value_kind:     by_value
      - .offset:         92
        .size:           12
        .value_kind:     by_value
      - .offset:         104
        .size:           4
        .value_kind:     by_value
      - .offset:         108
        .size:           4
        .value_kind:     by_value
      - .offset:         112
        .size:           4
        .value_kind:     by_value
      - .offset:         116
        .size:           12
        .value_kind:     by_value
      - .offset:         128
        .size:           4
        .value_kind:     by_value
      - .offset:         132
        .size:           4
        .value_kind:     by_value
      - .offset:         136
        .size:           4
        .value_kind:     by_value
      - .offset:         140
        .size:           4
        .value_kind:     by_value
    .group_segment_fixed_size: 0
    .kernarg_segment_align: 8
    .kernarg_segment_size: 144
    .language:       OpenCL C
    .language_version:
      - 2
      - 0
    .max_flat_workgroup_size: 32
    .name:           _ZL13mul_mat_vec_qIL9ggml_type39ELi6ELb0ELb0EEvPKvS2_PKi31ggml_cuda_mm_fusion_args_devicePfj15HIP_vector_typeIjLj3EEjjjS8_jjjS8_jjjj
    .private_segment_fixed_size: 0
    .sgpr_count:     28
    .sgpr_spill_count: 0
    .symbol:         _ZL13mul_mat_vec_qIL9ggml_type39ELi6ELb0ELb0EEvPKvS2_PKi31ggml_cuda_mm_fusion_args_devicePfj15HIP_vector_typeIjLj3EEjjjS8_jjjS8_jjjj.kd
    .uniform_work_group_size: 1
    .uses_dynamic_stack: false
    .vgpr_count:     62
    .vgpr_spill_count: 0
    .wavefront_size: 32
    .workgroup_processor_mode: 1
  - .args:
      - .address_space:  global
        .offset:         0
        .size:           8
        .value_kind:     global_buffer
      - .address_space:  global
        .offset:         8
        .size:           8
        .value_kind:     global_buffer
      - .address_space:  global
        .offset:         16
        .size:           8
        .value_kind:     global_buffer
      - .offset:         24
        .size:           32
        .value_kind:     by_value
      - .address_space:  global
        .offset:         56
        .size:           8
        .value_kind:     global_buffer
      - .offset:         64
        .size:           4
        .value_kind:     by_value
      - .offset:         68
        .size:           12
        .value_kind:     by_value
      - .offset:         80
        .size:           4
        .value_kind:     by_value
      - .offset:         84
        .size:           4
        .value_kind:     by_value
      - .offset:         88
        .size:           4
        .value_kind:     by_value
      - .offset:         92
        .size:           12
        .value_kind:     by_value
      - .offset:         104
        .size:           4
        .value_kind:     by_value
      - .offset:         108
        .size:           4
        .value_kind:     by_value
      - .offset:         112
        .size:           4
        .value_kind:     by_value
      - .offset:         116
        .size:           12
        .value_kind:     by_value
      - .offset:         128
        .size:           4
        .value_kind:     by_value
      - .offset:         132
        .size:           4
        .value_kind:     by_value
      - .offset:         136
        .size:           4
        .value_kind:     by_value
      - .offset:         140
        .size:           4
        .value_kind:     by_value
    .group_segment_fixed_size: 0
    .kernarg_segment_align: 8
    .kernarg_segment_size: 144
    .language:       OpenCL C
    .language_version:
      - 2
      - 0
    .max_flat_workgroup_size: 32
    .name:           _ZL13mul_mat_vec_qIL9ggml_type39ELi7ELb0ELb0EEvPKvS2_PKi31ggml_cuda_mm_fusion_args_devicePfj15HIP_vector_typeIjLj3EEjjjS8_jjjS8_jjjj
    .private_segment_fixed_size: 0
    .sgpr_count:     28
    .sgpr_spill_count: 0
    .symbol:         _ZL13mul_mat_vec_qIL9ggml_type39ELi7ELb0ELb0EEvPKvS2_PKi31ggml_cuda_mm_fusion_args_devicePfj15HIP_vector_typeIjLj3EEjjjS8_jjjS8_jjjj.kd
    .uniform_work_group_size: 1
    .uses_dynamic_stack: false
    .vgpr_count:     62
    .vgpr_spill_count: 0
    .wavefront_size: 32
    .workgroup_processor_mode: 1
  - .args:
      - .address_space:  global
        .offset:         0
        .size:           8
        .value_kind:     global_buffer
      - .address_space:  global
        .offset:         8
        .size:           8
        .value_kind:     global_buffer
      - .address_space:  global
        .offset:         16
        .size:           8
        .value_kind:     global_buffer
      - .offset:         24
        .size:           32
        .value_kind:     by_value
      - .address_space:  global
        .offset:         56
        .size:           8
        .value_kind:     global_buffer
      - .offset:         64
        .size:           4
        .value_kind:     by_value
      - .offset:         68
        .size:           12
        .value_kind:     by_value
      - .offset:         80
        .size:           4
        .value_kind:     by_value
      - .offset:         84
        .size:           4
        .value_kind:     by_value
      - .offset:         88
        .size:           4
        .value_kind:     by_value
      - .offset:         92
        .size:           12
        .value_kind:     by_value
      - .offset:         104
        .size:           4
        .value_kind:     by_value
      - .offset:         108
        .size:           4
        .value_kind:     by_value
      - .offset:         112
        .size:           4
        .value_kind:     by_value
      - .offset:         116
        .size:           12
        .value_kind:     by_value
      - .offset:         128
        .size:           4
        .value_kind:     by_value
      - .offset:         132
        .size:           4
        .value_kind:     by_value
      - .offset:         136
        .size:           4
        .value_kind:     by_value
      - .offset:         140
        .size:           4
        .value_kind:     by_value
    .group_segment_fixed_size: 0
    .kernarg_segment_align: 8
    .kernarg_segment_size: 144
    .language:       OpenCL C
    .language_version:
      - 2
      - 0
    .max_flat_workgroup_size: 32
    .name:           _ZL13mul_mat_vec_qIL9ggml_type39ELi8ELb0ELb0EEvPKvS2_PKi31ggml_cuda_mm_fusion_args_devicePfj15HIP_vector_typeIjLj3EEjjjS8_jjjS8_jjjj
    .private_segment_fixed_size: 0
    .sgpr_count:     28
    .sgpr_spill_count: 0
    .symbol:         _ZL13mul_mat_vec_qIL9ggml_type39ELi8ELb0ELb0EEvPKvS2_PKi31ggml_cuda_mm_fusion_args_devicePfj15HIP_vector_typeIjLj3EEjjjS8_jjjS8_jjjj.kd
    .uniform_work_group_size: 1
    .uses_dynamic_stack: false
    .vgpr_count:     68
    .vgpr_spill_count: 0
    .wavefront_size: 32
    .workgroup_processor_mode: 1
  - .args:
      - .address_space:  global
        .offset:         0
        .size:           8
        .value_kind:     global_buffer
      - .address_space:  global
        .offset:         8
        .size:           8
        .value_kind:     global_buffer
      - .address_space:  global
        .offset:         16
        .size:           8
        .value_kind:     global_buffer
      - .address_space:  global
        .offset:         24
        .size:           8
        .value_kind:     global_buffer
      - .offset:         32
        .size:           4
        .value_kind:     by_value
      - .offset:         36
        .size:           12
        .value_kind:     by_value
      - .offset:         48
        .size:           4
        .value_kind:     by_value
      - .offset:         52
        .size:           4
        .value_kind:     by_value
      - .offset:         56
        .size:           4
        .value_kind:     by_value
      - .offset:         60
        .size:           4
        .value_kind:     by_value
      - .offset:         64
        .size:           4
        .value_kind:     by_value
      - .offset:         68
        .size:           4
        .value_kind:     by_value
      - .offset:         72
        .size:           4
        .value_kind:     by_value
      - .offset:         76
        .size:           4
        .value_kind:     by_value
      - .offset:         80
        .size:           4
        .value_kind:     by_value
    .group_segment_fixed_size: 0
    .kernarg_segment_align: 8
    .kernarg_segment_size: 84
    .language:       OpenCL C
    .language_version:
      - 2
      - 0
    .max_flat_workgroup_size: 256
    .name:           _ZL17mul_mat_vec_q_moeIL9ggml_type40ELi2EEvPKvS2_PKiPfj15HIP_vector_typeIjLj3EEjjjjjjjjj
    .private_segment_fixed_size: 0
    .sgpr_count:     30
    .sgpr_spill_count: 0
    .symbol:         _ZL17mul_mat_vec_q_moeIL9ggml_type40ELi2EEvPKvS2_PKiPfj15HIP_vector_typeIjLj3EEjjjjjjjjj.kd
    .uniform_work_group_size: 1
    .uses_dynamic_stack: false
    .vgpr_count:     49
    .vgpr_spill_count: 0
    .wavefront_size: 32
    .workgroup_processor_mode: 1
  - .args:
      - .address_space:  global
        .offset:         0
        .size:           8
        .value_kind:     global_buffer
      - .address_space:  global
        .offset:         8
        .size:           8
        .value_kind:     global_buffer
      - .address_space:  global
        .offset:         16
        .size:           8
        .value_kind:     global_buffer
      - .offset:         24
        .size:           32
        .value_kind:     by_value
      - .address_space:  global
        .offset:         56
        .size:           8
        .value_kind:     global_buffer
      - .offset:         64
        .size:           4
        .value_kind:     by_value
      - .offset:         68
        .size:           12
        .value_kind:     by_value
      - .offset:         80
        .size:           4
        .value_kind:     by_value
      - .offset:         84
        .size:           4
        .value_kind:     by_value
      - .offset:         88
        .size:           4
        .value_kind:     by_value
      - .offset:         92
        .size:           12
        .value_kind:     by_value
      - .offset:         104
        .size:           4
        .value_kind:     by_value
      - .offset:         108
        .size:           4
        .value_kind:     by_value
      - .offset:         112
        .size:           4
        .value_kind:     by_value
      - .offset:         116
        .size:           12
        .value_kind:     by_value
      - .offset:         128
        .size:           4
        .value_kind:     by_value
      - .offset:         132
        .size:           4
        .value_kind:     by_value
      - .offset:         136
        .size:           4
        .value_kind:     by_value
      - .offset:         140
        .size:           4
        .value_kind:     by_value
    .group_segment_fixed_size: 0
    .kernarg_segment_align: 8
    .kernarg_segment_size: 144
    .language:       OpenCL C
    .language_version:
      - 2
      - 0
    .max_flat_workgroup_size: 32
    .name:           _ZL13mul_mat_vec_qIL9ggml_type40ELi1ELb1ELb1EEvPKvS2_PKi31ggml_cuda_mm_fusion_args_devicePfj15HIP_vector_typeIjLj3EEjjjS8_jjjS8_jjjj
    .private_segment_fixed_size: 0
    .sgpr_count:     42
    .sgpr_spill_count: 0
    .symbol:         _ZL13mul_mat_vec_qIL9ggml_type40ELi1ELb1ELb1EEvPKvS2_PKi31ggml_cuda_mm_fusion_args_devicePfj15HIP_vector_typeIjLj3EEjjjS8_jjjS8_jjjj.kd
    .uniform_work_group_size: 1
    .uses_dynamic_stack: false
    .vgpr_count:     55
    .vgpr_spill_count: 0
    .wavefront_size: 32
    .workgroup_processor_mode: 1
  - .args:
      - .address_space:  global
        .offset:         0
        .size:           8
        .value_kind:     global_buffer
      - .address_space:  global
        .offset:         8
        .size:           8
        .value_kind:     global_buffer
      - .address_space:  global
        .offset:         16
        .size:           8
        .value_kind:     global_buffer
      - .offset:         24
        .size:           32
        .value_kind:     by_value
      - .address_space:  global
        .offset:         56
        .size:           8
        .value_kind:     global_buffer
      - .offset:         64
        .size:           4
        .value_kind:     by_value
      - .offset:         68
        .size:           12
        .value_kind:     by_value
      - .offset:         80
        .size:           4
        .value_kind:     by_value
      - .offset:         84
        .size:           4
        .value_kind:     by_value
      - .offset:         88
        .size:           4
        .value_kind:     by_value
      - .offset:         92
        .size:           12
        .value_kind:     by_value
      - .offset:         104
        .size:           4
        .value_kind:     by_value
      - .offset:         108
        .size:           4
        .value_kind:     by_value
      - .offset:         112
        .size:           4
        .value_kind:     by_value
      - .offset:         116
        .size:           12
        .value_kind:     by_value
      - .offset:         128
        .size:           4
        .value_kind:     by_value
      - .offset:         132
        .size:           4
        .value_kind:     by_value
      - .offset:         136
        .size:           4
        .value_kind:     by_value
      - .offset:         140
        .size:           4
        .value_kind:     by_value
    .group_segment_fixed_size: 0
    .kernarg_segment_align: 8
    .kernarg_segment_size: 144
    .language:       OpenCL C
    .language_version:
      - 2
      - 0
    .max_flat_workgroup_size: 32
    .name:           _ZL13mul_mat_vec_qIL9ggml_type40ELi1ELb0ELb1EEvPKvS2_PKi31ggml_cuda_mm_fusion_args_devicePfj15HIP_vector_typeIjLj3EEjjjS8_jjjS8_jjjj
    .private_segment_fixed_size: 0
    .sgpr_count:     24
    .sgpr_spill_count: 0
    .symbol:         _ZL13mul_mat_vec_qIL9ggml_type40ELi1ELb0ELb1EEvPKvS2_PKi31ggml_cuda_mm_fusion_args_devicePfj15HIP_vector_typeIjLj3EEjjjS8_jjjS8_jjjj.kd
    .uniform_work_group_size: 1
    .uses_dynamic_stack: false
    .vgpr_count:     40
    .vgpr_spill_count: 0
    .wavefront_size: 32
    .workgroup_processor_mode: 1
  - .args:
      - .address_space:  global
        .offset:         0
        .size:           8
        .value_kind:     global_buffer
      - .address_space:  global
        .offset:         8
        .size:           8
        .value_kind:     global_buffer
      - .address_space:  global
        .offset:         16
        .size:           8
        .value_kind:     global_buffer
      - .offset:         24
        .size:           32
        .value_kind:     by_value
      - .address_space:  global
        .offset:         56
        .size:           8
        .value_kind:     global_buffer
      - .offset:         64
        .size:           4
        .value_kind:     by_value
      - .offset:         68
        .size:           12
        .value_kind:     by_value
      - .offset:         80
        .size:           4
        .value_kind:     by_value
      - .offset:         84
        .size:           4
        .value_kind:     by_value
      - .offset:         88
        .size:           4
        .value_kind:     by_value
      - .offset:         92
        .size:           12
        .value_kind:     by_value
      - .offset:         104
        .size:           4
        .value_kind:     by_value
      - .offset:         108
        .size:           4
        .value_kind:     by_value
      - .offset:         112
        .size:           4
        .value_kind:     by_value
      - .offset:         116
        .size:           12
        .value_kind:     by_value
      - .offset:         128
        .size:           4
        .value_kind:     by_value
      - .offset:         132
        .size:           4
        .value_kind:     by_value
      - .offset:         136
        .size:           4
        .value_kind:     by_value
      - .offset:         140
        .size:           4
        .value_kind:     by_value
    .group_segment_fixed_size: 0
    .kernarg_segment_align: 8
    .kernarg_segment_size: 144
    .language:       OpenCL C
    .language_version:
      - 2
      - 0
    .max_flat_workgroup_size: 32
    .name:           _ZL13mul_mat_vec_qIL9ggml_type40ELi1ELb1ELb0EEvPKvS2_PKi31ggml_cuda_mm_fusion_args_devicePfj15HIP_vector_typeIjLj3EEjjjS8_jjjS8_jjjj
    .private_segment_fixed_size: 0
    .sgpr_count:     42
    .sgpr_spill_count: 0
    .symbol:         _ZL13mul_mat_vec_qIL9ggml_type40ELi1ELb1ELb0EEvPKvS2_PKi31ggml_cuda_mm_fusion_args_devicePfj15HIP_vector_typeIjLj3EEjjjS8_jjjS8_jjjj.kd
    .uniform_work_group_size: 1
    .uses_dynamic_stack: false
    .vgpr_count:     55
    .vgpr_spill_count: 0
    .wavefront_size: 32
    .workgroup_processor_mode: 1
  - .args:
      - .address_space:  global
        .offset:         0
        .size:           8
        .value_kind:     global_buffer
      - .address_space:  global
        .offset:         8
        .size:           8
        .value_kind:     global_buffer
      - .address_space:  global
        .offset:         16
        .size:           8
        .value_kind:     global_buffer
      - .offset:         24
        .size:           32
        .value_kind:     by_value
      - .address_space:  global
        .offset:         56
        .size:           8
        .value_kind:     global_buffer
      - .offset:         64
        .size:           4
        .value_kind:     by_value
      - .offset:         68
        .size:           12
        .value_kind:     by_value
      - .offset:         80
        .size:           4
        .value_kind:     by_value
      - .offset:         84
        .size:           4
        .value_kind:     by_value
      - .offset:         88
        .size:           4
        .value_kind:     by_value
      - .offset:         92
        .size:           12
        .value_kind:     by_value
      - .offset:         104
        .size:           4
        .value_kind:     by_value
      - .offset:         108
        .size:           4
        .value_kind:     by_value
      - .offset:         112
        .size:           4
        .value_kind:     by_value
      - .offset:         116
        .size:           12
        .value_kind:     by_value
      - .offset:         128
        .size:           4
        .value_kind:     by_value
      - .offset:         132
        .size:           4
        .value_kind:     by_value
      - .offset:         136
        .size:           4
        .value_kind:     by_value
      - .offset:         140
        .size:           4
        .value_kind:     by_value
    .group_segment_fixed_size: 0
    .kernarg_segment_align: 8
    .kernarg_segment_size: 144
    .language:       OpenCL C
    .language_version:
      - 2
      - 0
    .max_flat_workgroup_size: 32
    .name:           _ZL13mul_mat_vec_qIL9ggml_type40ELi1ELb0ELb0EEvPKvS2_PKi31ggml_cuda_mm_fusion_args_devicePfj15HIP_vector_typeIjLj3EEjjjS8_jjjS8_jjjj
    .private_segment_fixed_size: 0
    .sgpr_count:     24
    .sgpr_spill_count: 0
    .symbol:         _ZL13mul_mat_vec_qIL9ggml_type40ELi1ELb0ELb0EEvPKvS2_PKi31ggml_cuda_mm_fusion_args_devicePfj15HIP_vector_typeIjLj3EEjjjS8_jjjS8_jjjj.kd
    .uniform_work_group_size: 1
    .uses_dynamic_stack: false
    .vgpr_count:     40
    .vgpr_spill_count: 0
    .wavefront_size: 32
    .workgroup_processor_mode: 1
  - .args:
      - .address_space:  global
        .offset:         0
        .size:           8
        .value_kind:     global_buffer
      - .address_space:  global
        .offset:         8
        .size:           8
        .value_kind:     global_buffer
      - .address_space:  global
        .offset:         16
        .size:           8
        .value_kind:     global_buffer
      - .offset:         24
        .size:           32
        .value_kind:     by_value
      - .address_space:  global
        .offset:         56
        .size:           8
        .value_kind:     global_buffer
      - .offset:         64
        .size:           4
        .value_kind:     by_value
      - .offset:         68
        .size:           12
        .value_kind:     by_value
      - .offset:         80
        .size:           4
        .value_kind:     by_value
      - .offset:         84
        .size:           4
        .value_kind:     by_value
      - .offset:         88
        .size:           4
        .value_kind:     by_value
      - .offset:         92
        .size:           12
        .value_kind:     by_value
      - .offset:         104
        .size:           4
        .value_kind:     by_value
      - .offset:         108
        .size:           4
        .value_kind:     by_value
      - .offset:         112
        .size:           4
        .value_kind:     by_value
      - .offset:         116
        .size:           12
        .value_kind:     by_value
      - .offset:         128
        .size:           4
        .value_kind:     by_value
      - .offset:         132
        .size:           4
        .value_kind:     by_value
      - .offset:         136
        .size:           4
        .value_kind:     by_value
      - .offset:         140
        .size:           4
        .value_kind:     by_value
    .group_segment_fixed_size: 0
    .kernarg_segment_align: 8
    .kernarg_segment_size: 144
    .language:       OpenCL C
    .language_version:
      - 2
      - 0
    .max_flat_workgroup_size: 32
    .name:           _ZL13mul_mat_vec_qIL9ggml_type40ELi2ELb0ELb0EEvPKvS2_PKi31ggml_cuda_mm_fusion_args_devicePfj15HIP_vector_typeIjLj3EEjjjS8_jjjS8_jjjj
    .private_segment_fixed_size: 0
    .sgpr_count:     30
    .sgpr_spill_count: 0
    .symbol:         _ZL13mul_mat_vec_qIL9ggml_type40ELi2ELb0ELb0EEvPKvS2_PKi31ggml_cuda_mm_fusion_args_devicePfj15HIP_vector_typeIjLj3EEjjjS8_jjjS8_jjjj.kd
    .uniform_work_group_size: 1
    .uses_dynamic_stack: false
    .vgpr_count:     54
    .vgpr_spill_count: 0
    .wavefront_size: 32
    .workgroup_processor_mode: 1
  - .args:
      - .address_space:  global
        .offset:         0
        .size:           8
        .value_kind:     global_buffer
      - .address_space:  global
        .offset:         8
        .size:           8
        .value_kind:     global_buffer
      - .address_space:  global
        .offset:         16
        .size:           8
        .value_kind:     global_buffer
      - .offset:         24
        .size:           32
        .value_kind:     by_value
      - .address_space:  global
        .offset:         56
        .size:           8
        .value_kind:     global_buffer
      - .offset:         64
        .size:           4
        .value_kind:     by_value
      - .offset:         68
        .size:           12
        .value_kind:     by_value
      - .offset:         80
        .size:           4
        .value_kind:     by_value
      - .offset:         84
        .size:           4
        .value_kind:     by_value
      - .offset:         88
        .size:           4
        .value_kind:     by_value
      - .offset:         92
        .size:           12
        .value_kind:     by_value
      - .offset:         104
        .size:           4
        .value_kind:     by_value
      - .offset:         108
        .size:           4
        .value_kind:     by_value
      - .offset:         112
        .size:           4
        .value_kind:     by_value
      - .offset:         116
        .size:           12
        .value_kind:     by_value
      - .offset:         128
        .size:           4
        .value_kind:     by_value
      - .offset:         132
        .size:           4
        .value_kind:     by_value
      - .offset:         136
        .size:           4
        .value_kind:     by_value
      - .offset:         140
        .size:           4
        .value_kind:     by_value
    .group_segment_fixed_size: 0
    .kernarg_segment_align: 8
    .kernarg_segment_size: 144
    .language:       OpenCL C
    .language_version:
      - 2
      - 0
    .max_flat_workgroup_size: 32
    .name:           _ZL13mul_mat_vec_qIL9ggml_type40ELi3ELb0ELb0EEvPKvS2_PKi31ggml_cuda_mm_fusion_args_devicePfj15HIP_vector_typeIjLj3EEjjjS8_jjjS8_jjjj
    .private_segment_fixed_size: 0
    .sgpr_count:     30
    .sgpr_spill_count: 0
    .symbol:         _ZL13mul_mat_vec_qIL9ggml_type40ELi3ELb0ELb0EEvPKvS2_PKi31ggml_cuda_mm_fusion_args_devicePfj15HIP_vector_typeIjLj3EEjjjS8_jjjS8_jjjj.kd
    .uniform_work_group_size: 1
    .uses_dynamic_stack: false
    .vgpr_count:     61
    .vgpr_spill_count: 0
    .wavefront_size: 32
    .workgroup_processor_mode: 1
  - .args:
      - .address_space:  global
        .offset:         0
        .size:           8
        .value_kind:     global_buffer
      - .address_space:  global
        .offset:         8
        .size:           8
        .value_kind:     global_buffer
      - .address_space:  global
        .offset:         16
        .size:           8
        .value_kind:     global_buffer
      - .offset:         24
        .size:           32
        .value_kind:     by_value
      - .address_space:  global
        .offset:         56
        .size:           8
        .value_kind:     global_buffer
      - .offset:         64
        .size:           4
        .value_kind:     by_value
      - .offset:         68
        .size:           12
        .value_kind:     by_value
      - .offset:         80
        .size:           4
        .value_kind:     by_value
      - .offset:         84
        .size:           4
        .value_kind:     by_value
      - .offset:         88
        .size:           4
        .value_kind:     by_value
      - .offset:         92
        .size:           12
        .value_kind:     by_value
      - .offset:         104
        .size:           4
        .value_kind:     by_value
      - .offset:         108
        .size:           4
        .value_kind:     by_value
      - .offset:         112
        .size:           4
        .value_kind:     by_value
      - .offset:         116
        .size:           12
        .value_kind:     by_value
      - .offset:         128
        .size:           4
        .value_kind:     by_value
      - .offset:         132
        .size:           4
        .value_kind:     by_value
      - .offset:         136
        .size:           4
        .value_kind:     by_value
      - .offset:         140
        .size:           4
        .value_kind:     by_value
    .group_segment_fixed_size: 0
    .kernarg_segment_align: 8
    .kernarg_segment_size: 144
    .language:       OpenCL C
    .language_version:
      - 2
      - 0
    .max_flat_workgroup_size: 32
    .name:           _ZL13mul_mat_vec_qIL9ggml_type40ELi4ELb0ELb0EEvPKvS2_PKi31ggml_cuda_mm_fusion_args_devicePfj15HIP_vector_typeIjLj3EEjjjS8_jjjS8_jjjj
    .private_segment_fixed_size: 0
    .sgpr_count:     30
    .sgpr_spill_count: 0
    .symbol:         _ZL13mul_mat_vec_qIL9ggml_type40ELi4ELb0ELb0EEvPKvS2_PKi31ggml_cuda_mm_fusion_args_devicePfj15HIP_vector_typeIjLj3EEjjjS8_jjjS8_jjjj.kd
    .uniform_work_group_size: 1
    .uses_dynamic_stack: false
    .vgpr_count:     74
    .vgpr_spill_count: 0
    .wavefront_size: 32
    .workgroup_processor_mode: 1
  - .args:
      - .address_space:  global
        .offset:         0
        .size:           8
        .value_kind:     global_buffer
      - .address_space:  global
        .offset:         8
        .size:           8
        .value_kind:     global_buffer
      - .address_space:  global
        .offset:         16
        .size:           8
        .value_kind:     global_buffer
      - .offset:         24
        .size:           32
        .value_kind:     by_value
      - .address_space:  global
        .offset:         56
        .size:           8
        .value_kind:     global_buffer
      - .offset:         64
        .size:           4
        .value_kind:     by_value
      - .offset:         68
        .size:           12
        .value_kind:     by_value
      - .offset:         80
        .size:           4
        .value_kind:     by_value
      - .offset:         84
        .size:           4
        .value_kind:     by_value
      - .offset:         88
        .size:           4
        .value_kind:     by_value
      - .offset:         92
        .size:           12
        .value_kind:     by_value
      - .offset:         104
        .size:           4
        .value_kind:     by_value
      - .offset:         108
        .size:           4
        .value_kind:     by_value
      - .offset:         112
        .size:           4
        .value_kind:     by_value
      - .offset:         116
        .size:           12
        .value_kind:     by_value
      - .offset:         128
        .size:           4
        .value_kind:     by_value
      - .offset:         132
        .size:           4
        .value_kind:     by_value
      - .offset:         136
        .size:           4
        .value_kind:     by_value
      - .offset:         140
        .size:           4
        .value_kind:     by_value
    .group_segment_fixed_size: 0
    .kernarg_segment_align: 8
    .kernarg_segment_size: 144
    .language:       OpenCL C
    .language_version:
      - 2
      - 0
    .max_flat_workgroup_size: 32
    .name:           _ZL13mul_mat_vec_qIL9ggml_type40ELi5ELb0ELb0EEvPKvS2_PKi31ggml_cuda_mm_fusion_args_devicePfj15HIP_vector_typeIjLj3EEjjjS8_jjjS8_jjjj
    .private_segment_fixed_size: 0
    .sgpr_count:     30
    .sgpr_spill_count: 0
    .symbol:         _ZL13mul_mat_vec_qIL9ggml_type40ELi5ELb0ELb0EEvPKvS2_PKi31ggml_cuda_mm_fusion_args_devicePfj15HIP_vector_typeIjLj3EEjjjS8_jjjS8_jjjj.kd
    .uniform_work_group_size: 1
    .uses_dynamic_stack: false
    .vgpr_count:     95
    .vgpr_spill_count: 0
    .wavefront_size: 32
    .workgroup_processor_mode: 1
  - .args:
      - .address_space:  global
        .offset:         0
        .size:           8
        .value_kind:     global_buffer
      - .address_space:  global
        .offset:         8
        .size:           8
        .value_kind:     global_buffer
      - .address_space:  global
        .offset:         16
        .size:           8
        .value_kind:     global_buffer
      - .offset:         24
        .size:           32
        .value_kind:     by_value
      - .address_space:  global
        .offset:         56
        .size:           8
        .value_kind:     global_buffer
      - .offset:         64
        .size:           4
        .value_kind:     by_value
      - .offset:         68
        .size:           12
        .value_kind:     by_value
      - .offset:         80
        .size:           4
        .value_kind:     by_value
      - .offset:         84
        .size:           4
        .value_kind:     by_value
      - .offset:         88
        .size:           4
        .value_kind:     by_value
      - .offset:         92
        .size:           12
        .value_kind:     by_value
      - .offset:         104
        .size:           4
        .value_kind:     by_value
      - .offset:         108
        .size:           4
        .value_kind:     by_value
      - .offset:         112
        .size:           4
        .value_kind:     by_value
      - .offset:         116
        .size:           12
        .value_kind:     by_value
      - .offset:         128
        .size:           4
        .value_kind:     by_value
      - .offset:         132
        .size:           4
        .value_kind:     by_value
      - .offset:         136
        .size:           4
        .value_kind:     by_value
      - .offset:         140
        .size:           4
        .value_kind:     by_value
    .group_segment_fixed_size: 0
    .kernarg_segment_align: 8
    .kernarg_segment_size: 144
    .language:       OpenCL C
    .language_version:
      - 2
      - 0
    .max_flat_workgroup_size: 32
    .name:           _ZL13mul_mat_vec_qIL9ggml_type40ELi6ELb0ELb0EEvPKvS2_PKi31ggml_cuda_mm_fusion_args_devicePfj15HIP_vector_typeIjLj3EEjjjS8_jjjS8_jjjj
    .private_segment_fixed_size: 0
    .sgpr_count:     30
    .sgpr_spill_count: 0
    .symbol:         _ZL13mul_mat_vec_qIL9ggml_type40ELi6ELb0ELb0EEvPKvS2_PKi31ggml_cuda_mm_fusion_args_devicePfj15HIP_vector_typeIjLj3EEjjjS8_jjjS8_jjjj.kd
    .uniform_work_group_size: 1
    .uses_dynamic_stack: false
    .vgpr_count:     110
    .vgpr_spill_count: 0
    .wavefront_size: 32
    .workgroup_processor_mode: 1
  - .args:
      - .address_space:  global
        .offset:         0
        .size:           8
        .value_kind:     global_buffer
      - .address_space:  global
        .offset:         8
        .size:           8
        .value_kind:     global_buffer
      - .address_space:  global
        .offset:         16
        .size:           8
        .value_kind:     global_buffer
      - .offset:         24
        .size:           32
        .value_kind:     by_value
      - .address_space:  global
        .offset:         56
        .size:           8
        .value_kind:     global_buffer
      - .offset:         64
        .size:           4
        .value_kind:     by_value
      - .offset:         68
        .size:           12
        .value_kind:     by_value
      - .offset:         80
        .size:           4
        .value_kind:     by_value
      - .offset:         84
        .size:           4
        .value_kind:     by_value
      - .offset:         88
        .size:           4
        .value_kind:     by_value
      - .offset:         92
        .size:           12
        .value_kind:     by_value
      - .offset:         104
        .size:           4
        .value_kind:     by_value
      - .offset:         108
        .size:           4
        .value_kind:     by_value
      - .offset:         112
        .size:           4
        .value_kind:     by_value
      - .offset:         116
        .size:           12
        .value_kind:     by_value
      - .offset:         128
        .size:           4
        .value_kind:     by_value
      - .offset:         132
        .size:           4
        .value_kind:     by_value
      - .offset:         136
        .size:           4
        .value_kind:     by_value
      - .offset:         140
        .size:           4
        .value_kind:     by_value
    .group_segment_fixed_size: 0
    .kernarg_segment_align: 8
    .kernarg_segment_size: 144
    .language:       OpenCL C
    .language_version:
      - 2
      - 0
    .max_flat_workgroup_size: 32
    .name:           _ZL13mul_mat_vec_qIL9ggml_type40ELi7ELb0ELb0EEvPKvS2_PKi31ggml_cuda_mm_fusion_args_devicePfj15HIP_vector_typeIjLj3EEjjjS8_jjjS8_jjjj
    .private_segment_fixed_size: 0
    .sgpr_count:     30
    .sgpr_spill_count: 0
    .symbol:         _ZL13mul_mat_vec_qIL9ggml_type40ELi7ELb0ELb0EEvPKvS2_PKi31ggml_cuda_mm_fusion_args_devicePfj15HIP_vector_typeIjLj3EEjjjS8_jjjS8_jjjj.kd
    .uniform_work_group_size: 1
    .uses_dynamic_stack: false
    .vgpr_count:     117
    .vgpr_spill_count: 0
    .wavefront_size: 32
    .workgroup_processor_mode: 1
  - .args:
      - .address_space:  global
        .offset:         0
        .size:           8
        .value_kind:     global_buffer
      - .address_space:  global
        .offset:         8
        .size:           8
        .value_kind:     global_buffer
      - .address_space:  global
        .offset:         16
        .size:           8
        .value_kind:     global_buffer
      - .offset:         24
        .size:           32
        .value_kind:     by_value
      - .address_space:  global
        .offset:         56
        .size:           8
        .value_kind:     global_buffer
      - .offset:         64
        .size:           4
        .value_kind:     by_value
      - .offset:         68
        .size:           12
        .value_kind:     by_value
      - .offset:         80
        .size:           4
        .value_kind:     by_value
      - .offset:         84
        .size:           4
        .value_kind:     by_value
      - .offset:         88
        .size:           4
        .value_kind:     by_value
      - .offset:         92
        .size:           12
        .value_kind:     by_value
      - .offset:         104
        .size:           4
        .value_kind:     by_value
      - .offset:         108
        .size:           4
        .value_kind:     by_value
      - .offset:         112
        .size:           4
        .value_kind:     by_value
      - .offset:         116
        .size:           12
        .value_kind:     by_value
      - .offset:         128
        .size:           4
        .value_kind:     by_value
      - .offset:         132
        .size:           4
        .value_kind:     by_value
      - .offset:         136
        .size:           4
        .value_kind:     by_value
      - .offset:         140
        .size:           4
        .value_kind:     by_value
    .group_segment_fixed_size: 0
    .kernarg_segment_align: 8
    .kernarg_segment_size: 144
    .language:       OpenCL C
    .language_version:
      - 2
      - 0
    .max_flat_workgroup_size: 32
    .name:           _ZL13mul_mat_vec_qIL9ggml_type40ELi8ELb0ELb0EEvPKvS2_PKi31ggml_cuda_mm_fusion_args_devicePfj15HIP_vector_typeIjLj3EEjjjS8_jjjS8_jjjj
    .private_segment_fixed_size: 0
    .sgpr_count:     30
    .sgpr_spill_count: 0
    .symbol:         _ZL13mul_mat_vec_qIL9ggml_type40ELi8ELb0ELb0EEvPKvS2_PKi31ggml_cuda_mm_fusion_args_devicePfj15HIP_vector_typeIjLj3EEjjjS8_jjjS8_jjjj.kd
    .uniform_work_group_size: 1
    .uses_dynamic_stack: false
    .vgpr_count:     120
    .vgpr_spill_count: 0
    .wavefront_size: 32
    .workgroup_processor_mode: 1
  - .args:
      - .address_space:  global
        .offset:         0
        .size:           8
        .value_kind:     global_buffer
      - .address_space:  global
        .offset:         8
        .size:           8
        .value_kind:     global_buffer
      - .address_space:  global
        .offset:         16
        .size:           8
        .value_kind:     global_buffer
      - .address_space:  global
        .offset:         24
        .size:           8
        .value_kind:     global_buffer
      - .offset:         32
        .size:           4
        .value_kind:     by_value
      - .offset:         36
        .size:           12
        .value_kind:     by_value
      - .offset:         48
        .size:           4
        .value_kind:     by_value
      - .offset:         52
        .size:           4
        .value_kind:     by_value
      - .offset:         56
        .size:           4
        .value_kind:     by_value
      - .offset:         60
        .size:           4
        .value_kind:     by_value
      - .offset:         64
        .size:           4
        .value_kind:     by_value
      - .offset:         68
        .size:           4
        .value_kind:     by_value
      - .offset:         72
        .size:           4
        .value_kind:     by_value
      - .offset:         76
        .size:           4
        .value_kind:     by_value
      - .offset:         80
        .size:           4
        .value_kind:     by_value
    .group_segment_fixed_size: 0
    .kernarg_segment_align: 8
    .kernarg_segment_size: 84
    .language:       OpenCL C
    .language_version:
      - 2
      - 0
    .max_flat_workgroup_size: 224
    .name:           _ZL17mul_mat_vec_q_moeIL9ggml_type10ELi2EEvPKvS2_PKiPfj15HIP_vector_typeIjLj3EEjjjjjjjjj
    .private_segment_fixed_size: 0
    .sgpr_count:     30
    .sgpr_spill_count: 0
    .symbol:         _ZL17mul_mat_vec_q_moeIL9ggml_type10ELi2EEvPKvS2_PKiPfj15HIP_vector_typeIjLj3EEjjjjjjjjj.kd
    .uniform_work_group_size: 1
    .uses_dynamic_stack: false
    .vgpr_count:     59
    .vgpr_spill_count: 0
    .wavefront_size: 32
    .workgroup_processor_mode: 1
  - .args:
      - .address_space:  global
        .offset:         0
        .size:           8
        .value_kind:     global_buffer
      - .address_space:  global
        .offset:         8
        .size:           8
        .value_kind:     global_buffer
      - .address_space:  global
        .offset:         16
        .size:           8
        .value_kind:     global_buffer
      - .offset:         24
        .size:           32
        .value_kind:     by_value
      - .address_space:  global
        .offset:         56
        .size:           8
        .value_kind:     global_buffer
      - .offset:         64
        .size:           4
        .value_kind:     by_value
      - .offset:         68
        .size:           12
        .value_kind:     by_value
      - .offset:         80
        .size:           4
        .value_kind:     by_value
      - .offset:         84
        .size:           4
        .value_kind:     by_value
      - .offset:         88
        .size:           4
        .value_kind:     by_value
      - .offset:         92
        .size:           12
        .value_kind:     by_value
      - .offset:         104
        .size:           4
        .value_kind:     by_value
      - .offset:         108
        .size:           4
        .value_kind:     by_value
      - .offset:         112
        .size:           4
        .value_kind:     by_value
      - .offset:         116
        .size:           12
        .value_kind:     by_value
      - .offset:         128
        .size:           4
        .value_kind:     by_value
      - .offset:         132
        .size:           4
        .value_kind:     by_value
      - .offset:         136
        .size:           4
        .value_kind:     by_value
      - .offset:         140
        .size:           4
        .value_kind:     by_value
    .group_segment_fixed_size: 0
    .kernarg_segment_align: 8
    .kernarg_segment_size: 144
    .language:       OpenCL C
    .language_version:
      - 2
      - 0
    .max_flat_workgroup_size: 32
    .name:           _ZL13mul_mat_vec_qIL9ggml_type10ELi1ELb1ELb1EEvPKvS2_PKi31ggml_cuda_mm_fusion_args_devicePfj15HIP_vector_typeIjLj3EEjjjS8_jjjS8_jjjj
    .private_segment_fixed_size: 0
    .sgpr_count:     42
    .sgpr_spill_count: 0
    .symbol:         _ZL13mul_mat_vec_qIL9ggml_type10ELi1ELb1ELb1EEvPKvS2_PKi31ggml_cuda_mm_fusion_args_devicePfj15HIP_vector_typeIjLj3EEjjjS8_jjjS8_jjjj.kd
    .uniform_work_group_size: 1
    .uses_dynamic_stack: false
    .vgpr_count:     48
    .vgpr_spill_count: 0
    .wavefront_size: 32
    .workgroup_processor_mode: 1
  - .args:
      - .address_space:  global
        .offset:         0
        .size:           8
        .value_kind:     global_buffer
      - .address_space:  global
        .offset:         8
        .size:           8
        .value_kind:     global_buffer
      - .address_space:  global
        .offset:         16
        .size:           8
        .value_kind:     global_buffer
      - .offset:         24
        .size:           32
        .value_kind:     by_value
      - .address_space:  global
        .offset:         56
        .size:           8
        .value_kind:     global_buffer
      - .offset:         64
        .size:           4
        .value_kind:     by_value
      - .offset:         68
        .size:           12
        .value_kind:     by_value
      - .offset:         80
        .size:           4
        .value_kind:     by_value
      - .offset:         84
        .size:           4
        .value_kind:     by_value
      - .offset:         88
        .size:           4
        .value_kind:     by_value
      - .offset:         92
        .size:           12
        .value_kind:     by_value
      - .offset:         104
        .size:           4
        .value_kind:     by_value
      - .offset:         108
        .size:           4
        .value_kind:     by_value
      - .offset:         112
        .size:           4
        .value_kind:     by_value
      - .offset:         116
        .size:           12
        .value_kind:     by_value
      - .offset:         128
        .size:           4
        .value_kind:     by_value
      - .offset:         132
        .size:           4
        .value_kind:     by_value
      - .offset:         136
        .size:           4
        .value_kind:     by_value
      - .offset:         140
        .size:           4
        .value_kind:     by_value
    .group_segment_fixed_size: 0
    .kernarg_segment_align: 8
    .kernarg_segment_size: 144
    .language:       OpenCL C
    .language_version:
      - 2
      - 0
    .max_flat_workgroup_size: 32
    .name:           _ZL13mul_mat_vec_qIL9ggml_type10ELi1ELb0ELb1EEvPKvS2_PKi31ggml_cuda_mm_fusion_args_devicePfj15HIP_vector_typeIjLj3EEjjjS8_jjjS8_jjjj
    .private_segment_fixed_size: 0
    .sgpr_count:     25
    .sgpr_spill_count: 0
    .symbol:         _ZL13mul_mat_vec_qIL9ggml_type10ELi1ELb0ELb1EEvPKvS2_PKi31ggml_cuda_mm_fusion_args_devicePfj15HIP_vector_typeIjLj3EEjjjS8_jjjS8_jjjj.kd
    .uniform_work_group_size: 1
    .uses_dynamic_stack: false
    .vgpr_count:     38
    .vgpr_spill_count: 0
    .wavefront_size: 32
    .workgroup_processor_mode: 1
  - .args:
      - .address_space:  global
        .offset:         0
        .size:           8
        .value_kind:     global_buffer
      - .address_space:  global
        .offset:         8
        .size:           8
        .value_kind:     global_buffer
      - .address_space:  global
        .offset:         16
        .size:           8
        .value_kind:     global_buffer
      - .offset:         24
        .size:           32
        .value_kind:     by_value
      - .address_space:  global
        .offset:         56
        .size:           8
        .value_kind:     global_buffer
      - .offset:         64
        .size:           4
        .value_kind:     by_value
      - .offset:         68
        .size:           12
        .value_kind:     by_value
      - .offset:         80
        .size:           4
        .value_kind:     by_value
      - .offset:         84
        .size:           4
        .value_kind:     by_value
      - .offset:         88
        .size:           4
        .value_kind:     by_value
      - .offset:         92
        .size:           12
        .value_kind:     by_value
      - .offset:         104
        .size:           4
        .value_kind:     by_value
      - .offset:         108
        .size:           4
        .value_kind:     by_value
      - .offset:         112
        .size:           4
        .value_kind:     by_value
      - .offset:         116
        .size:           12
        .value_kind:     by_value
      - .offset:         128
        .size:           4
        .value_kind:     by_value
      - .offset:         132
        .size:           4
        .value_kind:     by_value
      - .offset:         136
        .size:           4
        .value_kind:     by_value
      - .offset:         140
        .size:           4
        .value_kind:     by_value
    .group_segment_fixed_size: 0
    .kernarg_segment_align: 8
    .kernarg_segment_size: 144
    .language:       OpenCL C
    .language_version:
      - 2
      - 0
    .max_flat_workgroup_size: 32
    .name:           _ZL13mul_mat_vec_qIL9ggml_type10ELi1ELb1ELb0EEvPKvS2_PKi31ggml_cuda_mm_fusion_args_devicePfj15HIP_vector_typeIjLj3EEjjjS8_jjjS8_jjjj
    .private_segment_fixed_size: 0
    .sgpr_count:     42
    .sgpr_spill_count: 0
    .symbol:         _ZL13mul_mat_vec_qIL9ggml_type10ELi1ELb1ELb0EEvPKvS2_PKi31ggml_cuda_mm_fusion_args_devicePfj15HIP_vector_typeIjLj3EEjjjS8_jjjS8_jjjj.kd
    .uniform_work_group_size: 1
    .uses_dynamic_stack: false
    .vgpr_count:     48
    .vgpr_spill_count: 0
    .wavefront_size: 32
    .workgroup_processor_mode: 1
  - .args:
      - .address_space:  global
        .offset:         0
        .size:           8
        .value_kind:     global_buffer
      - .address_space:  global
        .offset:         8
        .size:           8
        .value_kind:     global_buffer
      - .address_space:  global
        .offset:         16
        .size:           8
        .value_kind:     global_buffer
      - .offset:         24
        .size:           32
        .value_kind:     by_value
      - .address_space:  global
        .offset:         56
        .size:           8
        .value_kind:     global_buffer
      - .offset:         64
        .size:           4
        .value_kind:     by_value
      - .offset:         68
        .size:           12
        .value_kind:     by_value
      - .offset:         80
        .size:           4
        .value_kind:     by_value
      - .offset:         84
        .size:           4
        .value_kind:     by_value
      - .offset:         88
        .size:           4
        .value_kind:     by_value
      - .offset:         92
        .size:           12
        .value_kind:     by_value
      - .offset:         104
        .size:           4
        .value_kind:     by_value
      - .offset:         108
        .size:           4
        .value_kind:     by_value
      - .offset:         112
        .size:           4
        .value_kind:     by_value
      - .offset:         116
        .size:           12
        .value_kind:     by_value
      - .offset:         128
        .size:           4
        .value_kind:     by_value
      - .offset:         132
        .size:           4
        .value_kind:     by_value
      - .offset:         136
        .size:           4
        .value_kind:     by_value
      - .offset:         140
        .size:           4
        .value_kind:     by_value
    .group_segment_fixed_size: 0
    .kernarg_segment_align: 8
    .kernarg_segment_size: 144
    .language:       OpenCL C
    .language_version:
      - 2
      - 0
    .max_flat_workgroup_size: 32
    .name:           _ZL13mul_mat_vec_qIL9ggml_type10ELi1ELb0ELb0EEvPKvS2_PKi31ggml_cuda_mm_fusion_args_devicePfj15HIP_vector_typeIjLj3EEjjjS8_jjjS8_jjjj
    .private_segment_fixed_size: 0
    .sgpr_count:     25
    .sgpr_spill_count: 0
    .symbol:         _ZL13mul_mat_vec_qIL9ggml_type10ELi1ELb0ELb0EEvPKvS2_PKi31ggml_cuda_mm_fusion_args_devicePfj15HIP_vector_typeIjLj3EEjjjS8_jjjS8_jjjj.kd
    .uniform_work_group_size: 1
    .uses_dynamic_stack: false
    .vgpr_count:     38
    .vgpr_spill_count: 0
    .wavefront_size: 32
    .workgroup_processor_mode: 1
  - .args:
      - .address_space:  global
        .offset:         0
        .size:           8
        .value_kind:     global_buffer
      - .address_space:  global
        .offset:         8
        .size:           8
        .value_kind:     global_buffer
      - .address_space:  global
        .offset:         16
        .size:           8
        .value_kind:     global_buffer
      - .offset:         24
        .size:           32
        .value_kind:     by_value
      - .address_space:  global
        .offset:         56
        .size:           8
        .value_kind:     global_buffer
      - .offset:         64
        .size:           4
        .value_kind:     by_value
      - .offset:         68
        .size:           12
        .value_kind:     by_value
      - .offset:         80
        .size:           4
        .value_kind:     by_value
      - .offset:         84
        .size:           4
        .value_kind:     by_value
      - .offset:         88
        .size:           4
        .value_kind:     by_value
      - .offset:         92
        .size:           12
        .value_kind:     by_value
      - .offset:         104
        .size:           4
        .value_kind:     by_value
      - .offset:         108
        .size:           4
        .value_kind:     by_value
      - .offset:         112
        .size:           4
        .value_kind:     by_value
      - .offset:         116
        .size:           12
        .value_kind:     by_value
      - .offset:         128
        .size:           4
        .value_kind:     by_value
      - .offset:         132
        .size:           4
        .value_kind:     by_value
      - .offset:         136
        .size:           4
        .value_kind:     by_value
      - .offset:         140
        .size:           4
        .value_kind:     by_value
    .group_segment_fixed_size: 0
    .kernarg_segment_align: 8
    .kernarg_segment_size: 144
    .language:       OpenCL C
    .language_version:
      - 2
      - 0
    .max_flat_workgroup_size: 32
    .name:           _ZL13mul_mat_vec_qIL9ggml_type10ELi2ELb0ELb0EEvPKvS2_PKi31ggml_cuda_mm_fusion_args_devicePfj15HIP_vector_typeIjLj3EEjjjS8_jjjS8_jjjj
    .private_segment_fixed_size: 0
    .sgpr_count:     28
    .sgpr_spill_count: 0
    .symbol:         _ZL13mul_mat_vec_qIL9ggml_type10ELi2ELb0ELb0EEvPKvS2_PKi31ggml_cuda_mm_fusion_args_devicePfj15HIP_vector_typeIjLj3EEjjjS8_jjjS8_jjjj.kd
    .uniform_work_group_size: 1
    .uses_dynamic_stack: false
    .vgpr_count:     60
    .vgpr_spill_count: 0
    .wavefront_size: 32
    .workgroup_processor_mode: 1
  - .args:
      - .address_space:  global
        .offset:         0
        .size:           8
        .value_kind:     global_buffer
      - .address_space:  global
        .offset:         8
        .size:           8
        .value_kind:     global_buffer
      - .address_space:  global
        .offset:         16
        .size:           8
        .value_kind:     global_buffer
      - .offset:         24
        .size:           32
        .value_kind:     by_value
      - .address_space:  global
        .offset:         56
        .size:           8
        .value_kind:     global_buffer
      - .offset:         64
        .size:           4
        .value_kind:     by_value
      - .offset:         68
        .size:           12
        .value_kind:     by_value
      - .offset:         80
        .size:           4
        .value_kind:     by_value
      - .offset:         84
        .size:           4
        .value_kind:     by_value
      - .offset:         88
        .size:           4
        .value_kind:     by_value
      - .offset:         92
        .size:           12
        .value_kind:     by_value
      - .offset:         104
        .size:           4
        .value_kind:     by_value
      - .offset:         108
        .size:           4
        .value_kind:     by_value
      - .offset:         112
        .size:           4
        .value_kind:     by_value
      - .offset:         116
        .size:           12
        .value_kind:     by_value
      - .offset:         128
        .size:           4
        .value_kind:     by_value
      - .offset:         132
        .size:           4
        .value_kind:     by_value
      - .offset:         136
        .size:           4
        .value_kind:     by_value
      - .offset:         140
        .size:           4
        .value_kind:     by_value
    .group_segment_fixed_size: 0
    .kernarg_segment_align: 8
    .kernarg_segment_size: 144
    .language:       OpenCL C
    .language_version:
      - 2
      - 0
    .max_flat_workgroup_size: 32
    .name:           _ZL13mul_mat_vec_qIL9ggml_type10ELi3ELb0ELb0EEvPKvS2_PKi31ggml_cuda_mm_fusion_args_devicePfj15HIP_vector_typeIjLj3EEjjjS8_jjjS8_jjjj
    .private_segment_fixed_size: 0
    .sgpr_count:     28
    .sgpr_spill_count: 0
    .symbol:         _ZL13mul_mat_vec_qIL9ggml_type10ELi3ELb0ELb0EEvPKvS2_PKi31ggml_cuda_mm_fusion_args_devicePfj15HIP_vector_typeIjLj3EEjjjS8_jjjS8_jjjj.kd
    .uniform_work_group_size: 1
    .uses_dynamic_stack: false
    .vgpr_count:     62
    .vgpr_spill_count: 0
    .wavefront_size: 32
    .workgroup_processor_mode: 1
  - .args:
      - .address_space:  global
        .offset:         0
        .size:           8
        .value_kind:     global_buffer
      - .address_space:  global
        .offset:         8
        .size:           8
        .value_kind:     global_buffer
      - .address_space:  global
        .offset:         16
        .size:           8
        .value_kind:     global_buffer
      - .offset:         24
        .size:           32
        .value_kind:     by_value
      - .address_space:  global
        .offset:         56
        .size:           8
        .value_kind:     global_buffer
      - .offset:         64
        .size:           4
        .value_kind:     by_value
      - .offset:         68
        .size:           12
        .value_kind:     by_value
      - .offset:         80
        .size:           4
        .value_kind:     by_value
      - .offset:         84
        .size:           4
        .value_kind:     by_value
      - .offset:         88
        .size:           4
        .value_kind:     by_value
      - .offset:         92
        .size:           12
        .value_kind:     by_value
      - .offset:         104
        .size:           4
        .value_kind:     by_value
      - .offset:         108
        .size:           4
        .value_kind:     by_value
      - .offset:         112
        .size:           4
        .value_kind:     by_value
      - .offset:         116
        .size:           12
        .value_kind:     by_value
      - .offset:         128
        .size:           4
        .value_kind:     by_value
      - .offset:         132
        .size:           4
        .value_kind:     by_value
      - .offset:         136
        .size:           4
        .value_kind:     by_value
      - .offset:         140
        .size:           4
        .value_kind:     by_value
    .group_segment_fixed_size: 0
    .kernarg_segment_align: 8
    .kernarg_segment_size: 144
    .language:       OpenCL C
    .language_version:
      - 2
      - 0
    .max_flat_workgroup_size: 32
    .name:           _ZL13mul_mat_vec_qIL9ggml_type10ELi4ELb0ELb0EEvPKvS2_PKi31ggml_cuda_mm_fusion_args_devicePfj15HIP_vector_typeIjLj3EEjjjS8_jjjS8_jjjj
    .private_segment_fixed_size: 0
    .sgpr_count:     28
    .sgpr_spill_count: 0
    .symbol:         _ZL13mul_mat_vec_qIL9ggml_type10ELi4ELb0ELb0EEvPKvS2_PKi31ggml_cuda_mm_fusion_args_devicePfj15HIP_vector_typeIjLj3EEjjjS8_jjjS8_jjjj.kd
    .uniform_work_group_size: 1
    .uses_dynamic_stack: false
    .vgpr_count:     42
    .vgpr_spill_count: 0
    .wavefront_size: 32
    .workgroup_processor_mode: 1
  - .args:
      - .address_space:  global
        .offset:         0
        .size:           8
        .value_kind:     global_buffer
      - .address_space:  global
        .offset:         8
        .size:           8
        .value_kind:     global_buffer
      - .address_space:  global
        .offset:         16
        .size:           8
        .value_kind:     global_buffer
      - .offset:         24
        .size:           32
        .value_kind:     by_value
      - .address_space:  global
        .offset:         56
        .size:           8
        .value_kind:     global_buffer
      - .offset:         64
        .size:           4
        .value_kind:     by_value
      - .offset:         68
        .size:           12
        .value_kind:     by_value
      - .offset:         80
        .size:           4
        .value_kind:     by_value
      - .offset:         84
        .size:           4
        .value_kind:     by_value
      - .offset:         88
        .size:           4
        .value_kind:     by_value
      - .offset:         92
        .size:           12
        .value_kind:     by_value
      - .offset:         104
        .size:           4
        .value_kind:     by_value
      - .offset:         108
        .size:           4
        .value_kind:     by_value
      - .offset:         112
        .size:           4
        .value_kind:     by_value
      - .offset:         116
        .size:           12
        .value_kind:     by_value
      - .offset:         128
        .size:           4
        .value_kind:     by_value
      - .offset:         132
        .size:           4
        .value_kind:     by_value
      - .offset:         136
        .size:           4
        .value_kind:     by_value
      - .offset:         140
        .size:           4
        .value_kind:     by_value
    .group_segment_fixed_size: 0
    .kernarg_segment_align: 8
    .kernarg_segment_size: 144
    .language:       OpenCL C
    .language_version:
      - 2
      - 0
    .max_flat_workgroup_size: 32
    .name:           _ZL13mul_mat_vec_qIL9ggml_type10ELi5ELb0ELb0EEvPKvS2_PKi31ggml_cuda_mm_fusion_args_devicePfj15HIP_vector_typeIjLj3EEjjjS8_jjjS8_jjjj
    .private_segment_fixed_size: 0
    .sgpr_count:     28
    .sgpr_spill_count: 0
    .symbol:         _ZL13mul_mat_vec_qIL9ggml_type10ELi5ELb0ELb0EEvPKvS2_PKi31ggml_cuda_mm_fusion_args_devicePfj15HIP_vector_typeIjLj3EEjjjS8_jjjS8_jjjj.kd
    .uniform_work_group_size: 1
    .uses_dynamic_stack: false
    .vgpr_count:     44
    .vgpr_spill_count: 0
    .wavefront_size: 32
    .workgroup_processor_mode: 1
  - .args:
      - .address_space:  global
        .offset:         0
        .size:           8
        .value_kind:     global_buffer
      - .address_space:  global
        .offset:         8
        .size:           8
        .value_kind:     global_buffer
      - .address_space:  global
        .offset:         16
        .size:           8
        .value_kind:     global_buffer
      - .offset:         24
        .size:           32
        .value_kind:     by_value
      - .address_space:  global
        .offset:         56
        .size:           8
        .value_kind:     global_buffer
      - .offset:         64
        .size:           4
        .value_kind:     by_value
      - .offset:         68
        .size:           12
        .value_kind:     by_value
      - .offset:         80
        .size:           4
        .value_kind:     by_value
      - .offset:         84
        .size:           4
        .value_kind:     by_value
      - .offset:         88
        .size:           4
        .value_kind:     by_value
      - .offset:         92
        .size:           12
        .value_kind:     by_value
      - .offset:         104
        .size:           4
        .value_kind:     by_value
      - .offset:         108
        .size:           4
        .value_kind:     by_value
      - .offset:         112
        .size:           4
        .value_kind:     by_value
      - .offset:         116
        .size:           12
        .value_kind:     by_value
      - .offset:         128
        .size:           4
        .value_kind:     by_value
      - .offset:         132
        .size:           4
        .value_kind:     by_value
      - .offset:         136
        .size:           4
        .value_kind:     by_value
      - .offset:         140
        .size:           4
        .value_kind:     by_value
    .group_segment_fixed_size: 0
    .kernarg_segment_align: 8
    .kernarg_segment_size: 144
    .language:       OpenCL C
    .language_version:
      - 2
      - 0
    .max_flat_workgroup_size: 32
    .name:           _ZL13mul_mat_vec_qIL9ggml_type10ELi6ELb0ELb0EEvPKvS2_PKi31ggml_cuda_mm_fusion_args_devicePfj15HIP_vector_typeIjLj3EEjjjS8_jjjS8_jjjj
    .private_segment_fixed_size: 0
    .sgpr_count:     28
    .sgpr_spill_count: 0
    .symbol:         _ZL13mul_mat_vec_qIL9ggml_type10ELi6ELb0ELb0EEvPKvS2_PKi31ggml_cuda_mm_fusion_args_devicePfj15HIP_vector_typeIjLj3EEjjjS8_jjjS8_jjjj.kd
    .uniform_work_group_size: 1
    .uses_dynamic_stack: false
    .vgpr_count:     46
    .vgpr_spill_count: 0
    .wavefront_size: 32
    .workgroup_processor_mode: 1
  - .args:
      - .address_space:  global
        .offset:         0
        .size:           8
        .value_kind:     global_buffer
      - .address_space:  global
        .offset:         8
        .size:           8
        .value_kind:     global_buffer
      - .address_space:  global
        .offset:         16
        .size:           8
        .value_kind:     global_buffer
      - .offset:         24
        .size:           32
        .value_kind:     by_value
      - .address_space:  global
        .offset:         56
        .size:           8
        .value_kind:     global_buffer
      - .offset:         64
        .size:           4
        .value_kind:     by_value
      - .offset:         68
        .size:           12
        .value_kind:     by_value
      - .offset:         80
        .size:           4
        .value_kind:     by_value
      - .offset:         84
        .size:           4
        .value_kind:     by_value
      - .offset:         88
        .size:           4
        .value_kind:     by_value
      - .offset:         92
        .size:           12
        .value_kind:     by_value
      - .offset:         104
        .size:           4
        .value_kind:     by_value
      - .offset:         108
        .size:           4
        .value_kind:     by_value
      - .offset:         112
        .size:           4
        .value_kind:     by_value
      - .offset:         116
        .size:           12
        .value_kind:     by_value
      - .offset:         128
        .size:           4
        .value_kind:     by_value
      - .offset:         132
        .size:           4
        .value_kind:     by_value
      - .offset:         136
        .size:           4
        .value_kind:     by_value
      - .offset:         140
        .size:           4
        .value_kind:     by_value
    .group_segment_fixed_size: 0
    .kernarg_segment_align: 8
    .kernarg_segment_size: 144
    .language:       OpenCL C
    .language_version:
      - 2
      - 0
    .max_flat_workgroup_size: 32
    .name:           _ZL13mul_mat_vec_qIL9ggml_type10ELi7ELb0ELb0EEvPKvS2_PKi31ggml_cuda_mm_fusion_args_devicePfj15HIP_vector_typeIjLj3EEjjjS8_jjjS8_jjjj
    .private_segment_fixed_size: 0
    .sgpr_count:     28
    .sgpr_spill_count: 0
    .symbol:         _ZL13mul_mat_vec_qIL9ggml_type10ELi7ELb0ELb0EEvPKvS2_PKi31ggml_cuda_mm_fusion_args_devicePfj15HIP_vector_typeIjLj3EEjjjS8_jjjS8_jjjj.kd
    .uniform_work_group_size: 1
    .uses_dynamic_stack: false
    .vgpr_count:     43
    .vgpr_spill_count: 0
    .wavefront_size: 32
    .workgroup_processor_mode: 1
  - .args:
      - .address_space:  global
        .offset:         0
        .size:           8
        .value_kind:     global_buffer
      - .address_space:  global
        .offset:         8
        .size:           8
        .value_kind:     global_buffer
      - .address_space:  global
        .offset:         16
        .size:           8
        .value_kind:     global_buffer
      - .offset:         24
        .size:           32
        .value_kind:     by_value
      - .address_space:  global
        .offset:         56
        .size:           8
        .value_kind:     global_buffer
      - .offset:         64
        .size:           4
        .value_kind:     by_value
      - .offset:         68
        .size:           12
        .value_kind:     by_value
      - .offset:         80
        .size:           4
        .value_kind:     by_value
      - .offset:         84
        .size:           4
        .value_kind:     by_value
      - .offset:         88
        .size:           4
        .value_kind:     by_value
      - .offset:         92
        .size:           12
        .value_kind:     by_value
      - .offset:         104
        .size:           4
        .value_kind:     by_value
      - .offset:         108
        .size:           4
        .value_kind:     by_value
      - .offset:         112
        .size:           4
        .value_kind:     by_value
      - .offset:         116
        .size:           12
        .value_kind:     by_value
      - .offset:         128
        .size:           4
        .value_kind:     by_value
      - .offset:         132
        .size:           4
        .value_kind:     by_value
      - .offset:         136
        .size:           4
        .value_kind:     by_value
      - .offset:         140
        .size:           4
        .value_kind:     by_value
    .group_segment_fixed_size: 0
    .kernarg_segment_align: 8
    .kernarg_segment_size: 144
    .language:       OpenCL C
    .language_version:
      - 2
      - 0
    .max_flat_workgroup_size: 32
    .name:           _ZL13mul_mat_vec_qIL9ggml_type10ELi8ELb0ELb0EEvPKvS2_PKi31ggml_cuda_mm_fusion_args_devicePfj15HIP_vector_typeIjLj3EEjjjS8_jjjS8_jjjj
    .private_segment_fixed_size: 0
    .sgpr_count:     28
    .sgpr_spill_count: 0
    .symbol:         _ZL13mul_mat_vec_qIL9ggml_type10ELi8ELb0ELb0EEvPKvS2_PKi31ggml_cuda_mm_fusion_args_devicePfj15HIP_vector_typeIjLj3EEjjjS8_jjjS8_jjjj.kd
    .uniform_work_group_size: 1
    .uses_dynamic_stack: false
    .vgpr_count:     44
    .vgpr_spill_count: 0
    .wavefront_size: 32
    .workgroup_processor_mode: 1
  - .args:
      - .address_space:  global
        .offset:         0
        .size:           8
        .value_kind:     global_buffer
      - .address_space:  global
        .offset:         8
        .size:           8
        .value_kind:     global_buffer
      - .address_space:  global
        .offset:         16
        .size:           8
        .value_kind:     global_buffer
      - .address_space:  global
        .offset:         24
        .size:           8
        .value_kind:     global_buffer
      - .offset:         32
        .size:           4
        .value_kind:     by_value
      - .offset:         36
        .size:           12
        .value_kind:     by_value
      - .offset:         48
        .size:           4
        .value_kind:     by_value
      - .offset:         52
        .size:           4
        .value_kind:     by_value
      - .offset:         56
        .size:           4
        .value_kind:     by_value
      - .offset:         60
        .size:           4
        .value_kind:     by_value
      - .offset:         64
        .size:           4
        .value_kind:     by_value
      - .offset:         68
        .size:           4
        .value_kind:     by_value
      - .offset:         72
        .size:           4
        .value_kind:     by_value
      - .offset:         76
        .size:           4
        .value_kind:     by_value
      - .offset:         80
        .size:           4
        .value_kind:     by_value
    .group_segment_fixed_size: 0
    .kernarg_segment_align: 8
    .kernarg_segment_size: 84
    .language:       OpenCL C
    .language_version:
      - 2
      - 0
    .max_flat_workgroup_size: 128
    .name:           _ZL17mul_mat_vec_q_moeIL9ggml_type11ELi2EEvPKvS2_PKiPfj15HIP_vector_typeIjLj3EEjjjjjjjjj
    .private_segment_fixed_size: 0
    .sgpr_count:     28
    .sgpr_spill_count: 0
    .symbol:         _ZL17mul_mat_vec_q_moeIL9ggml_type11ELi2EEvPKvS2_PKiPfj15HIP_vector_typeIjLj3EEjjjjjjjjj.kd
    .uniform_work_group_size: 1
    .uses_dynamic_stack: false
    .vgpr_count:     67
    .vgpr_spill_count: 0
    .wavefront_size: 32
    .workgroup_processor_mode: 1
  - .args:
      - .address_space:  global
        .offset:         0
        .size:           8
        .value_kind:     global_buffer
      - .address_space:  global
        .offset:         8
        .size:           8
        .value_kind:     global_buffer
      - .address_space:  global
        .offset:         16
        .size:           8
        .value_kind:     global_buffer
      - .offset:         24
        .size:           32
        .value_kind:     by_value
      - .address_space:  global
        .offset:         56
        .size:           8
        .value_kind:     global_buffer
      - .offset:         64
        .size:           4
        .value_kind:     by_value
      - .offset:         68
        .size:           12
        .value_kind:     by_value
      - .offset:         80
        .size:           4
        .value_kind:     by_value
      - .offset:         84
        .size:           4
        .value_kind:     by_value
      - .offset:         88
        .size:           4
        .value_kind:     by_value
      - .offset:         92
        .size:           12
        .value_kind:     by_value
      - .offset:         104
        .size:           4
        .value_kind:     by_value
      - .offset:         108
        .size:           4
        .value_kind:     by_value
      - .offset:         112
        .size:           4
        .value_kind:     by_value
      - .offset:         116
        .size:           12
        .value_kind:     by_value
      - .offset:         128
        .size:           4
        .value_kind:     by_value
      - .offset:         132
        .size:           4
        .value_kind:     by_value
      - .offset:         136
        .size:           4
        .value_kind:     by_value
      - .offset:         140
        .size:           4
        .value_kind:     by_value
    .group_segment_fixed_size: 0
    .kernarg_segment_align: 8
    .kernarg_segment_size: 144
    .language:       OpenCL C
    .language_version:
      - 2
      - 0
    .max_flat_workgroup_size: 32
    .name:           _ZL13mul_mat_vec_qIL9ggml_type11ELi1ELb1ELb1EEvPKvS2_PKi31ggml_cuda_mm_fusion_args_devicePfj15HIP_vector_typeIjLj3EEjjjS8_jjjS8_jjjj
    .private_segment_fixed_size: 0
    .sgpr_count:     42
    .sgpr_spill_count: 0
    .symbol:         _ZL13mul_mat_vec_qIL9ggml_type11ELi1ELb1ELb1EEvPKvS2_PKi31ggml_cuda_mm_fusion_args_devicePfj15HIP_vector_typeIjLj3EEjjjS8_jjjS8_jjjj.kd
    .uniform_work_group_size: 1
    .uses_dynamic_stack: false
    .vgpr_count:     60
    .vgpr_spill_count: 0
    .wavefront_size: 32
    .workgroup_processor_mode: 1
  - .args:
      - .address_space:  global
        .offset:         0
        .size:           8
        .value_kind:     global_buffer
      - .address_space:  global
        .offset:         8
        .size:           8
        .value_kind:     global_buffer
      - .address_space:  global
        .offset:         16
        .size:           8
        .value_kind:     global_buffer
      - .offset:         24
        .size:           32
        .value_kind:     by_value
      - .address_space:  global
        .offset:         56
        .size:           8
        .value_kind:     global_buffer
      - .offset:         64
        .size:           4
        .value_kind:     by_value
      - .offset:         68
        .size:           12
        .value_kind:     by_value
      - .offset:         80
        .size:           4
        .value_kind:     by_value
      - .offset:         84
        .size:           4
        .value_kind:     by_value
      - .offset:         88
        .size:           4
        .value_kind:     by_value
      - .offset:         92
        .size:           12
        .value_kind:     by_value
      - .offset:         104
        .size:           4
        .value_kind:     by_value
      - .offset:         108
        .size:           4
        .value_kind:     by_value
      - .offset:         112
        .size:           4
        .value_kind:     by_value
      - .offset:         116
        .size:           12
        .value_kind:     by_value
      - .offset:         128
        .size:           4
        .value_kind:     by_value
      - .offset:         132
        .size:           4
        .value_kind:     by_value
      - .offset:         136
        .size:           4
        .value_kind:     by_value
      - .offset:         140
        .size:           4
        .value_kind:     by_value
    .group_segment_fixed_size: 0
    .kernarg_segment_align: 8
    .kernarg_segment_size: 144
    .language:       OpenCL C
    .language_version:
      - 2
      - 0
    .max_flat_workgroup_size: 32
    .name:           _ZL13mul_mat_vec_qIL9ggml_type11ELi1ELb0ELb1EEvPKvS2_PKi31ggml_cuda_mm_fusion_args_devicePfj15HIP_vector_typeIjLj3EEjjjS8_jjjS8_jjjj
    .private_segment_fixed_size: 0
    .sgpr_count:     25
    .sgpr_spill_count: 0
    .symbol:         _ZL13mul_mat_vec_qIL9ggml_type11ELi1ELb0ELb1EEvPKvS2_PKi31ggml_cuda_mm_fusion_args_devicePfj15HIP_vector_typeIjLj3EEjjjS8_jjjS8_jjjj.kd
    .uniform_work_group_size: 1
    .uses_dynamic_stack: false
    .vgpr_count:     61
    .vgpr_spill_count: 0
    .wavefront_size: 32
    .workgroup_processor_mode: 1
  - .args:
      - .address_space:  global
        .offset:         0
        .size:           8
        .value_kind:     global_buffer
      - .address_space:  global
        .offset:         8
        .size:           8
        .value_kind:     global_buffer
      - .address_space:  global
        .offset:         16
        .size:           8
        .value_kind:     global_buffer
      - .offset:         24
        .size:           32
        .value_kind:     by_value
      - .address_space:  global
        .offset:         56
        .size:           8
        .value_kind:     global_buffer
      - .offset:         64
        .size:           4
        .value_kind:     by_value
      - .offset:         68
        .size:           12
        .value_kind:     by_value
      - .offset:         80
        .size:           4
        .value_kind:     by_value
      - .offset:         84
        .size:           4
        .value_kind:     by_value
      - .offset:         88
        .size:           4
        .value_kind:     by_value
      - .offset:         92
        .size:           12
        .value_kind:     by_value
      - .offset:         104
        .size:           4
        .value_kind:     by_value
      - .offset:         108
        .size:           4
        .value_kind:     by_value
      - .offset:         112
        .size:           4
        .value_kind:     by_value
      - .offset:         116
        .size:           12
        .value_kind:     by_value
      - .offset:         128
        .size:           4
        .value_kind:     by_value
      - .offset:         132
        .size:           4
        .value_kind:     by_value
      - .offset:         136
        .size:           4
        .value_kind:     by_value
      - .offset:         140
        .size:           4
        .value_kind:     by_value
    .group_segment_fixed_size: 0
    .kernarg_segment_align: 8
    .kernarg_segment_size: 144
    .language:       OpenCL C
    .language_version:
      - 2
      - 0
    .max_flat_workgroup_size: 32
    .name:           _ZL13mul_mat_vec_qIL9ggml_type11ELi1ELb1ELb0EEvPKvS2_PKi31ggml_cuda_mm_fusion_args_devicePfj15HIP_vector_typeIjLj3EEjjjS8_jjjS8_jjjj
    .private_segment_fixed_size: 0
    .sgpr_count:     42
    .sgpr_spill_count: 0
    .symbol:         _ZL13mul_mat_vec_qIL9ggml_type11ELi1ELb1ELb0EEvPKvS2_PKi31ggml_cuda_mm_fusion_args_devicePfj15HIP_vector_typeIjLj3EEjjjS8_jjjS8_jjjj.kd
    .uniform_work_group_size: 1
    .uses_dynamic_stack: false
    .vgpr_count:     60
    .vgpr_spill_count: 0
    .wavefront_size: 32
    .workgroup_processor_mode: 1
  - .args:
      - .address_space:  global
        .offset:         0
        .size:           8
        .value_kind:     global_buffer
      - .address_space:  global
        .offset:         8
        .size:           8
        .value_kind:     global_buffer
      - .address_space:  global
        .offset:         16
        .size:           8
        .value_kind:     global_buffer
      - .offset:         24
        .size:           32
        .value_kind:     by_value
      - .address_space:  global
        .offset:         56
        .size:           8
        .value_kind:     global_buffer
      - .offset:         64
        .size:           4
        .value_kind:     by_value
      - .offset:         68
        .size:           12
        .value_kind:     by_value
      - .offset:         80
        .size:           4
        .value_kind:     by_value
      - .offset:         84
        .size:           4
        .value_kind:     by_value
      - .offset:         88
        .size:           4
        .value_kind:     by_value
      - .offset:         92
        .size:           12
        .value_kind:     by_value
      - .offset:         104
        .size:           4
        .value_kind:     by_value
      - .offset:         108
        .size:           4
        .value_kind:     by_value
      - .offset:         112
        .size:           4
        .value_kind:     by_value
      - .offset:         116
        .size:           12
        .value_kind:     by_value
      - .offset:         128
        .size:           4
        .value_kind:     by_value
      - .offset:         132
        .size:           4
        .value_kind:     by_value
      - .offset:         136
        .size:           4
        .value_kind:     by_value
      - .offset:         140
        .size:           4
        .value_kind:     by_value
    .group_segment_fixed_size: 0
    .kernarg_segment_align: 8
    .kernarg_segment_size: 144
    .language:       OpenCL C
    .language_version:
      - 2
      - 0
    .max_flat_workgroup_size: 32
    .name:           _ZL13mul_mat_vec_qIL9ggml_type11ELi1ELb0ELb0EEvPKvS2_PKi31ggml_cuda_mm_fusion_args_devicePfj15HIP_vector_typeIjLj3EEjjjS8_jjjS8_jjjj
    .private_segment_fixed_size: 0
    .sgpr_count:     25
    .sgpr_spill_count: 0
    .symbol:         _ZL13mul_mat_vec_qIL9ggml_type11ELi1ELb0ELb0EEvPKvS2_PKi31ggml_cuda_mm_fusion_args_devicePfj15HIP_vector_typeIjLj3EEjjjS8_jjjS8_jjjj.kd
    .uniform_work_group_size: 1
    .uses_dynamic_stack: false
    .vgpr_count:     61
    .vgpr_spill_count: 0
    .wavefront_size: 32
    .workgroup_processor_mode: 1
  - .args:
      - .address_space:  global
        .offset:         0
        .size:           8
        .value_kind:     global_buffer
      - .address_space:  global
        .offset:         8
        .size:           8
        .value_kind:     global_buffer
      - .address_space:  global
        .offset:         16
        .size:           8
        .value_kind:     global_buffer
      - .offset:         24
        .size:           32
        .value_kind:     by_value
      - .address_space:  global
        .offset:         56
        .size:           8
        .value_kind:     global_buffer
      - .offset:         64
        .size:           4
        .value_kind:     by_value
      - .offset:         68
        .size:           12
        .value_kind:     by_value
      - .offset:         80
        .size:           4
        .value_kind:     by_value
      - .offset:         84
        .size:           4
        .value_kind:     by_value
      - .offset:         88
        .size:           4
        .value_kind:     by_value
      - .offset:         92
        .size:           12
        .value_kind:     by_value
      - .offset:         104
        .size:           4
        .value_kind:     by_value
      - .offset:         108
        .size:           4
        .value_kind:     by_value
      - .offset:         112
        .size:           4
        .value_kind:     by_value
      - .offset:         116
        .size:           12
        .value_kind:     by_value
      - .offset:         128
        .size:           4
        .value_kind:     by_value
      - .offset:         132
        .size:           4
        .value_kind:     by_value
      - .offset:         136
        .size:           4
        .value_kind:     by_value
      - .offset:         140
        .size:           4
        .value_kind:     by_value
    .group_segment_fixed_size: 0
    .kernarg_segment_align: 8
    .kernarg_segment_size: 144
    .language:       OpenCL C
    .language_version:
      - 2
      - 0
    .max_flat_workgroup_size: 32
    .name:           _ZL13mul_mat_vec_qIL9ggml_type11ELi2ELb0ELb0EEvPKvS2_PKi31ggml_cuda_mm_fusion_args_devicePfj15HIP_vector_typeIjLj3EEjjjS8_jjjS8_jjjj
    .private_segment_fixed_size: 0
    .sgpr_count:     28
    .sgpr_spill_count: 0
    .symbol:         _ZL13mul_mat_vec_qIL9ggml_type11ELi2ELb0ELb0EEvPKvS2_PKi31ggml_cuda_mm_fusion_args_devicePfj15HIP_vector_typeIjLj3EEjjjS8_jjjS8_jjjj.kd
    .uniform_work_group_size: 1
    .uses_dynamic_stack: false
    .vgpr_count:     62
    .vgpr_spill_count: 0
    .wavefront_size: 32
    .workgroup_processor_mode: 1
  - .args:
      - .address_space:  global
        .offset:         0
        .size:           8
        .value_kind:     global_buffer
      - .address_space:  global
        .offset:         8
        .size:           8
        .value_kind:     global_buffer
      - .address_space:  global
        .offset:         16
        .size:           8
        .value_kind:     global_buffer
      - .offset:         24
        .size:           32
        .value_kind:     by_value
      - .address_space:  global
        .offset:         56
        .size:           8
        .value_kind:     global_buffer
      - .offset:         64
        .size:           4
        .value_kind:     by_value
      - .offset:         68
        .size:           12
        .value_kind:     by_value
      - .offset:         80
        .size:           4
        .value_kind:     by_value
      - .offset:         84
        .size:           4
        .value_kind:     by_value
      - .offset:         88
        .size:           4
        .value_kind:     by_value
      - .offset:         92
        .size:           12
        .value_kind:     by_value
      - .offset:         104
        .size:           4
        .value_kind:     by_value
      - .offset:         108
        .size:           4
        .value_kind:     by_value
      - .offset:         112
        .size:           4
        .value_kind:     by_value
      - .offset:         116
        .size:           12
        .value_kind:     by_value
      - .offset:         128
        .size:           4
        .value_kind:     by_value
      - .offset:         132
        .size:           4
        .value_kind:     by_value
      - .offset:         136
        .size:           4
        .value_kind:     by_value
      - .offset:         140
        .size:           4
        .value_kind:     by_value
    .group_segment_fixed_size: 0
    .kernarg_segment_align: 8
    .kernarg_segment_size: 144
    .language:       OpenCL C
    .language_version:
      - 2
      - 0
    .max_flat_workgroup_size: 32
    .name:           _ZL13mul_mat_vec_qIL9ggml_type11ELi3ELb0ELb0EEvPKvS2_PKi31ggml_cuda_mm_fusion_args_devicePfj15HIP_vector_typeIjLj3EEjjjS8_jjjS8_jjjj
    .private_segment_fixed_size: 0
    .sgpr_count:     28
    .sgpr_spill_count: 0
    .symbol:         _ZL13mul_mat_vec_qIL9ggml_type11ELi3ELb0ELb0EEvPKvS2_PKi31ggml_cuda_mm_fusion_args_devicePfj15HIP_vector_typeIjLj3EEjjjS8_jjjS8_jjjj.kd
    .uniform_work_group_size: 1
    .uses_dynamic_stack: false
    .vgpr_count:     63
    .vgpr_spill_count: 0
    .wavefront_size: 32
    .workgroup_processor_mode: 1
  - .args:
      - .address_space:  global
        .offset:         0
        .size:           8
        .value_kind:     global_buffer
      - .address_space:  global
        .offset:         8
        .size:           8
        .value_kind:     global_buffer
      - .address_space:  global
        .offset:         16
        .size:           8
        .value_kind:     global_buffer
      - .offset:         24
        .size:           32
        .value_kind:     by_value
      - .address_space:  global
        .offset:         56
        .size:           8
        .value_kind:     global_buffer
      - .offset:         64
        .size:           4
        .value_kind:     by_value
      - .offset:         68
        .size:           12
        .value_kind:     by_value
      - .offset:         80
        .size:           4
        .value_kind:     by_value
      - .offset:         84
        .size:           4
        .value_kind:     by_value
      - .offset:         88
        .size:           4
        .value_kind:     by_value
      - .offset:         92
        .size:           12
        .value_kind:     by_value
      - .offset:         104
        .size:           4
        .value_kind:     by_value
      - .offset:         108
        .size:           4
        .value_kind:     by_value
      - .offset:         112
        .size:           4
        .value_kind:     by_value
      - .offset:         116
        .size:           12
        .value_kind:     by_value
      - .offset:         128
        .size:           4
        .value_kind:     by_value
      - .offset:         132
        .size:           4
        .value_kind:     by_value
      - .offset:         136
        .size:           4
        .value_kind:     by_value
      - .offset:         140
        .size:           4
        .value_kind:     by_value
    .group_segment_fixed_size: 0
    .kernarg_segment_align: 8
    .kernarg_segment_size: 144
    .language:       OpenCL C
    .language_version:
      - 2
      - 0
    .max_flat_workgroup_size: 32
    .name:           _ZL13mul_mat_vec_qIL9ggml_type11ELi4ELb0ELb0EEvPKvS2_PKi31ggml_cuda_mm_fusion_args_devicePfj15HIP_vector_typeIjLj3EEjjjS8_jjjS8_jjjj
    .private_segment_fixed_size: 0
    .sgpr_count:     28
    .sgpr_spill_count: 0
    .symbol:         _ZL13mul_mat_vec_qIL9ggml_type11ELi4ELb0ELb0EEvPKvS2_PKi31ggml_cuda_mm_fusion_args_devicePfj15HIP_vector_typeIjLj3EEjjjS8_jjjS8_jjjj.kd
    .uniform_work_group_size: 1
    .uses_dynamic_stack: false
    .vgpr_count:     53
    .vgpr_spill_count: 0
    .wavefront_size: 32
    .workgroup_processor_mode: 1
  - .args:
      - .address_space:  global
        .offset:         0
        .size:           8
        .value_kind:     global_buffer
      - .address_space:  global
        .offset:         8
        .size:           8
        .value_kind:     global_buffer
      - .address_space:  global
        .offset:         16
        .size:           8
        .value_kind:     global_buffer
      - .offset:         24
        .size:           32
        .value_kind:     by_value
      - .address_space:  global
        .offset:         56
        .size:           8
        .value_kind:     global_buffer
      - .offset:         64
        .size:           4
        .value_kind:     by_value
      - .offset:         68
        .size:           12
        .value_kind:     by_value
      - .offset:         80
        .size:           4
        .value_kind:     by_value
      - .offset:         84
        .size:           4
        .value_kind:     by_value
      - .offset:         88
        .size:           4
        .value_kind:     by_value
      - .offset:         92
        .size:           12
        .value_kind:     by_value
      - .offset:         104
        .size:           4
        .value_kind:     by_value
      - .offset:         108
        .size:           4
        .value_kind:     by_value
      - .offset:         112
        .size:           4
        .value_kind:     by_value
      - .offset:         116
        .size:           12
        .value_kind:     by_value
      - .offset:         128
        .size:           4
        .value_kind:     by_value
      - .offset:         132
        .size:           4
        .value_kind:     by_value
      - .offset:         136
        .size:           4
        .value_kind:     by_value
      - .offset:         140
        .size:           4
        .value_kind:     by_value
    .group_segment_fixed_size: 0
    .kernarg_segment_align: 8
    .kernarg_segment_size: 144
    .language:       OpenCL C
    .language_version:
      - 2
      - 0
    .max_flat_workgroup_size: 32
    .name:           _ZL13mul_mat_vec_qIL9ggml_type11ELi5ELb0ELb0EEvPKvS2_PKi31ggml_cuda_mm_fusion_args_devicePfj15HIP_vector_typeIjLj3EEjjjS8_jjjS8_jjjj
    .private_segment_fixed_size: 0
    .sgpr_count:     28
    .sgpr_spill_count: 0
    .symbol:         _ZL13mul_mat_vec_qIL9ggml_type11ELi5ELb0ELb0EEvPKvS2_PKi31ggml_cuda_mm_fusion_args_devicePfj15HIP_vector_typeIjLj3EEjjjS8_jjjS8_jjjj.kd
    .uniform_work_group_size: 1
    .uses_dynamic_stack: false
    .vgpr_count:     55
    .vgpr_spill_count: 0
    .wavefront_size: 32
    .workgroup_processor_mode: 1
  - .args:
      - .address_space:  global
        .offset:         0
        .size:           8
        .value_kind:     global_buffer
      - .address_space:  global
        .offset:         8
        .size:           8
        .value_kind:     global_buffer
      - .address_space:  global
        .offset:         16
        .size:           8
        .value_kind:     global_buffer
      - .offset:         24
        .size:           32
        .value_kind:     by_value
      - .address_space:  global
        .offset:         56
        .size:           8
        .value_kind:     global_buffer
      - .offset:         64
        .size:           4
        .value_kind:     by_value
      - .offset:         68
        .size:           12
        .value_kind:     by_value
      - .offset:         80
        .size:           4
        .value_kind:     by_value
      - .offset:         84
        .size:           4
        .value_kind:     by_value
      - .offset:         88
        .size:           4
        .value_kind:     by_value
      - .offset:         92
        .size:           12
        .value_kind:     by_value
      - .offset:         104
        .size:           4
        .value_kind:     by_value
      - .offset:         108
        .size:           4
        .value_kind:     by_value
      - .offset:         112
        .size:           4
        .value_kind:     by_value
      - .offset:         116
        .size:           12
        .value_kind:     by_value
      - .offset:         128
        .size:           4
        .value_kind:     by_value
      - .offset:         132
        .size:           4
        .value_kind:     by_value
      - .offset:         136
        .size:           4
        .value_kind:     by_value
      - .offset:         140
        .size:           4
        .value_kind:     by_value
    .group_segment_fixed_size: 0
    .kernarg_segment_align: 8
    .kernarg_segment_size: 144
    .language:       OpenCL C
    .language_version:
      - 2
      - 0
    .max_flat_workgroup_size: 32
    .name:           _ZL13mul_mat_vec_qIL9ggml_type11ELi6ELb0ELb0EEvPKvS2_PKi31ggml_cuda_mm_fusion_args_devicePfj15HIP_vector_typeIjLj3EEjjjS8_jjjS8_jjjj
    .private_segment_fixed_size: 0
    .sgpr_count:     28
    .sgpr_spill_count: 0
    .symbol:         _ZL13mul_mat_vec_qIL9ggml_type11ELi6ELb0ELb0EEvPKvS2_PKi31ggml_cuda_mm_fusion_args_devicePfj15HIP_vector_typeIjLj3EEjjjS8_jjjS8_jjjj.kd
    .uniform_work_group_size: 1
    .uses_dynamic_stack: false
    .vgpr_count:     57
    .vgpr_spill_count: 0
    .wavefront_size: 32
    .workgroup_processor_mode: 1
  - .args:
      - .address_space:  global
        .offset:         0
        .size:           8
        .value_kind:     global_buffer
      - .address_space:  global
        .offset:         8
        .size:           8
        .value_kind:     global_buffer
      - .address_space:  global
        .offset:         16
        .size:           8
        .value_kind:     global_buffer
      - .offset:         24
        .size:           32
        .value_kind:     by_value
      - .address_space:  global
        .offset:         56
        .size:           8
        .value_kind:     global_buffer
      - .offset:         64
        .size:           4
        .value_kind:     by_value
      - .offset:         68
        .size:           12
        .value_kind:     by_value
      - .offset:         80
        .size:           4
        .value_kind:     by_value
      - .offset:         84
        .size:           4
        .value_kind:     by_value
      - .offset:         88
        .size:           4
        .value_kind:     by_value
      - .offset:         92
        .size:           12
        .value_kind:     by_value
      - .offset:         104
        .size:           4
        .value_kind:     by_value
      - .offset:         108
        .size:           4
        .value_kind:     by_value
      - .offset:         112
        .size:           4
        .value_kind:     by_value
      - .offset:         116
        .size:           12
        .value_kind:     by_value
      - .offset:         128
        .size:           4
        .value_kind:     by_value
      - .offset:         132
        .size:           4
        .value_kind:     by_value
      - .offset:         136
        .size:           4
        .value_kind:     by_value
      - .offset:         140
        .size:           4
        .value_kind:     by_value
    .group_segment_fixed_size: 0
    .kernarg_segment_align: 8
    .kernarg_segment_size: 144
    .language:       OpenCL C
    .language_version:
      - 2
      - 0
    .max_flat_workgroup_size: 32
    .name:           _ZL13mul_mat_vec_qIL9ggml_type11ELi7ELb0ELb0EEvPKvS2_PKi31ggml_cuda_mm_fusion_args_devicePfj15HIP_vector_typeIjLj3EEjjjS8_jjjS8_jjjj
    .private_segment_fixed_size: 0
    .sgpr_count:     28
    .sgpr_spill_count: 0
    .symbol:         _ZL13mul_mat_vec_qIL9ggml_type11ELi7ELb0ELb0EEvPKvS2_PKi31ggml_cuda_mm_fusion_args_devicePfj15HIP_vector_typeIjLj3EEjjjS8_jjjS8_jjjj.kd
    .uniform_work_group_size: 1
    .uses_dynamic_stack: false
    .vgpr_count:     54
    .vgpr_spill_count: 0
    .wavefront_size: 32
    .workgroup_processor_mode: 1
  - .args:
      - .address_space:  global
        .offset:         0
        .size:           8
        .value_kind:     global_buffer
      - .address_space:  global
        .offset:         8
        .size:           8
        .value_kind:     global_buffer
      - .address_space:  global
        .offset:         16
        .size:           8
        .value_kind:     global_buffer
      - .offset:         24
        .size:           32
        .value_kind:     by_value
      - .address_space:  global
        .offset:         56
        .size:           8
        .value_kind:     global_buffer
      - .offset:         64
        .size:           4
        .value_kind:     by_value
      - .offset:         68
        .size:           12
        .value_kind:     by_value
      - .offset:         80
        .size:           4
        .value_kind:     by_value
      - .offset:         84
        .size:           4
        .value_kind:     by_value
      - .offset:         88
        .size:           4
        .value_kind:     by_value
      - .offset:         92
        .size:           12
        .value_kind:     by_value
      - .offset:         104
        .size:           4
        .value_kind:     by_value
      - .offset:         108
        .size:           4
        .value_kind:     by_value
      - .offset:         112
        .size:           4
        .value_kind:     by_value
      - .offset:         116
        .size:           12
        .value_kind:     by_value
      - .offset:         128
        .size:           4
        .value_kind:     by_value
      - .offset:         132
        .size:           4
        .value_kind:     by_value
      - .offset:         136
        .size:           4
        .value_kind:     by_value
      - .offset:         140
        .size:           4
        .value_kind:     by_value
    .group_segment_fixed_size: 0
    .kernarg_segment_align: 8
    .kernarg_segment_size: 144
    .language:       OpenCL C
    .language_version:
      - 2
      - 0
    .max_flat_workgroup_size: 32
    .name:           _ZL13mul_mat_vec_qIL9ggml_type11ELi8ELb0ELb0EEvPKvS2_PKi31ggml_cuda_mm_fusion_args_devicePfj15HIP_vector_typeIjLj3EEjjjS8_jjjS8_jjjj
    .private_segment_fixed_size: 0
    .sgpr_count:     28
    .sgpr_spill_count: 0
    .symbol:         _ZL13mul_mat_vec_qIL9ggml_type11ELi8ELb0ELb0EEvPKvS2_PKi31ggml_cuda_mm_fusion_args_devicePfj15HIP_vector_typeIjLj3EEjjjS8_jjjS8_jjjj.kd
    .uniform_work_group_size: 1
    .uses_dynamic_stack: false
    .vgpr_count:     55
    .vgpr_spill_count: 0
    .wavefront_size: 32
    .workgroup_processor_mode: 1
  - .args:
      - .address_space:  global
        .offset:         0
        .size:           8
        .value_kind:     global_buffer
      - .address_space:  global
        .offset:         8
        .size:           8
        .value_kind:     global_buffer
      - .address_space:  global
        .offset:         16
        .size:           8
        .value_kind:     global_buffer
      - .address_space:  global
        .offset:         24
        .size:           8
        .value_kind:     global_buffer
      - .offset:         32
        .size:           4
        .value_kind:     by_value
      - .offset:         36
        .size:           12
        .value_kind:     by_value
      - .offset:         48
        .size:           4
        .value_kind:     by_value
      - .offset:         52
        .size:           4
        .value_kind:     by_value
      - .offset:         56
        .size:           4
        .value_kind:     by_value
      - .offset:         60
        .size:           4
        .value_kind:     by_value
      - .offset:         64
        .size:           4
        .value_kind:     by_value
      - .offset:         68
        .size:           4
        .value_kind:     by_value
      - .offset:         72
        .size:           4
        .value_kind:     by_value
      - .offset:         76
        .size:           4
        .value_kind:     by_value
      - .offset:         80
        .size:           4
        .value_kind:     by_value
    .group_segment_fixed_size: 0
    .kernarg_segment_align: 8
    .kernarg_segment_size: 84
    .language:       OpenCL C
    .language_version:
      - 2
      - 0
    .max_flat_workgroup_size: 160
    .name:           _ZL17mul_mat_vec_q_moeIL9ggml_type12ELi2EEvPKvS2_PKiPfj15HIP_vector_typeIjLj3EEjjjjjjjjj
    .private_segment_fixed_size: 0
    .sgpr_count:     30
    .sgpr_spill_count: 0
    .symbol:         _ZL17mul_mat_vec_q_moeIL9ggml_type12ELi2EEvPKvS2_PKiPfj15HIP_vector_typeIjLj3EEjjjjjjjjj.kd
    .uniform_work_group_size: 1
    .uses_dynamic_stack: false
    .vgpr_count:     44
    .vgpr_spill_count: 0
    .wavefront_size: 32
    .workgroup_processor_mode: 1
  - .args:
      - .address_space:  global
        .offset:         0
        .size:           8
        .value_kind:     global_buffer
      - .address_space:  global
        .offset:         8
        .size:           8
        .value_kind:     global_buffer
      - .address_space:  global
        .offset:         16
        .size:           8
        .value_kind:     global_buffer
      - .offset:         24
        .size:           32
        .value_kind:     by_value
      - .address_space:  global
        .offset:         56
        .size:           8
        .value_kind:     global_buffer
      - .offset:         64
        .size:           4
        .value_kind:     by_value
      - .offset:         68
        .size:           12
        .value_kind:     by_value
      - .offset:         80
        .size:           4
        .value_kind:     by_value
      - .offset:         84
        .size:           4
        .value_kind:     by_value
      - .offset:         88
        .size:           4
        .value_kind:     by_value
      - .offset:         92
        .size:           12
        .value_kind:     by_value
      - .offset:         104
        .size:           4
        .value_kind:     by_value
      - .offset:         108
        .size:           4
        .value_kind:     by_value
      - .offset:         112
        .size:           4
        .value_kind:     by_value
      - .offset:         116
        .size:           12
        .value_kind:     by_value
      - .offset:         128
        .size:           4
        .value_kind:     by_value
      - .offset:         132
        .size:           4
        .value_kind:     by_value
      - .offset:         136
        .size:           4
        .value_kind:     by_value
      - .offset:         140
        .size:           4
        .value_kind:     by_value
    .group_segment_fixed_size: 0
    .kernarg_segment_align: 8
    .kernarg_segment_size: 144
    .language:       OpenCL C
    .language_version:
      - 2
      - 0
    .max_flat_workgroup_size: 32
    .name:           _ZL13mul_mat_vec_qIL9ggml_type12ELi1ELb1ELb1EEvPKvS2_PKi31ggml_cuda_mm_fusion_args_devicePfj15HIP_vector_typeIjLj3EEjjjS8_jjjS8_jjjj
    .private_segment_fixed_size: 0
    .sgpr_count:     42
    .sgpr_spill_count: 0
    .symbol:         _ZL13mul_mat_vec_qIL9ggml_type12ELi1ELb1ELb1EEvPKvS2_PKi31ggml_cuda_mm_fusion_args_devicePfj15HIP_vector_typeIjLj3EEjjjS8_jjjS8_jjjj.kd
    .uniform_work_group_size: 1
    .uses_dynamic_stack: false
    .vgpr_count:     35
    .vgpr_spill_count: 0
    .wavefront_size: 32
    .workgroup_processor_mode: 1
  - .args:
      - .address_space:  global
        .offset:         0
        .size:           8
        .value_kind:     global_buffer
      - .address_space:  global
        .offset:         8
        .size:           8
        .value_kind:     global_buffer
      - .address_space:  global
        .offset:         16
        .size:           8
        .value_kind:     global_buffer
      - .offset:         24
        .size:           32
        .value_kind:     by_value
      - .address_space:  global
        .offset:         56
        .size:           8
        .value_kind:     global_buffer
      - .offset:         64
        .size:           4
        .value_kind:     by_value
      - .offset:         68
        .size:           12
        .value_kind:     by_value
      - .offset:         80
        .size:           4
        .value_kind:     by_value
      - .offset:         84
        .size:           4
        .value_kind:     by_value
      - .offset:         88
        .size:           4
        .value_kind:     by_value
      - .offset:         92
        .size:           12
        .value_kind:     by_value
      - .offset:         104
        .size:           4
        .value_kind:     by_value
      - .offset:         108
        .size:           4
        .value_kind:     by_value
      - .offset:         112
        .size:           4
        .value_kind:     by_value
      - .offset:         116
        .size:           12
        .value_kind:     by_value
      - .offset:         128
        .size:           4
        .value_kind:     by_value
      - .offset:         132
        .size:           4
        .value_kind:     by_value
      - .offset:         136
        .size:           4
        .value_kind:     by_value
      - .offset:         140
        .size:           4
        .value_kind:     by_value
    .group_segment_fixed_size: 0
    .kernarg_segment_align: 8
    .kernarg_segment_size: 144
    .language:       OpenCL C
    .language_version:
      - 2
      - 0
    .max_flat_workgroup_size: 32
    .name:           _ZL13mul_mat_vec_qIL9ggml_type12ELi1ELb0ELb1EEvPKvS2_PKi31ggml_cuda_mm_fusion_args_devicePfj15HIP_vector_typeIjLj3EEjjjS8_jjjS8_jjjj
    .private_segment_fixed_size: 0
    .sgpr_count:     25
    .sgpr_spill_count: 0
    .symbol:         _ZL13mul_mat_vec_qIL9ggml_type12ELi1ELb0ELb1EEvPKvS2_PKi31ggml_cuda_mm_fusion_args_devicePfj15HIP_vector_typeIjLj3EEjjjS8_jjjS8_jjjj.kd
    .uniform_work_group_size: 1
    .uses_dynamic_stack: false
    .vgpr_count:     23
    .vgpr_spill_count: 0
    .wavefront_size: 32
    .workgroup_processor_mode: 1
  - .args:
      - .address_space:  global
        .offset:         0
        .size:           8
        .value_kind:     global_buffer
      - .address_space:  global
        .offset:         8
        .size:           8
        .value_kind:     global_buffer
      - .address_space:  global
        .offset:         16
        .size:           8
        .value_kind:     global_buffer
      - .offset:         24
        .size:           32
        .value_kind:     by_value
      - .address_space:  global
        .offset:         56
        .size:           8
        .value_kind:     global_buffer
      - .offset:         64
        .size:           4
        .value_kind:     by_value
      - .offset:         68
        .size:           12
        .value_kind:     by_value
      - .offset:         80
        .size:           4
        .value_kind:     by_value
      - .offset:         84
        .size:           4
        .value_kind:     by_value
      - .offset:         88
        .size:           4
        .value_kind:     by_value
      - .offset:         92
        .size:           12
        .value_kind:     by_value
      - .offset:         104
        .size:           4
        .value_kind:     by_value
      - .offset:         108
        .size:           4
        .value_kind:     by_value
      - .offset:         112
        .size:           4
        .value_kind:     by_value
      - .offset:         116
        .size:           12
        .value_kind:     by_value
      - .offset:         128
        .size:           4
        .value_kind:     by_value
      - .offset:         132
        .size:           4
        .value_kind:     by_value
      - .offset:         136
        .size:           4
        .value_kind:     by_value
      - .offset:         140
        .size:           4
        .value_kind:     by_value
    .group_segment_fixed_size: 0
    .kernarg_segment_align: 8
    .kernarg_segment_size: 144
    .language:       OpenCL C
    .language_version:
      - 2
      - 0
    .max_flat_workgroup_size: 32
    .name:           _ZL13mul_mat_vec_qIL9ggml_type12ELi1ELb1ELb0EEvPKvS2_PKi31ggml_cuda_mm_fusion_args_devicePfj15HIP_vector_typeIjLj3EEjjjS8_jjjS8_jjjj
    .private_segment_fixed_size: 0
    .sgpr_count:     42
    .sgpr_spill_count: 0
    .symbol:         _ZL13mul_mat_vec_qIL9ggml_type12ELi1ELb1ELb0EEvPKvS2_PKi31ggml_cuda_mm_fusion_args_devicePfj15HIP_vector_typeIjLj3EEjjjS8_jjjS8_jjjj.kd
    .uniform_work_group_size: 1
    .uses_dynamic_stack: false
    .vgpr_count:     35
    .vgpr_spill_count: 0
    .wavefront_size: 32
    .workgroup_processor_mode: 1
  - .args:
      - .address_space:  global
        .offset:         0
        .size:           8
        .value_kind:     global_buffer
      - .address_space:  global
        .offset:         8
        .size:           8
        .value_kind:     global_buffer
      - .address_space:  global
        .offset:         16
        .size:           8
        .value_kind:     global_buffer
      - .offset:         24
        .size:           32
        .value_kind:     by_value
      - .address_space:  global
        .offset:         56
        .size:           8
        .value_kind:     global_buffer
      - .offset:         64
        .size:           4
        .value_kind:     by_value
      - .offset:         68
        .size:           12
        .value_kind:     by_value
      - .offset:         80
        .size:           4
        .value_kind:     by_value
      - .offset:         84
        .size:           4
        .value_kind:     by_value
      - .offset:         88
        .size:           4
        .value_kind:     by_value
      - .offset:         92
        .size:           12
        .value_kind:     by_value
      - .offset:         104
        .size:           4
        .value_kind:     by_value
      - .offset:         108
        .size:           4
        .value_kind:     by_value
      - .offset:         112
        .size:           4
        .value_kind:     by_value
      - .offset:         116
        .size:           12
        .value_kind:     by_value
      - .offset:         128
        .size:           4
        .value_kind:     by_value
      - .offset:         132
        .size:           4
        .value_kind:     by_value
      - .offset:         136
        .size:           4
        .value_kind:     by_value
      - .offset:         140
        .size:           4
        .value_kind:     by_value
    .group_segment_fixed_size: 0
    .kernarg_segment_align: 8
    .kernarg_segment_size: 144
    .language:       OpenCL C
    .language_version:
      - 2
      - 0
    .max_flat_workgroup_size: 32
    .name:           _ZL13mul_mat_vec_qIL9ggml_type12ELi1ELb0ELb0EEvPKvS2_PKi31ggml_cuda_mm_fusion_args_devicePfj15HIP_vector_typeIjLj3EEjjjS8_jjjS8_jjjj
    .private_segment_fixed_size: 0
    .sgpr_count:     25
    .sgpr_spill_count: 0
    .symbol:         _ZL13mul_mat_vec_qIL9ggml_type12ELi1ELb0ELb0EEvPKvS2_PKi31ggml_cuda_mm_fusion_args_devicePfj15HIP_vector_typeIjLj3EEjjjS8_jjjS8_jjjj.kd
    .uniform_work_group_size: 1
    .uses_dynamic_stack: false
    .vgpr_count:     23
    .vgpr_spill_count: 0
    .wavefront_size: 32
    .workgroup_processor_mode: 1
  - .args:
      - .address_space:  global
        .offset:         0
        .size:           8
        .value_kind:     global_buffer
      - .address_space:  global
        .offset:         8
        .size:           8
        .value_kind:     global_buffer
      - .address_space:  global
        .offset:         16
        .size:           8
        .value_kind:     global_buffer
      - .offset:         24
        .size:           32
        .value_kind:     by_value
      - .address_space:  global
        .offset:         56
        .size:           8
        .value_kind:     global_buffer
      - .offset:         64
        .size:           4
        .value_kind:     by_value
      - .offset:         68
        .size:           12
        .value_kind:     by_value
      - .offset:         80
        .size:           4
        .value_kind:     by_value
      - .offset:         84
        .size:           4
        .value_kind:     by_value
      - .offset:         88
        .size:           4
        .value_kind:     by_value
      - .offset:         92
        .size:           12
        .value_kind:     by_value
      - .offset:         104
        .size:           4
        .value_kind:     by_value
      - .offset:         108
        .size:           4
        .value_kind:     by_value
      - .offset:         112
        .size:           4
        .value_kind:     by_value
      - .offset:         116
        .size:           12
        .value_kind:     by_value
      - .offset:         128
        .size:           4
        .value_kind:     by_value
      - .offset:         132
        .size:           4
        .value_kind:     by_value
      - .offset:         136
        .size:           4
        .value_kind:     by_value
      - .offset:         140
        .size:           4
        .value_kind:     by_value
    .group_segment_fixed_size: 0
    .kernarg_segment_align: 8
    .kernarg_segment_size: 144
    .language:       OpenCL C
    .language_version:
      - 2
      - 0
    .max_flat_workgroup_size: 32
    .name:           _ZL13mul_mat_vec_qIL9ggml_type12ELi2ELb0ELb0EEvPKvS2_PKi31ggml_cuda_mm_fusion_args_devicePfj15HIP_vector_typeIjLj3EEjjjS8_jjjS8_jjjj
    .private_segment_fixed_size: 0
    .sgpr_count:     28
    .sgpr_spill_count: 0
    .symbol:         _ZL13mul_mat_vec_qIL9ggml_type12ELi2ELb0ELb0EEvPKvS2_PKi31ggml_cuda_mm_fusion_args_devicePfj15HIP_vector_typeIjLj3EEjjjS8_jjjS8_jjjj.kd
    .uniform_work_group_size: 1
    .uses_dynamic_stack: false
    .vgpr_count:     41
    .vgpr_spill_count: 0
    .wavefront_size: 32
    .workgroup_processor_mode: 1
  - .args:
      - .address_space:  global
        .offset:         0
        .size:           8
        .value_kind:     global_buffer
      - .address_space:  global
        .offset:         8
        .size:           8
        .value_kind:     global_buffer
      - .address_space:  global
        .offset:         16
        .size:           8
        .value_kind:     global_buffer
      - .offset:         24
        .size:           32
        .value_kind:     by_value
      - .address_space:  global
        .offset:         56
        .size:           8
        .value_kind:     global_buffer
      - .offset:         64
        .size:           4
        .value_kind:     by_value
      - .offset:         68
        .size:           12
        .value_kind:     by_value
      - .offset:         80
        .size:           4
        .value_kind:     by_value
      - .offset:         84
        .size:           4
        .value_kind:     by_value
      - .offset:         88
        .size:           4
        .value_kind:     by_value
      - .offset:         92
        .size:           12
        .value_kind:     by_value
      - .offset:         104
        .size:           4
        .value_kind:     by_value
      - .offset:         108
        .size:           4
        .value_kind:     by_value
      - .offset:         112
        .size:           4
        .value_kind:     by_value
      - .offset:         116
        .size:           12
        .value_kind:     by_value
      - .offset:         128
        .size:           4
        .value_kind:     by_value
      - .offset:         132
        .size:           4
        .value_kind:     by_value
      - .offset:         136
        .size:           4
        .value_kind:     by_value
      - .offset:         140
        .size:           4
        .value_kind:     by_value
    .group_segment_fixed_size: 0
    .kernarg_segment_align: 8
    .kernarg_segment_size: 144
    .language:       OpenCL C
    .language_version:
      - 2
      - 0
    .max_flat_workgroup_size: 32
    .name:           _ZL13mul_mat_vec_qIL9ggml_type12ELi3ELb0ELb0EEvPKvS2_PKi31ggml_cuda_mm_fusion_args_devicePfj15HIP_vector_typeIjLj3EEjjjS8_jjjS8_jjjj
    .private_segment_fixed_size: 0
    .sgpr_count:     28
    .sgpr_spill_count: 0
    .symbol:         _ZL13mul_mat_vec_qIL9ggml_type12ELi3ELb0ELb0EEvPKvS2_PKi31ggml_cuda_mm_fusion_args_devicePfj15HIP_vector_typeIjLj3EEjjjS8_jjjS8_jjjj.kd
    .uniform_work_group_size: 1
    .uses_dynamic_stack: false
    .vgpr_count:     51
    .vgpr_spill_count: 0
    .wavefront_size: 32
    .workgroup_processor_mode: 1
  - .args:
      - .address_space:  global
        .offset:         0
        .size:           8
        .value_kind:     global_buffer
      - .address_space:  global
        .offset:         8
        .size:           8
        .value_kind:     global_buffer
      - .address_space:  global
        .offset:         16
        .size:           8
        .value_kind:     global_buffer
      - .offset:         24
        .size:           32
        .value_kind:     by_value
      - .address_space:  global
        .offset:         56
        .size:           8
        .value_kind:     global_buffer
      - .offset:         64
        .size:           4
        .value_kind:     by_value
      - .offset:         68
        .size:           12
        .value_kind:     by_value
      - .offset:         80
        .size:           4
        .value_kind:     by_value
      - .offset:         84
        .size:           4
        .value_kind:     by_value
      - .offset:         88
        .size:           4
        .value_kind:     by_value
      - .offset:         92
        .size:           12
        .value_kind:     by_value
      - .offset:         104
        .size:           4
        .value_kind:     by_value
      - .offset:         108
        .size:           4
        .value_kind:     by_value
      - .offset:         112
        .size:           4
        .value_kind:     by_value
      - .offset:         116
        .size:           12
        .value_kind:     by_value
      - .offset:         128
        .size:           4
        .value_kind:     by_value
      - .offset:         132
        .size:           4
        .value_kind:     by_value
      - .offset:         136
        .size:           4
        .value_kind:     by_value
      - .offset:         140
        .size:           4
        .value_kind:     by_value
    .group_segment_fixed_size: 0
    .kernarg_segment_align: 8
    .kernarg_segment_size: 144
    .language:       OpenCL C
    .language_version:
      - 2
      - 0
    .max_flat_workgroup_size: 32
    .name:           _ZL13mul_mat_vec_qIL9ggml_type12ELi4ELb0ELb0EEvPKvS2_PKi31ggml_cuda_mm_fusion_args_devicePfj15HIP_vector_typeIjLj3EEjjjS8_jjjS8_jjjj
    .private_segment_fixed_size: 0
    .sgpr_count:     28
    .sgpr_spill_count: 0
    .symbol:         _ZL13mul_mat_vec_qIL9ggml_type12ELi4ELb0ELb0EEvPKvS2_PKi31ggml_cuda_mm_fusion_args_devicePfj15HIP_vector_typeIjLj3EEjjjS8_jjjS8_jjjj.kd
    .uniform_work_group_size: 1
    .uses_dynamic_stack: false
    .vgpr_count:     61
    .vgpr_spill_count: 0
    .wavefront_size: 32
    .workgroup_processor_mode: 1
  - .args:
      - .address_space:  global
        .offset:         0
        .size:           8
        .value_kind:     global_buffer
      - .address_space:  global
        .offset:         8
        .size:           8
        .value_kind:     global_buffer
      - .address_space:  global
        .offset:         16
        .size:           8
        .value_kind:     global_buffer
      - .offset:         24
        .size:           32
        .value_kind:     by_value
      - .address_space:  global
        .offset:         56
        .size:           8
        .value_kind:     global_buffer
      - .offset:         64
        .size:           4
        .value_kind:     by_value
      - .offset:         68
        .size:           12
        .value_kind:     by_value
      - .offset:         80
        .size:           4
        .value_kind:     by_value
      - .offset:         84
        .size:           4
        .value_kind:     by_value
      - .offset:         88
        .size:           4
        .value_kind:     by_value
      - .offset:         92
        .size:           12
        .value_kind:     by_value
      - .offset:         104
        .size:           4
        .value_kind:     by_value
      - .offset:         108
        .size:           4
        .value_kind:     by_value
      - .offset:         112
        .size:           4
        .value_kind:     by_value
      - .offset:         116
        .size:           12
        .value_kind:     by_value
      - .offset:         128
        .size:           4
        .value_kind:     by_value
      - .offset:         132
        .size:           4
        .value_kind:     by_value
      - .offset:         136
        .size:           4
        .value_kind:     by_value
      - .offset:         140
        .size:           4
        .value_kind:     by_value
    .group_segment_fixed_size: 0
    .kernarg_segment_align: 8
    .kernarg_segment_size: 144
    .language:       OpenCL C
    .language_version:
      - 2
      - 0
    .max_flat_workgroup_size: 32
    .name:           _ZL13mul_mat_vec_qIL9ggml_type12ELi5ELb0ELb0EEvPKvS2_PKi31ggml_cuda_mm_fusion_args_devicePfj15HIP_vector_typeIjLj3EEjjjS8_jjjS8_jjjj
    .private_segment_fixed_size: 0
    .sgpr_count:     28
    .sgpr_spill_count: 0
    .symbol:         _ZL13mul_mat_vec_qIL9ggml_type12ELi5ELb0ELb0EEvPKvS2_PKi31ggml_cuda_mm_fusion_args_devicePfj15HIP_vector_typeIjLj3EEjjjS8_jjjS8_jjjj.kd
    .uniform_work_group_size: 1
    .uses_dynamic_stack: false
    .vgpr_count:     71
    .vgpr_spill_count: 0
    .wavefront_size: 32
    .workgroup_processor_mode: 1
  - .args:
      - .address_space:  global
        .offset:         0
        .size:           8
        .value_kind:     global_buffer
      - .address_space:  global
        .offset:         8
        .size:           8
        .value_kind:     global_buffer
      - .address_space:  global
        .offset:         16
        .size:           8
        .value_kind:     global_buffer
      - .offset:         24
        .size:           32
        .value_kind:     by_value
      - .address_space:  global
        .offset:         56
        .size:           8
        .value_kind:     global_buffer
      - .offset:         64
        .size:           4
        .value_kind:     by_value
      - .offset:         68
        .size:           12
        .value_kind:     by_value
      - .offset:         80
        .size:           4
        .value_kind:     by_value
      - .offset:         84
        .size:           4
        .value_kind:     by_value
      - .offset:         88
        .size:           4
        .value_kind:     by_value
      - .offset:         92
        .size:           12
        .value_kind:     by_value
      - .offset:         104
        .size:           4
        .value_kind:     by_value
      - .offset:         108
        .size:           4
        .value_kind:     by_value
      - .offset:         112
        .size:           4
        .value_kind:     by_value
      - .offset:         116
        .size:           12
        .value_kind:     by_value
      - .offset:         128
        .size:           4
        .value_kind:     by_value
      - .offset:         132
        .size:           4
        .value_kind:     by_value
      - .offset:         136
        .size:           4
        .value_kind:     by_value
      - .offset:         140
        .size:           4
        .value_kind:     by_value
    .group_segment_fixed_size: 0
    .kernarg_segment_align: 8
    .kernarg_segment_size: 144
    .language:       OpenCL C
    .language_version:
      - 2
      - 0
    .max_flat_workgroup_size: 32
    .name:           _ZL13mul_mat_vec_qIL9ggml_type12ELi6ELb0ELb0EEvPKvS2_PKi31ggml_cuda_mm_fusion_args_devicePfj15HIP_vector_typeIjLj3EEjjjS8_jjjS8_jjjj
    .private_segment_fixed_size: 0
    .sgpr_count:     28
    .sgpr_spill_count: 0
    .symbol:         _ZL13mul_mat_vec_qIL9ggml_type12ELi6ELb0ELb0EEvPKvS2_PKi31ggml_cuda_mm_fusion_args_devicePfj15HIP_vector_typeIjLj3EEjjjS8_jjjS8_jjjj.kd
    .uniform_work_group_size: 1
    .uses_dynamic_stack: false
    .vgpr_count:     81
    .vgpr_spill_count: 0
    .wavefront_size: 32
    .workgroup_processor_mode: 1
  - .args:
      - .address_space:  global
        .offset:         0
        .size:           8
        .value_kind:     global_buffer
      - .address_space:  global
        .offset:         8
        .size:           8
        .value_kind:     global_buffer
      - .address_space:  global
        .offset:         16
        .size:           8
        .value_kind:     global_buffer
      - .offset:         24
        .size:           32
        .value_kind:     by_value
      - .address_space:  global
        .offset:         56
        .size:           8
        .value_kind:     global_buffer
      - .offset:         64
        .size:           4
        .value_kind:     by_value
      - .offset:         68
        .size:           12
        .value_kind:     by_value
      - .offset:         80
        .size:           4
        .value_kind:     by_value
      - .offset:         84
        .size:           4
        .value_kind:     by_value
      - .offset:         88
        .size:           4
        .value_kind:     by_value
      - .offset:         92
        .size:           12
        .value_kind:     by_value
      - .offset:         104
        .size:           4
        .value_kind:     by_value
      - .offset:         108
        .size:           4
        .value_kind:     by_value
      - .offset:         112
        .size:           4
        .value_kind:     by_value
      - .offset:         116
        .size:           12
        .value_kind:     by_value
      - .offset:         128
        .size:           4
        .value_kind:     by_value
      - .offset:         132
        .size:           4
        .value_kind:     by_value
      - .offset:         136
        .size:           4
        .value_kind:     by_value
      - .offset:         140
        .size:           4
        .value_kind:     by_value
    .group_segment_fixed_size: 0
    .kernarg_segment_align: 8
    .kernarg_segment_size: 144
    .language:       OpenCL C
    .language_version:
      - 2
      - 0
    .max_flat_workgroup_size: 32
    .name:           _ZL13mul_mat_vec_qIL9ggml_type12ELi7ELb0ELb0EEvPKvS2_PKi31ggml_cuda_mm_fusion_args_devicePfj15HIP_vector_typeIjLj3EEjjjS8_jjjS8_jjjj
    .private_segment_fixed_size: 0
    .sgpr_count:     28
    .sgpr_spill_count: 0
    .symbol:         _ZL13mul_mat_vec_qIL9ggml_type12ELi7ELb0ELb0EEvPKvS2_PKi31ggml_cuda_mm_fusion_args_devicePfj15HIP_vector_typeIjLj3EEjjjS8_jjjS8_jjjj.kd
    .uniform_work_group_size: 1
    .uses_dynamic_stack: false
    .vgpr_count:     86
    .vgpr_spill_count: 0
    .wavefront_size: 32
    .workgroup_processor_mode: 1
  - .args:
      - .address_space:  global
        .offset:         0
        .size:           8
        .value_kind:     global_buffer
      - .address_space:  global
        .offset:         8
        .size:           8
        .value_kind:     global_buffer
      - .address_space:  global
        .offset:         16
        .size:           8
        .value_kind:     global_buffer
      - .offset:         24
        .size:           32
        .value_kind:     by_value
      - .address_space:  global
        .offset:         56
        .size:           8
        .value_kind:     global_buffer
      - .offset:         64
        .size:           4
        .value_kind:     by_value
      - .offset:         68
        .size:           12
        .value_kind:     by_value
      - .offset:         80
        .size:           4
        .value_kind:     by_value
      - .offset:         84
        .size:           4
        .value_kind:     by_value
      - .offset:         88
        .size:           4
        .value_kind:     by_value
      - .offset:         92
        .size:           12
        .value_kind:     by_value
      - .offset:         104
        .size:           4
        .value_kind:     by_value
      - .offset:         108
        .size:           4
        .value_kind:     by_value
      - .offset:         112
        .size:           4
        .value_kind:     by_value
      - .offset:         116
        .size:           12
        .value_kind:     by_value
      - .offset:         128
        .size:           4
        .value_kind:     by_value
      - .offset:         132
        .size:           4
        .value_kind:     by_value
      - .offset:         136
        .size:           4
        .value_kind:     by_value
      - .offset:         140
        .size:           4
        .value_kind:     by_value
    .group_segment_fixed_size: 0
    .kernarg_segment_align: 8
    .kernarg_segment_size: 144
    .language:       OpenCL C
    .language_version:
      - 2
      - 0
    .max_flat_workgroup_size: 32
    .name:           _ZL13mul_mat_vec_qIL9ggml_type12ELi8ELb0ELb0EEvPKvS2_PKi31ggml_cuda_mm_fusion_args_devicePfj15HIP_vector_typeIjLj3EEjjjS8_jjjS8_jjjj
    .private_segment_fixed_size: 0
    .sgpr_count:     28
    .sgpr_spill_count: 0
    .symbol:         _ZL13mul_mat_vec_qIL9ggml_type12ELi8ELb0ELb0EEvPKvS2_PKi31ggml_cuda_mm_fusion_args_devicePfj15HIP_vector_typeIjLj3EEjjjS8_jjjS8_jjjj.kd
    .uniform_work_group_size: 1
    .uses_dynamic_stack: false
    .vgpr_count:     95
    .vgpr_spill_count: 0
    .wavefront_size: 32
    .workgroup_processor_mode: 1
  - .args:
      - .address_space:  global
        .offset:         0
        .size:           8
        .value_kind:     global_buffer
      - .address_space:  global
        .offset:         8
        .size:           8
        .value_kind:     global_buffer
      - .address_space:  global
        .offset:         16
        .size:           8
        .value_kind:     global_buffer
      - .address_space:  global
        .offset:         24
        .size:           8
        .value_kind:     global_buffer
      - .offset:         32
        .size:           4
        .value_kind:     by_value
      - .offset:         36
        .size:           12
        .value_kind:     by_value
      - .offset:         48
        .size:           4
        .value_kind:     by_value
      - .offset:         52
        .size:           4
        .value_kind:     by_value
      - .offset:         56
        .size:           4
        .value_kind:     by_value
      - .offset:         60
        .size:           4
        .value_kind:     by_value
      - .offset:         64
        .size:           4
        .value_kind:     by_value
      - .offset:         68
        .size:           4
        .value_kind:     by_value
      - .offset:         72
        .size:           4
        .value_kind:     by_value
      - .offset:         76
        .size:           4
        .value_kind:     by_value
      - .offset:         80
        .size:           4
        .value_kind:     by_value
    .group_segment_fixed_size: 0
    .kernarg_segment_align: 8
    .kernarg_segment_size: 84
    .language:       OpenCL C
    .language_version:
      - 2
      - 0
    .max_flat_workgroup_size: 192
    .name:           _ZL17mul_mat_vec_q_moeIL9ggml_type13ELi2EEvPKvS2_PKiPfj15HIP_vector_typeIjLj3EEjjjjjjjjj
    .private_segment_fixed_size: 0
    .sgpr_count:     30
    .sgpr_spill_count: 0
    .symbol:         _ZL17mul_mat_vec_q_moeIL9ggml_type13ELi2EEvPKvS2_PKiPfj15HIP_vector_typeIjLj3EEjjjjjjjjj.kd
    .uniform_work_group_size: 1
    .uses_dynamic_stack: false
    .vgpr_count:     53
    .vgpr_spill_count: 0
    .wavefront_size: 32
    .workgroup_processor_mode: 1
  - .args:
      - .address_space:  global
        .offset:         0
        .size:           8
        .value_kind:     global_buffer
      - .address_space:  global
        .offset:         8
        .size:           8
        .value_kind:     global_buffer
      - .address_space:  global
        .offset:         16
        .size:           8
        .value_kind:     global_buffer
      - .offset:         24
        .size:           32
        .value_kind:     by_value
      - .address_space:  global
        .offset:         56
        .size:           8
        .value_kind:     global_buffer
      - .offset:         64
        .size:           4
        .value_kind:     by_value
      - .offset:         68
        .size:           12
        .value_kind:     by_value
      - .offset:         80
        .size:           4
        .value_kind:     by_value
      - .offset:         84
        .size:           4
        .value_kind:     by_value
      - .offset:         88
        .size:           4
        .value_kind:     by_value
      - .offset:         92
        .size:           12
        .value_kind:     by_value
      - .offset:         104
        .size:           4
        .value_kind:     by_value
      - .offset:         108
        .size:           4
        .value_kind:     by_value
      - .offset:         112
        .size:           4
        .value_kind:     by_value
      - .offset:         116
        .size:           12
        .value_kind:     by_value
      - .offset:         128
        .size:           4
        .value_kind:     by_value
      - .offset:         132
        .size:           4
        .value_kind:     by_value
      - .offset:         136
        .size:           4
        .value_kind:     by_value
      - .offset:         140
        .size:           4
        .value_kind:     by_value
    .group_segment_fixed_size: 0
    .kernarg_segment_align: 8
    .kernarg_segment_size: 144
    .language:       OpenCL C
    .language_version:
      - 2
      - 0
    .max_flat_workgroup_size: 32
    .name:           _ZL13mul_mat_vec_qIL9ggml_type13ELi1ELb1ELb1EEvPKvS2_PKi31ggml_cuda_mm_fusion_args_devicePfj15HIP_vector_typeIjLj3EEjjjS8_jjjS8_jjjj
    .private_segment_fixed_size: 0
    .sgpr_count:     42
    .sgpr_spill_count: 0
    .symbol:         _ZL13mul_mat_vec_qIL9ggml_type13ELi1ELb1ELb1EEvPKvS2_PKi31ggml_cuda_mm_fusion_args_devicePfj15HIP_vector_typeIjLj3EEjjjS8_jjjS8_jjjj.kd
    .uniform_work_group_size: 1
    .uses_dynamic_stack: false
    .vgpr_count:     40
    .vgpr_spill_count: 0
    .wavefront_size: 32
    .workgroup_processor_mode: 1
  - .args:
      - .address_space:  global
        .offset:         0
        .size:           8
        .value_kind:     global_buffer
      - .address_space:  global
        .offset:         8
        .size:           8
        .value_kind:     global_buffer
      - .address_space:  global
        .offset:         16
        .size:           8
        .value_kind:     global_buffer
      - .offset:         24
        .size:           32
        .value_kind:     by_value
      - .address_space:  global
        .offset:         56
        .size:           8
        .value_kind:     global_buffer
      - .offset:         64
        .size:           4
        .value_kind:     by_value
      - .offset:         68
        .size:           12
        .value_kind:     by_value
      - .offset:         80
        .size:           4
        .value_kind:     by_value
      - .offset:         84
        .size:           4
        .value_kind:     by_value
      - .offset:         88
        .size:           4
        .value_kind:     by_value
      - .offset:         92
        .size:           12
        .value_kind:     by_value
      - .offset:         104
        .size:           4
        .value_kind:     by_value
      - .offset:         108
        .size:           4
        .value_kind:     by_value
      - .offset:         112
        .size:           4
        .value_kind:     by_value
      - .offset:         116
        .size:           12
        .value_kind:     by_value
      - .offset:         128
        .size:           4
        .value_kind:     by_value
      - .offset:         132
        .size:           4
        .value_kind:     by_value
      - .offset:         136
        .size:           4
        .value_kind:     by_value
      - .offset:         140
        .size:           4
        .value_kind:     by_value
    .group_segment_fixed_size: 0
    .kernarg_segment_align: 8
    .kernarg_segment_size: 144
    .language:       OpenCL C
    .language_version:
      - 2
      - 0
    .max_flat_workgroup_size: 32
    .name:           _ZL13mul_mat_vec_qIL9ggml_type13ELi1ELb0ELb1EEvPKvS2_PKi31ggml_cuda_mm_fusion_args_devicePfj15HIP_vector_typeIjLj3EEjjjS8_jjjS8_jjjj
    .private_segment_fixed_size: 0
    .sgpr_count:     25
    .sgpr_spill_count: 0
    .symbol:         _ZL13mul_mat_vec_qIL9ggml_type13ELi1ELb0ELb1EEvPKvS2_PKi31ggml_cuda_mm_fusion_args_devicePfj15HIP_vector_typeIjLj3EEjjjS8_jjjS8_jjjj.kd
    .uniform_work_group_size: 1
    .uses_dynamic_stack: false
    .vgpr_count:     28
    .vgpr_spill_count: 0
    .wavefront_size: 32
    .workgroup_processor_mode: 1
  - .args:
      - .address_space:  global
        .offset:         0
        .size:           8
        .value_kind:     global_buffer
      - .address_space:  global
        .offset:         8
        .size:           8
        .value_kind:     global_buffer
      - .address_space:  global
        .offset:         16
        .size:           8
        .value_kind:     global_buffer
      - .offset:         24
        .size:           32
        .value_kind:     by_value
      - .address_space:  global
        .offset:         56
        .size:           8
        .value_kind:     global_buffer
      - .offset:         64
        .size:           4
        .value_kind:     by_value
      - .offset:         68
        .size:           12
        .value_kind:     by_value
      - .offset:         80
        .size:           4
        .value_kind:     by_value
      - .offset:         84
        .size:           4
        .value_kind:     by_value
      - .offset:         88
        .size:           4
        .value_kind:     by_value
      - .offset:         92
        .size:           12
        .value_kind:     by_value
      - .offset:         104
        .size:           4
        .value_kind:     by_value
      - .offset:         108
        .size:           4
        .value_kind:     by_value
      - .offset:         112
        .size:           4
        .value_kind:     by_value
      - .offset:         116
        .size:           12
        .value_kind:     by_value
      - .offset:         128
        .size:           4
        .value_kind:     by_value
      - .offset:         132
        .size:           4
        .value_kind:     by_value
      - .offset:         136
        .size:           4
        .value_kind:     by_value
      - .offset:         140
        .size:           4
        .value_kind:     by_value
    .group_segment_fixed_size: 0
    .kernarg_segment_align: 8
    .kernarg_segment_size: 144
    .language:       OpenCL C
    .language_version:
      - 2
      - 0
    .max_flat_workgroup_size: 32
    .name:           _ZL13mul_mat_vec_qIL9ggml_type13ELi1ELb1ELb0EEvPKvS2_PKi31ggml_cuda_mm_fusion_args_devicePfj15HIP_vector_typeIjLj3EEjjjS8_jjjS8_jjjj
    .private_segment_fixed_size: 0
    .sgpr_count:     42
    .sgpr_spill_count: 0
    .symbol:         _ZL13mul_mat_vec_qIL9ggml_type13ELi1ELb1ELb0EEvPKvS2_PKi31ggml_cuda_mm_fusion_args_devicePfj15HIP_vector_typeIjLj3EEjjjS8_jjjS8_jjjj.kd
    .uniform_work_group_size: 1
    .uses_dynamic_stack: false
    .vgpr_count:     40
    .vgpr_spill_count: 0
    .wavefront_size: 32
    .workgroup_processor_mode: 1
  - .args:
      - .address_space:  global
        .offset:         0
        .size:           8
        .value_kind:     global_buffer
      - .address_space:  global
        .offset:         8
        .size:           8
        .value_kind:     global_buffer
      - .address_space:  global
        .offset:         16
        .size:           8
        .value_kind:     global_buffer
      - .offset:         24
        .size:           32
        .value_kind:     by_value
      - .address_space:  global
        .offset:         56
        .size:           8
        .value_kind:     global_buffer
      - .offset:         64
        .size:           4
        .value_kind:     by_value
      - .offset:         68
        .size:           12
        .value_kind:     by_value
      - .offset:         80
        .size:           4
        .value_kind:     by_value
      - .offset:         84
        .size:           4
        .value_kind:     by_value
      - .offset:         88
        .size:           4
        .value_kind:     by_value
      - .offset:         92
        .size:           12
        .value_kind:     by_value
      - .offset:         104
        .size:           4
        .value_kind:     by_value
      - .offset:         108
        .size:           4
        .value_kind:     by_value
      - .offset:         112
        .size:           4
        .value_kind:     by_value
      - .offset:         116
        .size:           12
        .value_kind:     by_value
      - .offset:         128
        .size:           4
        .value_kind:     by_value
      - .offset:         132
        .size:           4
        .value_kind:     by_value
      - .offset:         136
        .size:           4
        .value_kind:     by_value
      - .offset:         140
        .size:           4
        .value_kind:     by_value
    .group_segment_fixed_size: 0
    .kernarg_segment_align: 8
    .kernarg_segment_size: 144
    .language:       OpenCL C
    .language_version:
      - 2
      - 0
    .max_flat_workgroup_size: 32
    .name:           _ZL13mul_mat_vec_qIL9ggml_type13ELi1ELb0ELb0EEvPKvS2_PKi31ggml_cuda_mm_fusion_args_devicePfj15HIP_vector_typeIjLj3EEjjjS8_jjjS8_jjjj
    .private_segment_fixed_size: 0
    .sgpr_count:     25
    .sgpr_spill_count: 0
    .symbol:         _ZL13mul_mat_vec_qIL9ggml_type13ELi1ELb0ELb0EEvPKvS2_PKi31ggml_cuda_mm_fusion_args_devicePfj15HIP_vector_typeIjLj3EEjjjS8_jjjS8_jjjj.kd
    .uniform_work_group_size: 1
    .uses_dynamic_stack: false
    .vgpr_count:     28
    .vgpr_spill_count: 0
    .wavefront_size: 32
    .workgroup_processor_mode: 1
  - .args:
      - .address_space:  global
        .offset:         0
        .size:           8
        .value_kind:     global_buffer
      - .address_space:  global
        .offset:         8
        .size:           8
        .value_kind:     global_buffer
      - .address_space:  global
        .offset:         16
        .size:           8
        .value_kind:     global_buffer
      - .offset:         24
        .size:           32
        .value_kind:     by_value
      - .address_space:  global
        .offset:         56
        .size:           8
        .value_kind:     global_buffer
      - .offset:         64
        .size:           4
        .value_kind:     by_value
      - .offset:         68
        .size:           12
        .value_kind:     by_value
      - .offset:         80
        .size:           4
        .value_kind:     by_value
      - .offset:         84
        .size:           4
        .value_kind:     by_value
      - .offset:         88
        .size:           4
        .value_kind:     by_value
      - .offset:         92
        .size:           12
        .value_kind:     by_value
      - .offset:         104
        .size:           4
        .value_kind:     by_value
      - .offset:         108
        .size:           4
        .value_kind:     by_value
      - .offset:         112
        .size:           4
        .value_kind:     by_value
      - .offset:         116
        .size:           12
        .value_kind:     by_value
      - .offset:         128
        .size:           4
        .value_kind:     by_value
      - .offset:         132
        .size:           4
        .value_kind:     by_value
      - .offset:         136
        .size:           4
        .value_kind:     by_value
      - .offset:         140
        .size:           4
        .value_kind:     by_value
    .group_segment_fixed_size: 0
    .kernarg_segment_align: 8
    .kernarg_segment_size: 144
    .language:       OpenCL C
    .language_version:
      - 2
      - 0
    .max_flat_workgroup_size: 32
    .name:           _ZL13mul_mat_vec_qIL9ggml_type13ELi2ELb0ELb0EEvPKvS2_PKi31ggml_cuda_mm_fusion_args_devicePfj15HIP_vector_typeIjLj3EEjjjS8_jjjS8_jjjj
    .private_segment_fixed_size: 0
    .sgpr_count:     28
    .sgpr_spill_count: 0
    .symbol:         _ZL13mul_mat_vec_qIL9ggml_type13ELi2ELb0ELb0EEvPKvS2_PKi31ggml_cuda_mm_fusion_args_devicePfj15HIP_vector_typeIjLj3EEjjjS8_jjjS8_jjjj.kd
    .uniform_work_group_size: 1
    .uses_dynamic_stack: false
    .vgpr_count:     45
    .vgpr_spill_count: 0
    .wavefront_size: 32
    .workgroup_processor_mode: 1
  - .args:
      - .address_space:  global
        .offset:         0
        .size:           8
        .value_kind:     global_buffer
      - .address_space:  global
        .offset:         8
        .size:           8
        .value_kind:     global_buffer
      - .address_space:  global
        .offset:         16
        .size:           8
        .value_kind:     global_buffer
      - .offset:         24
        .size:           32
        .value_kind:     by_value
      - .address_space:  global
        .offset:         56
        .size:           8
        .value_kind:     global_buffer
      - .offset:         64
        .size:           4
        .value_kind:     by_value
      - .offset:         68
        .size:           12
        .value_kind:     by_value
      - .offset:         80
        .size:           4
        .value_kind:     by_value
      - .offset:         84
        .size:           4
        .value_kind:     by_value
      - .offset:         88
        .size:           4
        .value_kind:     by_value
      - .offset:         92
        .size:           12
        .value_kind:     by_value
      - .offset:         104
        .size:           4
        .value_kind:     by_value
      - .offset:         108
        .size:           4
        .value_kind:     by_value
      - .offset:         112
        .size:           4
        .value_kind:     by_value
      - .offset:         116
        .size:           12
        .value_kind:     by_value
      - .offset:         128
        .size:           4
        .value_kind:     by_value
      - .offset:         132
        .size:           4
        .value_kind:     by_value
      - .offset:         136
        .size:           4
        .value_kind:     by_value
      - .offset:         140
        .size:           4
        .value_kind:     by_value
    .group_segment_fixed_size: 0
    .kernarg_segment_align: 8
    .kernarg_segment_size: 144
    .language:       OpenCL C
    .language_version:
      - 2
      - 0
    .max_flat_workgroup_size: 32
    .name:           _ZL13mul_mat_vec_qIL9ggml_type13ELi3ELb0ELb0EEvPKvS2_PKi31ggml_cuda_mm_fusion_args_devicePfj15HIP_vector_typeIjLj3EEjjjS8_jjjS8_jjjj
    .private_segment_fixed_size: 0
    .sgpr_count:     28
    .sgpr_spill_count: 0
    .symbol:         _ZL13mul_mat_vec_qIL9ggml_type13ELi3ELb0ELb0EEvPKvS2_PKi31ggml_cuda_mm_fusion_args_devicePfj15HIP_vector_typeIjLj3EEjjjS8_jjjS8_jjjj.kd
    .uniform_work_group_size: 1
    .uses_dynamic_stack: false
    .vgpr_count:     52
    .vgpr_spill_count: 0
    .wavefront_size: 32
    .workgroup_processor_mode: 1
  - .args:
      - .address_space:  global
        .offset:         0
        .size:           8
        .value_kind:     global_buffer
      - .address_space:  global
        .offset:         8
        .size:           8
        .value_kind:     global_buffer
      - .address_space:  global
        .offset:         16
        .size:           8
        .value_kind:     global_buffer
      - .offset:         24
        .size:           32
        .value_kind:     by_value
      - .address_space:  global
        .offset:         56
        .size:           8
        .value_kind:     global_buffer
      - .offset:         64
        .size:           4
        .value_kind:     by_value
      - .offset:         68
        .size:           12
        .value_kind:     by_value
      - .offset:         80
        .size:           4
        .value_kind:     by_value
      - .offset:         84
        .size:           4
        .value_kind:     by_value
      - .offset:         88
        .size:           4
        .value_kind:     by_value
      - .offset:         92
        .size:           12
        .value_kind:     by_value
      - .offset:         104
        .size:           4
        .value_kind:     by_value
      - .offset:         108
        .size:           4
        .value_kind:     by_value
      - .offset:         112
        .size:           4
        .value_kind:     by_value
      - .offset:         116
        .size:           12
        .value_kind:     by_value
      - .offset:         128
        .size:           4
        .value_kind:     by_value
      - .offset:         132
        .size:           4
        .value_kind:     by_value
      - .offset:         136
        .size:           4
        .value_kind:     by_value
      - .offset:         140
        .size:           4
        .value_kind:     by_value
    .group_segment_fixed_size: 0
    .kernarg_segment_align: 8
    .kernarg_segment_size: 144
    .language:       OpenCL C
    .language_version:
      - 2
      - 0
    .max_flat_workgroup_size: 32
    .name:           _ZL13mul_mat_vec_qIL9ggml_type13ELi4ELb0ELb0EEvPKvS2_PKi31ggml_cuda_mm_fusion_args_devicePfj15HIP_vector_typeIjLj3EEjjjS8_jjjS8_jjjj
    .private_segment_fixed_size: 0
    .sgpr_count:     28
    .sgpr_spill_count: 0
    .symbol:         _ZL13mul_mat_vec_qIL9ggml_type13ELi4ELb0ELb0EEvPKvS2_PKi31ggml_cuda_mm_fusion_args_devicePfj15HIP_vector_typeIjLj3EEjjjS8_jjjS8_jjjj.kd
    .uniform_work_group_size: 1
    .uses_dynamic_stack: false
    .vgpr_count:     64
    .vgpr_spill_count: 0
    .wavefront_size: 32
    .workgroup_processor_mode: 1
  - .args:
      - .address_space:  global
        .offset:         0
        .size:           8
        .value_kind:     global_buffer
      - .address_space:  global
        .offset:         8
        .size:           8
        .value_kind:     global_buffer
      - .address_space:  global
        .offset:         16
        .size:           8
        .value_kind:     global_buffer
      - .offset:         24
        .size:           32
        .value_kind:     by_value
      - .address_space:  global
        .offset:         56
        .size:           8
        .value_kind:     global_buffer
      - .offset:         64
        .size:           4
        .value_kind:     by_value
      - .offset:         68
        .size:           12
        .value_kind:     by_value
      - .offset:         80
        .size:           4
        .value_kind:     by_value
      - .offset:         84
        .size:           4
        .value_kind:     by_value
      - .offset:         88
        .size:           4
        .value_kind:     by_value
      - .offset:         92
        .size:           12
        .value_kind:     by_value
      - .offset:         104
        .size:           4
        .value_kind:     by_value
      - .offset:         108
        .size:           4
        .value_kind:     by_value
      - .offset:         112
        .size:           4
        .value_kind:     by_value
      - .offset:         116
        .size:           12
        .value_kind:     by_value
      - .offset:         128
        .size:           4
        .value_kind:     by_value
      - .offset:         132
        .size:           4
        .value_kind:     by_value
      - .offset:         136
        .size:           4
        .value_kind:     by_value
      - .offset:         140
        .size:           4
        .value_kind:     by_value
    .group_segment_fixed_size: 0
    .kernarg_segment_align: 8
    .kernarg_segment_size: 144
    .language:       OpenCL C
    .language_version:
      - 2
      - 0
    .max_flat_workgroup_size: 32
    .name:           _ZL13mul_mat_vec_qIL9ggml_type13ELi5ELb0ELb0EEvPKvS2_PKi31ggml_cuda_mm_fusion_args_devicePfj15HIP_vector_typeIjLj3EEjjjS8_jjjS8_jjjj
    .private_segment_fixed_size: 0
    .sgpr_count:     28
    .sgpr_spill_count: 0
    .symbol:         _ZL13mul_mat_vec_qIL9ggml_type13ELi5ELb0ELb0EEvPKvS2_PKi31ggml_cuda_mm_fusion_args_devicePfj15HIP_vector_typeIjLj3EEjjjS8_jjjS8_jjjj.kd
    .uniform_work_group_size: 1
    .uses_dynamic_stack: false
    .vgpr_count:     74
    .vgpr_spill_count: 0
    .wavefront_size: 32
    .workgroup_processor_mode: 1
  - .args:
      - .address_space:  global
        .offset:         0
        .size:           8
        .value_kind:     global_buffer
      - .address_space:  global
        .offset:         8
        .size:           8
        .value_kind:     global_buffer
      - .address_space:  global
        .offset:         16
        .size:           8
        .value_kind:     global_buffer
      - .offset:         24
        .size:           32
        .value_kind:     by_value
      - .address_space:  global
        .offset:         56
        .size:           8
        .value_kind:     global_buffer
      - .offset:         64
        .size:           4
        .value_kind:     by_value
      - .offset:         68
        .size:           12
        .value_kind:     by_value
      - .offset:         80
        .size:           4
        .value_kind:     by_value
      - .offset:         84
        .size:           4
        .value_kind:     by_value
      - .offset:         88
        .size:           4
        .value_kind:     by_value
      - .offset:         92
        .size:           12
        .value_kind:     by_value
      - .offset:         104
        .size:           4
        .value_kind:     by_value
      - .offset:         108
        .size:           4
        .value_kind:     by_value
      - .offset:         112
        .size:           4
        .value_kind:     by_value
      - .offset:         116
        .size:           12
        .value_kind:     by_value
      - .offset:         128
        .size:           4
        .value_kind:     by_value
      - .offset:         132
        .size:           4
        .value_kind:     by_value
      - .offset:         136
        .size:           4
        .value_kind:     by_value
      - .offset:         140
        .size:           4
        .value_kind:     by_value
    .group_segment_fixed_size: 0
    .kernarg_segment_align: 8
    .kernarg_segment_size: 144
    .language:       OpenCL C
    .language_version:
      - 2
      - 0
    .max_flat_workgroup_size: 32
    .name:           _ZL13mul_mat_vec_qIL9ggml_type13ELi6ELb0ELb0EEvPKvS2_PKi31ggml_cuda_mm_fusion_args_devicePfj15HIP_vector_typeIjLj3EEjjjS8_jjjS8_jjjj
    .private_segment_fixed_size: 0
    .sgpr_count:     28
    .sgpr_spill_count: 0
    .symbol:         _ZL13mul_mat_vec_qIL9ggml_type13ELi6ELb0ELb0EEvPKvS2_PKi31ggml_cuda_mm_fusion_args_devicePfj15HIP_vector_typeIjLj3EEjjjS8_jjjS8_jjjj.kd
    .uniform_work_group_size: 1
    .uses_dynamic_stack: false
    .vgpr_count:     84
    .vgpr_spill_count: 0
    .wavefront_size: 32
    .workgroup_processor_mode: 1
  - .args:
      - .address_space:  global
        .offset:         0
        .size:           8
        .value_kind:     global_buffer
      - .address_space:  global
        .offset:         8
        .size:           8
        .value_kind:     global_buffer
      - .address_space:  global
        .offset:         16
        .size:           8
        .value_kind:     global_buffer
      - .offset:         24
        .size:           32
        .value_kind:     by_value
      - .address_space:  global
        .offset:         56
        .size:           8
        .value_kind:     global_buffer
      - .offset:         64
        .size:           4
        .value_kind:     by_value
      - .offset:         68
        .size:           12
        .value_kind:     by_value
      - .offset:         80
        .size:           4
        .value_kind:     by_value
      - .offset:         84
        .size:           4
        .value_kind:     by_value
      - .offset:         88
        .size:           4
        .value_kind:     by_value
      - .offset:         92
        .size:           12
        .value_kind:     by_value
      - .offset:         104
        .size:           4
        .value_kind:     by_value
      - .offset:         108
        .size:           4
        .value_kind:     by_value
      - .offset:         112
        .size:           4
        .value_kind:     by_value
      - .offset:         116
        .size:           12
        .value_kind:     by_value
      - .offset:         128
        .size:           4
        .value_kind:     by_value
      - .offset:         132
        .size:           4
        .value_kind:     by_value
      - .offset:         136
        .size:           4
        .value_kind:     by_value
      - .offset:         140
        .size:           4
        .value_kind:     by_value
    .group_segment_fixed_size: 0
    .kernarg_segment_align: 8
    .kernarg_segment_size: 144
    .language:       OpenCL C
    .language_version:
      - 2
      - 0
    .max_flat_workgroup_size: 32
    .name:           _ZL13mul_mat_vec_qIL9ggml_type13ELi7ELb0ELb0EEvPKvS2_PKi31ggml_cuda_mm_fusion_args_devicePfj15HIP_vector_typeIjLj3EEjjjS8_jjjS8_jjjj
    .private_segment_fixed_size: 0
    .sgpr_count:     28
    .sgpr_spill_count: 0
    .symbol:         _ZL13mul_mat_vec_qIL9ggml_type13ELi7ELb0ELb0EEvPKvS2_PKi31ggml_cuda_mm_fusion_args_devicePfj15HIP_vector_typeIjLj3EEjjjS8_jjjS8_jjjj.kd
    .uniform_work_group_size: 1
    .uses_dynamic_stack: false
    .vgpr_count:     89
    .vgpr_spill_count: 0
    .wavefront_size: 32
    .workgroup_processor_mode: 1
  - .args:
      - .address_space:  global
        .offset:         0
        .size:           8
        .value_kind:     global_buffer
      - .address_space:  global
        .offset:         8
        .size:           8
        .value_kind:     global_buffer
      - .address_space:  global
        .offset:         16
        .size:           8
        .value_kind:     global_buffer
      - .offset:         24
        .size:           32
        .value_kind:     by_value
      - .address_space:  global
        .offset:         56
        .size:           8
        .value_kind:     global_buffer
      - .offset:         64
        .size:           4
        .value_kind:     by_value
      - .offset:         68
        .size:           12
        .value_kind:     by_value
      - .offset:         80
        .size:           4
        .value_kind:     by_value
      - .offset:         84
        .size:           4
        .value_kind:     by_value
      - .offset:         88
        .size:           4
        .value_kind:     by_value
      - .offset:         92
        .size:           12
        .value_kind:     by_value
      - .offset:         104
        .size:           4
        .value_kind:     by_value
      - .offset:         108
        .size:           4
        .value_kind:     by_value
      - .offset:         112
        .size:           4
        .value_kind:     by_value
      - .offset:         116
        .size:           12
        .value_kind:     by_value
      - .offset:         128
        .size:           4
        .value_kind:     by_value
      - .offset:         132
        .size:           4
        .value_kind:     by_value
      - .offset:         136
        .size:           4
        .value_kind:     by_value
      - .offset:         140
        .size:           4
        .value_kind:     by_value
    .group_segment_fixed_size: 0
    .kernarg_segment_align: 8
    .kernarg_segment_size: 144
    .language:       OpenCL C
    .language_version:
      - 2
      - 0
    .max_flat_workgroup_size: 32
    .name:           _ZL13mul_mat_vec_qIL9ggml_type13ELi8ELb0ELb0EEvPKvS2_PKi31ggml_cuda_mm_fusion_args_devicePfj15HIP_vector_typeIjLj3EEjjjS8_jjjS8_jjjj
    .private_segment_fixed_size: 0
    .sgpr_count:     28
    .sgpr_spill_count: 0
    .symbol:         _ZL13mul_mat_vec_qIL9ggml_type13ELi8ELb0ELb0EEvPKvS2_PKi31ggml_cuda_mm_fusion_args_devicePfj15HIP_vector_typeIjLj3EEjjjS8_jjjS8_jjjj.kd
    .uniform_work_group_size: 1
    .uses_dynamic_stack: false
    .vgpr_count:     98
    .vgpr_spill_count: 0
    .wavefront_size: 32
    .workgroup_processor_mode: 1
  - .args:
      - .address_space:  global
        .offset:         0
        .size:           8
        .value_kind:     global_buffer
      - .address_space:  global
        .offset:         8
        .size:           8
        .value_kind:     global_buffer
      - .address_space:  global
        .offset:         16
        .size:           8
        .value_kind:     global_buffer
      - .address_space:  global
        .offset:         24
        .size:           8
        .value_kind:     global_buffer
      - .offset:         32
        .size:           4
        .value_kind:     by_value
      - .offset:         36
        .size:           12
        .value_kind:     by_value
      - .offset:         48
        .size:           4
        .value_kind:     by_value
      - .offset:         52
        .size:           4
        .value_kind:     by_value
      - .offset:         56
        .size:           4
        .value_kind:     by_value
      - .offset:         60
        .size:           4
        .value_kind:     by_value
      - .offset:         64
        .size:           4
        .value_kind:     by_value
      - .offset:         68
        .size:           4
        .value_kind:     by_value
      - .offset:         72
        .size:           4
        .value_kind:     by_value
      - .offset:         76
        .size:           4
        .value_kind:     by_value
      - .offset:         80
        .size:           4
        .value_kind:     by_value
    .group_segment_fixed_size: 0
    .kernarg_segment_align: 8
    .kernarg_segment_size: 84
    .language:       OpenCL C
    .language_version:
      - 2
      - 0
    .max_flat_workgroup_size: 160
    .name:           _ZL17mul_mat_vec_q_moeIL9ggml_type14ELi2EEvPKvS2_PKiPfj15HIP_vector_typeIjLj3EEjjjjjjjjj
    .private_segment_fixed_size: 0
    .sgpr_count:     30
    .sgpr_spill_count: 0
    .symbol:         _ZL17mul_mat_vec_q_moeIL9ggml_type14ELi2EEvPKvS2_PKiPfj15HIP_vector_typeIjLj3EEjjjjjjjjj.kd
    .uniform_work_group_size: 1
    .uses_dynamic_stack: false
    .vgpr_count:     43
    .vgpr_spill_count: 0
    .wavefront_size: 32
    .workgroup_processor_mode: 1
  - .args:
      - .address_space:  global
        .offset:         0
        .size:           8
        .value_kind:     global_buffer
      - .address_space:  global
        .offset:         8
        .size:           8
        .value_kind:     global_buffer
      - .address_space:  global
        .offset:         16
        .size:           8
        .value_kind:     global_buffer
      - .offset:         24
        .size:           32
        .value_kind:     by_value
      - .address_space:  global
        .offset:         56
        .size:           8
        .value_kind:     global_buffer
      - .offset:         64
        .size:           4
        .value_kind:     by_value
      - .offset:         68
        .size:           12
        .value_kind:     by_value
      - .offset:         80
        .size:           4
        .value_kind:     by_value
      - .offset:         84
        .size:           4
        .value_kind:     by_value
      - .offset:         88
        .size:           4
        .value_kind:     by_value
      - .offset:         92
        .size:           12
        .value_kind:     by_value
      - .offset:         104
        .size:           4
        .value_kind:     by_value
      - .offset:         108
        .size:           4
        .value_kind:     by_value
      - .offset:         112
        .size:           4
        .value_kind:     by_value
      - .offset:         116
        .size:           12
        .value_kind:     by_value
      - .offset:         128
        .size:           4
        .value_kind:     by_value
      - .offset:         132
        .size:           4
        .value_kind:     by_value
      - .offset:         136
        .size:           4
        .value_kind:     by_value
      - .offset:         140
        .size:           4
        .value_kind:     by_value
    .group_segment_fixed_size: 0
    .kernarg_segment_align: 8
    .kernarg_segment_size: 144
    .language:       OpenCL C
    .language_version:
      - 2
      - 0
    .max_flat_workgroup_size: 32
    .name:           _ZL13mul_mat_vec_qIL9ggml_type14ELi1ELb1ELb1EEvPKvS2_PKi31ggml_cuda_mm_fusion_args_devicePfj15HIP_vector_typeIjLj3EEjjjS8_jjjS8_jjjj
    .private_segment_fixed_size: 0
    .sgpr_count:     42
    .sgpr_spill_count: 0
    .symbol:         _ZL13mul_mat_vec_qIL9ggml_type14ELi1ELb1ELb1EEvPKvS2_PKi31ggml_cuda_mm_fusion_args_devicePfj15HIP_vector_typeIjLj3EEjjjS8_jjjS8_jjjj.kd
    .uniform_work_group_size: 1
    .uses_dynamic_stack: false
    .vgpr_count:     35
    .vgpr_spill_count: 0
    .wavefront_size: 32
    .workgroup_processor_mode: 1
  - .args:
      - .address_space:  global
        .offset:         0
        .size:           8
        .value_kind:     global_buffer
      - .address_space:  global
        .offset:         8
        .size:           8
        .value_kind:     global_buffer
      - .address_space:  global
        .offset:         16
        .size:           8
        .value_kind:     global_buffer
      - .offset:         24
        .size:           32
        .value_kind:     by_value
      - .address_space:  global
        .offset:         56
        .size:           8
        .value_kind:     global_buffer
      - .offset:         64
        .size:           4
        .value_kind:     by_value
      - .offset:         68
        .size:           12
        .value_kind:     by_value
      - .offset:         80
        .size:           4
        .value_kind:     by_value
      - .offset:         84
        .size:           4
        .value_kind:     by_value
      - .offset:         88
        .size:           4
        .value_kind:     by_value
      - .offset:         92
        .size:           12
        .value_kind:     by_value
      - .offset:         104
        .size:           4
        .value_kind:     by_value
      - .offset:         108
        .size:           4
        .value_kind:     by_value
      - .offset:         112
        .size:           4
        .value_kind:     by_value
      - .offset:         116
        .size:           12
        .value_kind:     by_value
      - .offset:         128
        .size:           4
        .value_kind:     by_value
      - .offset:         132
        .size:           4
        .value_kind:     by_value
      - .offset:         136
        .size:           4
        .value_kind:     by_value
      - .offset:         140
        .size:           4
        .value_kind:     by_value
    .group_segment_fixed_size: 0
    .kernarg_segment_align: 8
    .kernarg_segment_size: 144
    .language:       OpenCL C
    .language_version:
      - 2
      - 0
    .max_flat_workgroup_size: 32
    .name:           _ZL13mul_mat_vec_qIL9ggml_type14ELi1ELb0ELb1EEvPKvS2_PKi31ggml_cuda_mm_fusion_args_devicePfj15HIP_vector_typeIjLj3EEjjjS8_jjjS8_jjjj
    .private_segment_fixed_size: 0
    .sgpr_count:     26
    .sgpr_spill_count: 0
    .symbol:         _ZL13mul_mat_vec_qIL9ggml_type14ELi1ELb0ELb1EEvPKvS2_PKi31ggml_cuda_mm_fusion_args_devicePfj15HIP_vector_typeIjLj3EEjjjS8_jjjS8_jjjj.kd
    .uniform_work_group_size: 1
    .uses_dynamic_stack: false
    .vgpr_count:     26
    .vgpr_spill_count: 0
    .wavefront_size: 32
    .workgroup_processor_mode: 1
  - .args:
      - .address_space:  global
        .offset:         0
        .size:           8
        .value_kind:     global_buffer
      - .address_space:  global
        .offset:         8
        .size:           8
        .value_kind:     global_buffer
      - .address_space:  global
        .offset:         16
        .size:           8
        .value_kind:     global_buffer
      - .offset:         24
        .size:           32
        .value_kind:     by_value
      - .address_space:  global
        .offset:         56
        .size:           8
        .value_kind:     global_buffer
      - .offset:         64
        .size:           4
        .value_kind:     by_value
      - .offset:         68
        .size:           12
        .value_kind:     by_value
      - .offset:         80
        .size:           4
        .value_kind:     by_value
      - .offset:         84
        .size:           4
        .value_kind:     by_value
      - .offset:         88
        .size:           4
        .value_kind:     by_value
      - .offset:         92
        .size:           12
        .value_kind:     by_value
      - .offset:         104
        .size:           4
        .value_kind:     by_value
      - .offset:         108
        .size:           4
        .value_kind:     by_value
      - .offset:         112
        .size:           4
        .value_kind:     by_value
      - .offset:         116
        .size:           12
        .value_kind:     by_value
      - .offset:         128
        .size:           4
        .value_kind:     by_value
      - .offset:         132
        .size:           4
        .value_kind:     by_value
      - .offset:         136
        .size:           4
        .value_kind:     by_value
      - .offset:         140
        .size:           4
        .value_kind:     by_value
    .group_segment_fixed_size: 0
    .kernarg_segment_align: 8
    .kernarg_segment_size: 144
    .language:       OpenCL C
    .language_version:
      - 2
      - 0
    .max_flat_workgroup_size: 32
    .name:           _ZL13mul_mat_vec_qIL9ggml_type14ELi1ELb1ELb0EEvPKvS2_PKi31ggml_cuda_mm_fusion_args_devicePfj15HIP_vector_typeIjLj3EEjjjS8_jjjS8_jjjj
    .private_segment_fixed_size: 0
    .sgpr_count:     42
    .sgpr_spill_count: 0
    .symbol:         _ZL13mul_mat_vec_qIL9ggml_type14ELi1ELb1ELb0EEvPKvS2_PKi31ggml_cuda_mm_fusion_args_devicePfj15HIP_vector_typeIjLj3EEjjjS8_jjjS8_jjjj.kd
    .uniform_work_group_size: 1
    .uses_dynamic_stack: false
    .vgpr_count:     35
    .vgpr_spill_count: 0
    .wavefront_size: 32
    .workgroup_processor_mode: 1
  - .args:
      - .address_space:  global
        .offset:         0
        .size:           8
        .value_kind:     global_buffer
      - .address_space:  global
        .offset:         8
        .size:           8
        .value_kind:     global_buffer
      - .address_space:  global
        .offset:         16
        .size:           8
        .value_kind:     global_buffer
      - .offset:         24
        .size:           32
        .value_kind:     by_value
      - .address_space:  global
        .offset:         56
        .size:           8
        .value_kind:     global_buffer
      - .offset:         64
        .size:           4
        .value_kind:     by_value
      - .offset:         68
        .size:           12
        .value_kind:     by_value
      - .offset:         80
        .size:           4
        .value_kind:     by_value
      - .offset:         84
        .size:           4
        .value_kind:     by_value
      - .offset:         88
        .size:           4
        .value_kind:     by_value
      - .offset:         92
        .size:           12
        .value_kind:     by_value
      - .offset:         104
        .size:           4
        .value_kind:     by_value
      - .offset:         108
        .size:           4
        .value_kind:     by_value
      - .offset:         112
        .size:           4
        .value_kind:     by_value
      - .offset:         116
        .size:           12
        .value_kind:     by_value
      - .offset:         128
        .size:           4
        .value_kind:     by_value
      - .offset:         132
        .size:           4
        .value_kind:     by_value
      - .offset:         136
        .size:           4
        .value_kind:     by_value
      - .offset:         140
        .size:           4
        .value_kind:     by_value
    .group_segment_fixed_size: 0
    .kernarg_segment_align: 8
    .kernarg_segment_size: 144
    .language:       OpenCL C
    .language_version:
      - 2
      - 0
    .max_flat_workgroup_size: 32
    .name:           _ZL13mul_mat_vec_qIL9ggml_type14ELi1ELb0ELb0EEvPKvS2_PKi31ggml_cuda_mm_fusion_args_devicePfj15HIP_vector_typeIjLj3EEjjjS8_jjjS8_jjjj
    .private_segment_fixed_size: 0
    .sgpr_count:     26
    .sgpr_spill_count: 0
    .symbol:         _ZL13mul_mat_vec_qIL9ggml_type14ELi1ELb0ELb0EEvPKvS2_PKi31ggml_cuda_mm_fusion_args_devicePfj15HIP_vector_typeIjLj3EEjjjS8_jjjS8_jjjj.kd
    .uniform_work_group_size: 1
    .uses_dynamic_stack: false
    .vgpr_count:     26
    .vgpr_spill_count: 0
    .wavefront_size: 32
    .workgroup_processor_mode: 1
  - .args:
      - .address_space:  global
        .offset:         0
        .size:           8
        .value_kind:     global_buffer
      - .address_space:  global
        .offset:         8
        .size:           8
        .value_kind:     global_buffer
      - .address_space:  global
        .offset:         16
        .size:           8
        .value_kind:     global_buffer
      - .offset:         24
        .size:           32
        .value_kind:     by_value
      - .address_space:  global
        .offset:         56
        .size:           8
        .value_kind:     global_buffer
      - .offset:         64
        .size:           4
        .value_kind:     by_value
      - .offset:         68
        .size:           12
        .value_kind:     by_value
      - .offset:         80
        .size:           4
        .value_kind:     by_value
      - .offset:         84
        .size:           4
        .value_kind:     by_value
      - .offset:         88
        .size:           4
        .value_kind:     by_value
      - .offset:         92
        .size:           12
        .value_kind:     by_value
      - .offset:         104
        .size:           4
        .value_kind:     by_value
      - .offset:         108
        .size:           4
        .value_kind:     by_value
      - .offset:         112
        .size:           4
        .value_kind:     by_value
      - .offset:         116
        .size:           12
        .value_kind:     by_value
      - .offset:         128
        .size:           4
        .value_kind:     by_value
      - .offset:         132
        .size:           4
        .value_kind:     by_value
      - .offset:         136
        .size:           4
        .value_kind:     by_value
      - .offset:         140
        .size:           4
        .value_kind:     by_value
    .group_segment_fixed_size: 0
    .kernarg_segment_align: 8
    .kernarg_segment_size: 144
    .language:       OpenCL C
    .language_version:
      - 2
      - 0
    .max_flat_workgroup_size: 32
    .name:           _ZL13mul_mat_vec_qIL9ggml_type14ELi2ELb0ELb0EEvPKvS2_PKi31ggml_cuda_mm_fusion_args_devicePfj15HIP_vector_typeIjLj3EEjjjS8_jjjS8_jjjj
    .private_segment_fixed_size: 0
    .sgpr_count:     30
    .sgpr_spill_count: 0
    .symbol:         _ZL13mul_mat_vec_qIL9ggml_type14ELi2ELb0ELb0EEvPKvS2_PKi31ggml_cuda_mm_fusion_args_devicePfj15HIP_vector_typeIjLj3EEjjjS8_jjjS8_jjjj.kd
    .uniform_work_group_size: 1
    .uses_dynamic_stack: false
    .vgpr_count:     39
    .vgpr_spill_count: 0
    .wavefront_size: 32
    .workgroup_processor_mode: 1
  - .args:
      - .address_space:  global
        .offset:         0
        .size:           8
        .value_kind:     global_buffer
      - .address_space:  global
        .offset:         8
        .size:           8
        .value_kind:     global_buffer
      - .address_space:  global
        .offset:         16
        .size:           8
        .value_kind:     global_buffer
      - .offset:         24
        .size:           32
        .value_kind:     by_value
      - .address_space:  global
        .offset:         56
        .size:           8
        .value_kind:     global_buffer
      - .offset:         64
        .size:           4
        .value_kind:     by_value
      - .offset:         68
        .size:           12
        .value_kind:     by_value
      - .offset:         80
        .size:           4
        .value_kind:     by_value
      - .offset:         84
        .size:           4
        .value_kind:     by_value
      - .offset:         88
        .size:           4
        .value_kind:     by_value
      - .offset:         92
        .size:           12
        .value_kind:     by_value
      - .offset:         104
        .size:           4
        .value_kind:     by_value
      - .offset:         108
        .size:           4
        .value_kind:     by_value
      - .offset:         112
        .size:           4
        .value_kind:     by_value
      - .offset:         116
        .size:           12
        .value_kind:     by_value
      - .offset:         128
        .size:           4
        .value_kind:     by_value
      - .offset:         132
        .size:           4
        .value_kind:     by_value
      - .offset:         136
        .size:           4
        .value_kind:     by_value
      - .offset:         140
        .size:           4
        .value_kind:     by_value
    .group_segment_fixed_size: 0
    .kernarg_segment_align: 8
    .kernarg_segment_size: 144
    .language:       OpenCL C
    .language_version:
      - 2
      - 0
    .max_flat_workgroup_size: 32
    .name:           _ZL13mul_mat_vec_qIL9ggml_type14ELi3ELb0ELb0EEvPKvS2_PKi31ggml_cuda_mm_fusion_args_devicePfj15HIP_vector_typeIjLj3EEjjjS8_jjjS8_jjjj
    .private_segment_fixed_size: 0
    .sgpr_count:     30
    .sgpr_spill_count: 0
    .symbol:         _ZL13mul_mat_vec_qIL9ggml_type14ELi3ELb0ELb0EEvPKvS2_PKi31ggml_cuda_mm_fusion_args_devicePfj15HIP_vector_typeIjLj3EEjjjS8_jjjS8_jjjj.kd
    .uniform_work_group_size: 1
    .uses_dynamic_stack: false
    .vgpr_count:     47
    .vgpr_spill_count: 0
    .wavefront_size: 32
    .workgroup_processor_mode: 1
  - .args:
      - .address_space:  global
        .offset:         0
        .size:           8
        .value_kind:     global_buffer
      - .address_space:  global
        .offset:         8
        .size:           8
        .value_kind:     global_buffer
      - .address_space:  global
        .offset:         16
        .size:           8
        .value_kind:     global_buffer
      - .offset:         24
        .size:           32
        .value_kind:     by_value
      - .address_space:  global
        .offset:         56
        .size:           8
        .value_kind:     global_buffer
      - .offset:         64
        .size:           4
        .value_kind:     by_value
      - .offset:         68
        .size:           12
        .value_kind:     by_value
      - .offset:         80
        .size:           4
        .value_kind:     by_value
      - .offset:         84
        .size:           4
        .value_kind:     by_value
      - .offset:         88
        .size:           4
        .value_kind:     by_value
      - .offset:         92
        .size:           12
        .value_kind:     by_value
      - .offset:         104
        .size:           4
        .value_kind:     by_value
      - .offset:         108
        .size:           4
        .value_kind:     by_value
      - .offset:         112
        .size:           4
        .value_kind:     by_value
      - .offset:         116
        .size:           12
        .value_kind:     by_value
      - .offset:         128
        .size:           4
        .value_kind:     by_value
      - .offset:         132
        .size:           4
        .value_kind:     by_value
      - .offset:         136
        .size:           4
        .value_kind:     by_value
      - .offset:         140
        .size:           4
        .value_kind:     by_value
    .group_segment_fixed_size: 0
    .kernarg_segment_align: 8
    .kernarg_segment_size: 144
    .language:       OpenCL C
    .language_version:
      - 2
      - 0
    .max_flat_workgroup_size: 32
    .name:           _ZL13mul_mat_vec_qIL9ggml_type14ELi4ELb0ELb0EEvPKvS2_PKi31ggml_cuda_mm_fusion_args_devicePfj15HIP_vector_typeIjLj3EEjjjS8_jjjS8_jjjj
    .private_segment_fixed_size: 0
    .sgpr_count:     30
    .sgpr_spill_count: 0
    .symbol:         _ZL13mul_mat_vec_qIL9ggml_type14ELi4ELb0ELb0EEvPKvS2_PKi31ggml_cuda_mm_fusion_args_devicePfj15HIP_vector_typeIjLj3EEjjjS8_jjjS8_jjjj.kd
    .uniform_work_group_size: 1
    .uses_dynamic_stack: false
    .vgpr_count:     55
    .vgpr_spill_count: 0
    .wavefront_size: 32
    .workgroup_processor_mode: 1
  - .args:
      - .address_space:  global
        .offset:         0
        .size:           8
        .value_kind:     global_buffer
      - .address_space:  global
        .offset:         8
        .size:           8
        .value_kind:     global_buffer
      - .address_space:  global
        .offset:         16
        .size:           8
        .value_kind:     global_buffer
      - .offset:         24
        .size:           32
        .value_kind:     by_value
      - .address_space:  global
        .offset:         56
        .size:           8
        .value_kind:     global_buffer
      - .offset:         64
        .size:           4
        .value_kind:     by_value
      - .offset:         68
        .size:           12
        .value_kind:     by_value
      - .offset:         80
        .size:           4
        .value_kind:     by_value
      - .offset:         84
        .size:           4
        .value_kind:     by_value
      - .offset:         88
        .size:           4
        .value_kind:     by_value
      - .offset:         92
        .size:           12
        .value_kind:     by_value
      - .offset:         104
        .size:           4
        .value_kind:     by_value
      - .offset:         108
        .size:           4
        .value_kind:     by_value
      - .offset:         112
        .size:           4
        .value_kind:     by_value
      - .offset:         116
        .size:           12
        .value_kind:     by_value
      - .offset:         128
        .size:           4
        .value_kind:     by_value
      - .offset:         132
        .size:           4
        .value_kind:     by_value
      - .offset:         136
        .size:           4
        .value_kind:     by_value
      - .offset:         140
        .size:           4
        .value_kind:     by_value
    .group_segment_fixed_size: 0
    .kernarg_segment_align: 8
    .kernarg_segment_size: 144
    .language:       OpenCL C
    .language_version:
      - 2
      - 0
    .max_flat_workgroup_size: 32
    .name:           _ZL13mul_mat_vec_qIL9ggml_type14ELi5ELb0ELb0EEvPKvS2_PKi31ggml_cuda_mm_fusion_args_devicePfj15HIP_vector_typeIjLj3EEjjjS8_jjjS8_jjjj
    .private_segment_fixed_size: 0
    .sgpr_count:     30
    .sgpr_spill_count: 0
    .symbol:         _ZL13mul_mat_vec_qIL9ggml_type14ELi5ELb0ELb0EEvPKvS2_PKi31ggml_cuda_mm_fusion_args_devicePfj15HIP_vector_typeIjLj3EEjjjS8_jjjS8_jjjj.kd
    .uniform_work_group_size: 1
    .uses_dynamic_stack: false
    .vgpr_count:     60
    .vgpr_spill_count: 0
    .wavefront_size: 32
    .workgroup_processor_mode: 1
  - .args:
      - .address_space:  global
        .offset:         0
        .size:           8
        .value_kind:     global_buffer
      - .address_space:  global
        .offset:         8
        .size:           8
        .value_kind:     global_buffer
      - .address_space:  global
        .offset:         16
        .size:           8
        .value_kind:     global_buffer
      - .offset:         24
        .size:           32
        .value_kind:     by_value
      - .address_space:  global
        .offset:         56
        .size:           8
        .value_kind:     global_buffer
      - .offset:         64
        .size:           4
        .value_kind:     by_value
      - .offset:         68
        .size:           12
        .value_kind:     by_value
      - .offset:         80
        .size:           4
        .value_kind:     by_value
      - .offset:         84
        .size:           4
        .value_kind:     by_value
      - .offset:         88
        .size:           4
        .value_kind:     by_value
      - .offset:         92
        .size:           12
        .value_kind:     by_value
      - .offset:         104
        .size:           4
        .value_kind:     by_value
      - .offset:         108
        .size:           4
        .value_kind:     by_value
      - .offset:         112
        .size:           4
        .value_kind:     by_value
      - .offset:         116
        .size:           12
        .value_kind:     by_value
      - .offset:         128
        .size:           4
        .value_kind:     by_value
      - .offset:         132
        .size:           4
        .value_kind:     by_value
      - .offset:         136
        .size:           4
        .value_kind:     by_value
      - .offset:         140
        .size:           4
        .value_kind:     by_value
    .group_segment_fixed_size: 0
    .kernarg_segment_align: 8
    .kernarg_segment_size: 144
    .language:       OpenCL C
    .language_version:
      - 2
      - 0
    .max_flat_workgroup_size: 32
    .name:           _ZL13mul_mat_vec_qIL9ggml_type14ELi6ELb0ELb0EEvPKvS2_PKi31ggml_cuda_mm_fusion_args_devicePfj15HIP_vector_typeIjLj3EEjjjS8_jjjS8_jjjj
    .private_segment_fixed_size: 0
    .sgpr_count:     30
    .sgpr_spill_count: 0
    .symbol:         _ZL13mul_mat_vec_qIL9ggml_type14ELi6ELb0ELb0EEvPKvS2_PKi31ggml_cuda_mm_fusion_args_devicePfj15HIP_vector_typeIjLj3EEjjjS8_jjjS8_jjjj.kd
    .uniform_work_group_size: 1
    .uses_dynamic_stack: false
    .vgpr_count:     62
    .vgpr_spill_count: 0
    .wavefront_size: 32
    .workgroup_processor_mode: 1
  - .args:
      - .address_space:  global
        .offset:         0
        .size:           8
        .value_kind:     global_buffer
      - .address_space:  global
        .offset:         8
        .size:           8
        .value_kind:     global_buffer
      - .address_space:  global
        .offset:         16
        .size:           8
        .value_kind:     global_buffer
      - .offset:         24
        .size:           32
        .value_kind:     by_value
      - .address_space:  global
        .offset:         56
        .size:           8
        .value_kind:     global_buffer
      - .offset:         64
        .size:           4
        .value_kind:     by_value
      - .offset:         68
        .size:           12
        .value_kind:     by_value
      - .offset:         80
        .size:           4
        .value_kind:     by_value
      - .offset:         84
        .size:           4
        .value_kind:     by_value
      - .offset:         88
        .size:           4
        .value_kind:     by_value
      - .offset:         92
        .size:           12
        .value_kind:     by_value
      - .offset:         104
        .size:           4
        .value_kind:     by_value
      - .offset:         108
        .size:           4
        .value_kind:     by_value
      - .offset:         112
        .size:           4
        .value_kind:     by_value
      - .offset:         116
        .size:           12
        .value_kind:     by_value
      - .offset:         128
        .size:           4
        .value_kind:     by_value
      - .offset:         132
        .size:           4
        .value_kind:     by_value
      - .offset:         136
        .size:           4
        .value_kind:     by_value
      - .offset:         140
        .size:           4
        .value_kind:     by_value
    .group_segment_fixed_size: 0
    .kernarg_segment_align: 8
    .kernarg_segment_size: 144
    .language:       OpenCL C
    .language_version:
      - 2
      - 0
    .max_flat_workgroup_size: 32
    .name:           _ZL13mul_mat_vec_qIL9ggml_type14ELi7ELb0ELb0EEvPKvS2_PKi31ggml_cuda_mm_fusion_args_devicePfj15HIP_vector_typeIjLj3EEjjjS8_jjjS8_jjjj
    .private_segment_fixed_size: 0
    .sgpr_count:     30
    .sgpr_spill_count: 0
    .symbol:         _ZL13mul_mat_vec_qIL9ggml_type14ELi7ELb0ELb0EEvPKvS2_PKi31ggml_cuda_mm_fusion_args_devicePfj15HIP_vector_typeIjLj3EEjjjS8_jjjS8_jjjj.kd
    .uniform_work_group_size: 1
    .uses_dynamic_stack: false
    .vgpr_count:     62
    .vgpr_spill_count: 0
    .wavefront_size: 32
    .workgroup_processor_mode: 1
  - .args:
      - .address_space:  global
        .offset:         0
        .size:           8
        .value_kind:     global_buffer
      - .address_space:  global
        .offset:         8
        .size:           8
        .value_kind:     global_buffer
      - .address_space:  global
        .offset:         16
        .size:           8
        .value_kind:     global_buffer
      - .offset:         24
        .size:           32
        .value_kind:     by_value
      - .address_space:  global
        .offset:         56
        .size:           8
        .value_kind:     global_buffer
      - .offset:         64
        .size:           4
        .value_kind:     by_value
      - .offset:         68
        .size:           12
        .value_kind:     by_value
      - .offset:         80
        .size:           4
        .value_kind:     by_value
      - .offset:         84
        .size:           4
        .value_kind:     by_value
      - .offset:         88
        .size:           4
        .value_kind:     by_value
      - .offset:         92
        .size:           12
        .value_kind:     by_value
      - .offset:         104
        .size:           4
        .value_kind:     by_value
      - .offset:         108
        .size:           4
        .value_kind:     by_value
      - .offset:         112
        .size:           4
        .value_kind:     by_value
      - .offset:         116
        .size:           12
        .value_kind:     by_value
      - .offset:         128
        .size:           4
        .value_kind:     by_value
      - .offset:         132
        .size:           4
        .value_kind:     by_value
      - .offset:         136
        .size:           4
        .value_kind:     by_value
      - .offset:         140
        .size:           4
        .value_kind:     by_value
    .group_segment_fixed_size: 0
    .kernarg_segment_align: 8
    .kernarg_segment_size: 144
    .language:       OpenCL C
    .language_version:
      - 2
      - 0
    .max_flat_workgroup_size: 32
    .name:           _ZL13mul_mat_vec_qIL9ggml_type14ELi8ELb0ELb0EEvPKvS2_PKi31ggml_cuda_mm_fusion_args_devicePfj15HIP_vector_typeIjLj3EEjjjS8_jjjS8_jjjj
    .private_segment_fixed_size: 0
    .sgpr_count:     30
    .sgpr_spill_count: 0
    .symbol:         _ZL13mul_mat_vec_qIL9ggml_type14ELi8ELb0ELb0EEvPKvS2_PKi31ggml_cuda_mm_fusion_args_devicePfj15HIP_vector_typeIjLj3EEjjjS8_jjjS8_jjjj.kd
    .uniform_work_group_size: 1
    .uses_dynamic_stack: false
    .vgpr_count:     62
    .vgpr_spill_count: 0
    .wavefront_size: 32
    .workgroup_processor_mode: 1
  - .args:
      - .address_space:  global
        .offset:         0
        .size:           8
        .value_kind:     global_buffer
      - .address_space:  global
        .offset:         8
        .size:           8
        .value_kind:     global_buffer
      - .address_space:  global
        .offset:         16
        .size:           8
        .value_kind:     global_buffer
      - .address_space:  global
        .offset:         24
        .size:           8
        .value_kind:     global_buffer
      - .offset:         32
        .size:           4
        .value_kind:     by_value
      - .offset:         36
        .size:           12
        .value_kind:     by_value
      - .offset:         48
        .size:           4
        .value_kind:     by_value
      - .offset:         52
        .size:           4
        .value_kind:     by_value
      - .offset:         56
        .size:           4
        .value_kind:     by_value
      - .offset:         60
        .size:           4
        .value_kind:     by_value
      - .offset:         64
        .size:           4
        .value_kind:     by_value
      - .offset:         68
        .size:           4
        .value_kind:     by_value
      - .offset:         72
        .size:           4
        .value_kind:     by_value
      - .offset:         76
        .size:           4
        .value_kind:     by_value
      - .offset:         80
        .size:           4
        .value_kind:     by_value
    .group_segment_fixed_size: 0
    .kernarg_segment_align: 8
    .kernarg_segment_size: 84
    .language:       OpenCL C
    .language_version:
      - 2
      - 0
    .max_flat_workgroup_size: 128
    .name:           _ZL17mul_mat_vec_q_moeIL9ggml_type16ELi2EEvPKvS2_PKiPfj15HIP_vector_typeIjLj3EEjjjjjjjjj
    .private_segment_fixed_size: 0
    .sgpr_count:     30
    .sgpr_spill_count: 0
    .symbol:         _ZL17mul_mat_vec_q_moeIL9ggml_type16ELi2EEvPKvS2_PKiPfj15HIP_vector_typeIjLj3EEjjjjjjjjj.kd
    .uniform_work_group_size: 1
    .uses_dynamic_stack: false
    .vgpr_count:     107
    .vgpr_spill_count: 0
    .wavefront_size: 32
    .workgroup_processor_mode: 1
  - .args:
      - .address_space:  global
        .offset:         0
        .size:           8
        .value_kind:     global_buffer
      - .address_space:  global
        .offset:         8
        .size:           8
        .value_kind:     global_buffer
      - .address_space:  global
        .offset:         16
        .size:           8
        .value_kind:     global_buffer
      - .offset:         24
        .size:           32
        .value_kind:     by_value
      - .address_space:  global
        .offset:         56
        .size:           8
        .value_kind:     global_buffer
      - .offset:         64
        .size:           4
        .value_kind:     by_value
      - .offset:         68
        .size:           12
        .value_kind:     by_value
      - .offset:         80
        .size:           4
        .value_kind:     by_value
      - .offset:         84
        .size:           4
        .value_kind:     by_value
      - .offset:         88
        .size:           4
        .value_kind:     by_value
      - .offset:         92
        .size:           12
        .value_kind:     by_value
      - .offset:         104
        .size:           4
        .value_kind:     by_value
      - .offset:         108
        .size:           4
        .value_kind:     by_value
      - .offset:         112
        .size:           4
        .value_kind:     by_value
      - .offset:         116
        .size:           12
        .value_kind:     by_value
      - .offset:         128
        .size:           4
        .value_kind:     by_value
      - .offset:         132
        .size:           4
        .value_kind:     by_value
      - .offset:         136
        .size:           4
        .value_kind:     by_value
      - .offset:         140
        .size:           4
        .value_kind:     by_value
    .group_segment_fixed_size: 0
    .kernarg_segment_align: 8
    .kernarg_segment_size: 144
    .language:       OpenCL C
    .language_version:
      - 2
      - 0
    .max_flat_workgroup_size: 32
    .name:           _ZL13mul_mat_vec_qIL9ggml_type16ELi1ELb1ELb1EEvPKvS2_PKi31ggml_cuda_mm_fusion_args_devicePfj15HIP_vector_typeIjLj3EEjjjS8_jjjS8_jjjj
    .private_segment_fixed_size: 0
    .sgpr_count:     42
    .sgpr_spill_count: 0
    .symbol:         _ZL13mul_mat_vec_qIL9ggml_type16ELi1ELb1ELb1EEvPKvS2_PKi31ggml_cuda_mm_fusion_args_devicePfj15HIP_vector_typeIjLj3EEjjjS8_jjjS8_jjjj.kd
    .uniform_work_group_size: 1
    .uses_dynamic_stack: false
    .vgpr_count:     54
    .vgpr_spill_count: 0
    .wavefront_size: 32
    .workgroup_processor_mode: 1
  - .args:
      - .address_space:  global
        .offset:         0
        .size:           8
        .value_kind:     global_buffer
      - .address_space:  global
        .offset:         8
        .size:           8
        .value_kind:     global_buffer
      - .address_space:  global
        .offset:         16
        .size:           8
        .value_kind:     global_buffer
      - .offset:         24
        .size:           32
        .value_kind:     by_value
      - .address_space:  global
        .offset:         56
        .size:           8
        .value_kind:     global_buffer
      - .offset:         64
        .size:           4
        .value_kind:     by_value
      - .offset:         68
        .size:           12
        .value_kind:     by_value
      - .offset:         80
        .size:           4
        .value_kind:     by_value
      - .offset:         84
        .size:           4
        .value_kind:     by_value
      - .offset:         88
        .size:           4
        .value_kind:     by_value
      - .offset:         92
        .size:           12
        .value_kind:     by_value
      - .offset:         104
        .size:           4
        .value_kind:     by_value
      - .offset:         108
        .size:           4
        .value_kind:     by_value
      - .offset:         112
        .size:           4
        .value_kind:     by_value
      - .offset:         116
        .size:           12
        .value_kind:     by_value
      - .offset:         128
        .size:           4
        .value_kind:     by_value
      - .offset:         132
        .size:           4
        .value_kind:     by_value
      - .offset:         136
        .size:           4
        .value_kind:     by_value
      - .offset:         140
        .size:           4
        .value_kind:     by_value
    .group_segment_fixed_size: 0
    .kernarg_segment_align: 8
    .kernarg_segment_size: 144
    .language:       OpenCL C
    .language_version:
      - 2
      - 0
    .max_flat_workgroup_size: 32
    .name:           _ZL13mul_mat_vec_qIL9ggml_type16ELi1ELb0ELb1EEvPKvS2_PKi31ggml_cuda_mm_fusion_args_devicePfj15HIP_vector_typeIjLj3EEjjjS8_jjjS8_jjjj
    .private_segment_fixed_size: 0
    .sgpr_count:     24
    .sgpr_spill_count: 0
    .symbol:         _ZL13mul_mat_vec_qIL9ggml_type16ELi1ELb0ELb1EEvPKvS2_PKi31ggml_cuda_mm_fusion_args_devicePfj15HIP_vector_typeIjLj3EEjjjS8_jjjS8_jjjj.kd
    .uniform_work_group_size: 1
    .uses_dynamic_stack: false
    .vgpr_count:     61
    .vgpr_spill_count: 0
    .wavefront_size: 32
    .workgroup_processor_mode: 1
  - .args:
      - .address_space:  global
        .offset:         0
        .size:           8
        .value_kind:     global_buffer
      - .address_space:  global
        .offset:         8
        .size:           8
        .value_kind:     global_buffer
      - .address_space:  global
        .offset:         16
        .size:           8
        .value_kind:     global_buffer
      - .offset:         24
        .size:           32
        .value_kind:     by_value
      - .address_space:  global
        .offset:         56
        .size:           8
        .value_kind:     global_buffer
      - .offset:         64
        .size:           4
        .value_kind:     by_value
      - .offset:         68
        .size:           12
        .value_kind:     by_value
      - .offset:         80
        .size:           4
        .value_kind:     by_value
      - .offset:         84
        .size:           4
        .value_kind:     by_value
      - .offset:         88
        .size:           4
        .value_kind:     by_value
      - .offset:         92
        .size:           12
        .value_kind:     by_value
      - .offset:         104
        .size:           4
        .value_kind:     by_value
      - .offset:         108
        .size:           4
        .value_kind:     by_value
      - .offset:         112
        .size:           4
        .value_kind:     by_value
      - .offset:         116
        .size:           12
        .value_kind:     by_value
      - .offset:         128
        .size:           4
        .value_kind:     by_value
      - .offset:         132
        .size:           4
        .value_kind:     by_value
      - .offset:         136
        .size:           4
        .value_kind:     by_value
      - .offset:         140
        .size:           4
        .value_kind:     by_value
    .group_segment_fixed_size: 0
    .kernarg_segment_align: 8
    .kernarg_segment_size: 144
    .language:       OpenCL C
    .language_version:
      - 2
      - 0
    .max_flat_workgroup_size: 32
    .name:           _ZL13mul_mat_vec_qIL9ggml_type16ELi1ELb1ELb0EEvPKvS2_PKi31ggml_cuda_mm_fusion_args_devicePfj15HIP_vector_typeIjLj3EEjjjS8_jjjS8_jjjj
    .private_segment_fixed_size: 0
    .sgpr_count:     42
    .sgpr_spill_count: 0
    .symbol:         _ZL13mul_mat_vec_qIL9ggml_type16ELi1ELb1ELb0EEvPKvS2_PKi31ggml_cuda_mm_fusion_args_devicePfj15HIP_vector_typeIjLj3EEjjjS8_jjjS8_jjjj.kd
    .uniform_work_group_size: 1
    .uses_dynamic_stack: false
    .vgpr_count:     54
    .vgpr_spill_count: 0
    .wavefront_size: 32
    .workgroup_processor_mode: 1
  - .args:
      - .address_space:  global
        .offset:         0
        .size:           8
        .value_kind:     global_buffer
      - .address_space:  global
        .offset:         8
        .size:           8
        .value_kind:     global_buffer
      - .address_space:  global
        .offset:         16
        .size:           8
        .value_kind:     global_buffer
      - .offset:         24
        .size:           32
        .value_kind:     by_value
      - .address_space:  global
        .offset:         56
        .size:           8
        .value_kind:     global_buffer
      - .offset:         64
        .size:           4
        .value_kind:     by_value
      - .offset:         68
        .size:           12
        .value_kind:     by_value
      - .offset:         80
        .size:           4
        .value_kind:     by_value
      - .offset:         84
        .size:           4
        .value_kind:     by_value
      - .offset:         88
        .size:           4
        .value_kind:     by_value
      - .offset:         92
        .size:           12
        .value_kind:     by_value
      - .offset:         104
        .size:           4
        .value_kind:     by_value
      - .offset:         108
        .size:           4
        .value_kind:     by_value
      - .offset:         112
        .size:           4
        .value_kind:     by_value
      - .offset:         116
        .size:           12
        .value_kind:     by_value
      - .offset:         128
        .size:           4
        .value_kind:     by_value
      - .offset:         132
        .size:           4
        .value_kind:     by_value
      - .offset:         136
        .size:           4
        .value_kind:     by_value
      - .offset:         140
        .size:           4
        .value_kind:     by_value
    .group_segment_fixed_size: 0
    .kernarg_segment_align: 8
    .kernarg_segment_size: 144
    .language:       OpenCL C
    .language_version:
      - 2
      - 0
    .max_flat_workgroup_size: 32
    .name:           _ZL13mul_mat_vec_qIL9ggml_type16ELi1ELb0ELb0EEvPKvS2_PKi31ggml_cuda_mm_fusion_args_devicePfj15HIP_vector_typeIjLj3EEjjjS8_jjjS8_jjjj
    .private_segment_fixed_size: 0
    .sgpr_count:     24
    .sgpr_spill_count: 0
    .symbol:         _ZL13mul_mat_vec_qIL9ggml_type16ELi1ELb0ELb0EEvPKvS2_PKi31ggml_cuda_mm_fusion_args_devicePfj15HIP_vector_typeIjLj3EEjjjS8_jjjS8_jjjj.kd
    .uniform_work_group_size: 1
    .uses_dynamic_stack: false
    .vgpr_count:     61
    .vgpr_spill_count: 0
    .wavefront_size: 32
    .workgroup_processor_mode: 1
  - .args:
      - .address_space:  global
        .offset:         0
        .size:           8
        .value_kind:     global_buffer
      - .address_space:  global
        .offset:         8
        .size:           8
        .value_kind:     global_buffer
      - .address_space:  global
        .offset:         16
        .size:           8
        .value_kind:     global_buffer
      - .offset:         24
        .size:           32
        .value_kind:     by_value
      - .address_space:  global
        .offset:         56
        .size:           8
        .value_kind:     global_buffer
      - .offset:         64
        .size:           4
        .value_kind:     by_value
      - .offset:         68
        .size:           12
        .value_kind:     by_value
      - .offset:         80
        .size:           4
        .value_kind:     by_value
      - .offset:         84
        .size:           4
        .value_kind:     by_value
      - .offset:         88
        .size:           4
        .value_kind:     by_value
      - .offset:         92
        .size:           12
        .value_kind:     by_value
      - .offset:         104
        .size:           4
        .value_kind:     by_value
      - .offset:         108
        .size:           4
        .value_kind:     by_value
      - .offset:         112
        .size:           4
        .value_kind:     by_value
      - .offset:         116
        .size:           12
        .value_kind:     by_value
      - .offset:         128
        .size:           4
        .value_kind:     by_value
      - .offset:         132
        .size:           4
        .value_kind:     by_value
      - .offset:         136
        .size:           4
        .value_kind:     by_value
      - .offset:         140
        .size:           4
        .value_kind:     by_value
    .group_segment_fixed_size: 0
    .kernarg_segment_align: 8
    .kernarg_segment_size: 144
    .language:       OpenCL C
    .language_version:
      - 2
      - 0
    .max_flat_workgroup_size: 32
    .name:           _ZL13mul_mat_vec_qIL9ggml_type16ELi2ELb0ELb0EEvPKvS2_PKi31ggml_cuda_mm_fusion_args_devicePfj15HIP_vector_typeIjLj3EEjjjS8_jjjS8_jjjj
    .private_segment_fixed_size: 0
    .sgpr_count:     28
    .sgpr_spill_count: 0
    .symbol:         _ZL13mul_mat_vec_qIL9ggml_type16ELi2ELb0ELb0EEvPKvS2_PKi31ggml_cuda_mm_fusion_args_devicePfj15HIP_vector_typeIjLj3EEjjjS8_jjjS8_jjjj.kd
    .uniform_work_group_size: 1
    .uses_dynamic_stack: false
    .vgpr_count:     66
    .vgpr_spill_count: 0
    .wavefront_size: 32
    .workgroup_processor_mode: 1
  - .args:
      - .address_space:  global
        .offset:         0
        .size:           8
        .value_kind:     global_buffer
      - .address_space:  global
        .offset:         8
        .size:           8
        .value_kind:     global_buffer
      - .address_space:  global
        .offset:         16
        .size:           8
        .value_kind:     global_buffer
      - .offset:         24
        .size:           32
        .value_kind:     by_value
      - .address_space:  global
        .offset:         56
        .size:           8
        .value_kind:     global_buffer
      - .offset:         64
        .size:           4
        .value_kind:     by_value
      - .offset:         68
        .size:           12
        .value_kind:     by_value
      - .offset:         80
        .size:           4
        .value_kind:     by_value
      - .offset:         84
        .size:           4
        .value_kind:     by_value
      - .offset:         88
        .size:           4
        .value_kind:     by_value
      - .offset:         92
        .size:           12
        .value_kind:     by_value
      - .offset:         104
        .size:           4
        .value_kind:     by_value
      - .offset:         108
        .size:           4
        .value_kind:     by_value
      - .offset:         112
        .size:           4
        .value_kind:     by_value
      - .offset:         116
        .size:           12
        .value_kind:     by_value
      - .offset:         128
        .size:           4
        .value_kind:     by_value
      - .offset:         132
        .size:           4
        .value_kind:     by_value
      - .offset:         136
        .size:           4
        .value_kind:     by_value
      - .offset:         140
        .size:           4
        .value_kind:     by_value
    .group_segment_fixed_size: 0
    .kernarg_segment_align: 8
    .kernarg_segment_size: 144
    .language:       OpenCL C
    .language_version:
      - 2
      - 0
    .max_flat_workgroup_size: 32
    .name:           _ZL13mul_mat_vec_qIL9ggml_type16ELi3ELb0ELb0EEvPKvS2_PKi31ggml_cuda_mm_fusion_args_devicePfj15HIP_vector_typeIjLj3EEjjjS8_jjjS8_jjjj
    .private_segment_fixed_size: 0
    .sgpr_count:     30
    .sgpr_spill_count: 0
    .symbol:         _ZL13mul_mat_vec_qIL9ggml_type16ELi3ELb0ELb0EEvPKvS2_PKi31ggml_cuda_mm_fusion_args_devicePfj15HIP_vector_typeIjLj3EEjjjS8_jjjS8_jjjj.kd
    .uniform_work_group_size: 1
    .uses_dynamic_stack: false
    .vgpr_count:     68
    .vgpr_spill_count: 0
    .wavefront_size: 32
    .workgroup_processor_mode: 1
  - .args:
      - .address_space:  global
        .offset:         0
        .size:           8
        .value_kind:     global_buffer
      - .address_space:  global
        .offset:         8
        .size:           8
        .value_kind:     global_buffer
      - .address_space:  global
        .offset:         16
        .size:           8
        .value_kind:     global_buffer
      - .offset:         24
        .size:           32
        .value_kind:     by_value
      - .address_space:  global
        .offset:         56
        .size:           8
        .value_kind:     global_buffer
      - .offset:         64
        .size:           4
        .value_kind:     by_value
      - .offset:         68
        .size:           12
        .value_kind:     by_value
      - .offset:         80
        .size:           4
        .value_kind:     by_value
      - .offset:         84
        .size:           4
        .value_kind:     by_value
      - .offset:         88
        .size:           4
        .value_kind:     by_value
      - .offset:         92
        .size:           12
        .value_kind:     by_value
      - .offset:         104
        .size:           4
        .value_kind:     by_value
      - .offset:         108
        .size:           4
        .value_kind:     by_value
      - .offset:         112
        .size:           4
        .value_kind:     by_value
      - .offset:         116
        .size:           12
        .value_kind:     by_value
      - .offset:         128
        .size:           4
        .value_kind:     by_value
      - .offset:         132
        .size:           4
        .value_kind:     by_value
      - .offset:         136
        .size:           4
        .value_kind:     by_value
      - .offset:         140
        .size:           4
        .value_kind:     by_value
    .group_segment_fixed_size: 0
    .kernarg_segment_align: 8
    .kernarg_segment_size: 144
    .language:       OpenCL C
    .language_version:
      - 2
      - 0
    .max_flat_workgroup_size: 32
    .name:           _ZL13mul_mat_vec_qIL9ggml_type16ELi4ELb0ELb0EEvPKvS2_PKi31ggml_cuda_mm_fusion_args_devicePfj15HIP_vector_typeIjLj3EEjjjS8_jjjS8_jjjj
    .private_segment_fixed_size: 0
    .sgpr_count:     30
    .sgpr_spill_count: 0
    .symbol:         _ZL13mul_mat_vec_qIL9ggml_type16ELi4ELb0ELb0EEvPKvS2_PKi31ggml_cuda_mm_fusion_args_devicePfj15HIP_vector_typeIjLj3EEjjjS8_jjjS8_jjjj.kd
    .uniform_work_group_size: 1
    .uses_dynamic_stack: false
    .vgpr_count:     64
    .vgpr_spill_count: 0
    .wavefront_size: 32
    .workgroup_processor_mode: 1
  - .args:
      - .address_space:  global
        .offset:         0
        .size:           8
        .value_kind:     global_buffer
      - .address_space:  global
        .offset:         8
        .size:           8
        .value_kind:     global_buffer
      - .address_space:  global
        .offset:         16
        .size:           8
        .value_kind:     global_buffer
      - .offset:         24
        .size:           32
        .value_kind:     by_value
      - .address_space:  global
        .offset:         56
        .size:           8
        .value_kind:     global_buffer
      - .offset:         64
        .size:           4
        .value_kind:     by_value
      - .offset:         68
        .size:           12
        .value_kind:     by_value
      - .offset:         80
        .size:           4
        .value_kind:     by_value
      - .offset:         84
        .size:           4
        .value_kind:     by_value
      - .offset:         88
        .size:           4
        .value_kind:     by_value
      - .offset:         92
        .size:           12
        .value_kind:     by_value
      - .offset:         104
        .size:           4
        .value_kind:     by_value
      - .offset:         108
        .size:           4
        .value_kind:     by_value
      - .offset:         112
        .size:           4
        .value_kind:     by_value
      - .offset:         116
        .size:           12
        .value_kind:     by_value
      - .offset:         128
        .size:           4
        .value_kind:     by_value
      - .offset:         132
        .size:           4
        .value_kind:     by_value
      - .offset:         136
        .size:           4
        .value_kind:     by_value
      - .offset:         140
        .size:           4
        .value_kind:     by_value
    .group_segment_fixed_size: 0
    .kernarg_segment_align: 8
    .kernarg_segment_size: 144
    .language:       OpenCL C
    .language_version:
      - 2
      - 0
    .max_flat_workgroup_size: 32
    .name:           _ZL13mul_mat_vec_qIL9ggml_type16ELi5ELb0ELb0EEvPKvS2_PKi31ggml_cuda_mm_fusion_args_devicePfj15HIP_vector_typeIjLj3EEjjjS8_jjjS8_jjjj
    .private_segment_fixed_size: 0
    .sgpr_count:     30
    .sgpr_spill_count: 0
    .symbol:         _ZL13mul_mat_vec_qIL9ggml_type16ELi5ELb0ELb0EEvPKvS2_PKi31ggml_cuda_mm_fusion_args_devicePfj15HIP_vector_typeIjLj3EEjjjS8_jjjS8_jjjj.kd
    .uniform_work_group_size: 1
    .uses_dynamic_stack: false
    .vgpr_count:     39
    .vgpr_spill_count: 0
    .wavefront_size: 32
    .workgroup_processor_mode: 1
  - .args:
      - .address_space:  global
        .offset:         0
        .size:           8
        .value_kind:     global_buffer
      - .address_space:  global
        .offset:         8
        .size:           8
        .value_kind:     global_buffer
      - .address_space:  global
        .offset:         16
        .size:           8
        .value_kind:     global_buffer
      - .offset:         24
        .size:           32
        .value_kind:     by_value
      - .address_space:  global
        .offset:         56
        .size:           8
        .value_kind:     global_buffer
      - .offset:         64
        .size:           4
        .value_kind:     by_value
      - .offset:         68
        .size:           12
        .value_kind:     by_value
      - .offset:         80
        .size:           4
        .value_kind:     by_value
      - .offset:         84
        .size:           4
        .value_kind:     by_value
      - .offset:         88
        .size:           4
        .value_kind:     by_value
      - .offset:         92
        .size:           12
        .value_kind:     by_value
      - .offset:         104
        .size:           4
        .value_kind:     by_value
      - .offset:         108
        .size:           4
        .value_kind:     by_value
      - .offset:         112
        .size:           4
        .value_kind:     by_value
      - .offset:         116
        .size:           12
        .value_kind:     by_value
      - .offset:         128
        .size:           4
        .value_kind:     by_value
      - .offset:         132
        .size:           4
        .value_kind:     by_value
      - .offset:         136
        .size:           4
        .value_kind:     by_value
      - .offset:         140
        .size:           4
        .value_kind:     by_value
    .group_segment_fixed_size: 0
    .kernarg_segment_align: 8
    .kernarg_segment_size: 144
    .language:       OpenCL C
    .language_version:
      - 2
      - 0
    .max_flat_workgroup_size: 32
    .name:           _ZL13mul_mat_vec_qIL9ggml_type16ELi6ELb0ELb0EEvPKvS2_PKi31ggml_cuda_mm_fusion_args_devicePfj15HIP_vector_typeIjLj3EEjjjS8_jjjS8_jjjj
    .private_segment_fixed_size: 0
    .sgpr_count:     30
    .sgpr_spill_count: 0
    .symbol:         _ZL13mul_mat_vec_qIL9ggml_type16ELi6ELb0ELb0EEvPKvS2_PKi31ggml_cuda_mm_fusion_args_devicePfj15HIP_vector_typeIjLj3EEjjjS8_jjjS8_jjjj.kd
    .uniform_work_group_size: 1
    .uses_dynamic_stack: false
    .vgpr_count:     41
    .vgpr_spill_count: 0
    .wavefront_size: 32
    .workgroup_processor_mode: 1
  - .args:
      - .address_space:  global
        .offset:         0
        .size:           8
        .value_kind:     global_buffer
      - .address_space:  global
        .offset:         8
        .size:           8
        .value_kind:     global_buffer
      - .address_space:  global
        .offset:         16
        .size:           8
        .value_kind:     global_buffer
      - .offset:         24
        .size:           32
        .value_kind:     by_value
      - .address_space:  global
        .offset:         56
        .size:           8
        .value_kind:     global_buffer
      - .offset:         64
        .size:           4
        .value_kind:     by_value
      - .offset:         68
        .size:           12
        .value_kind:     by_value
      - .offset:         80
        .size:           4
        .value_kind:     by_value
      - .offset:         84
        .size:           4
        .value_kind:     by_value
      - .offset:         88
        .size:           4
        .value_kind:     by_value
      - .offset:         92
        .size:           12
        .value_kind:     by_value
      - .offset:         104
        .size:           4
        .value_kind:     by_value
      - .offset:         108
        .size:           4
        .value_kind:     by_value
      - .offset:         112
        .size:           4
        .value_kind:     by_value
      - .offset:         116
        .size:           12
        .value_kind:     by_value
      - .offset:         128
        .size:           4
        .value_kind:     by_value
      - .offset:         132
        .size:           4
        .value_kind:     by_value
      - .offset:         136
        .size:           4
        .value_kind:     by_value
      - .offset:         140
        .size:           4
        .value_kind:     by_value
    .group_segment_fixed_size: 0
    .kernarg_segment_align: 8
    .kernarg_segment_size: 144
    .language:       OpenCL C
    .language_version:
      - 2
      - 0
    .max_flat_workgroup_size: 32
    .name:           _ZL13mul_mat_vec_qIL9ggml_type16ELi7ELb0ELb0EEvPKvS2_PKi31ggml_cuda_mm_fusion_args_devicePfj15HIP_vector_typeIjLj3EEjjjS8_jjjS8_jjjj
    .private_segment_fixed_size: 0
    .sgpr_count:     30
    .sgpr_spill_count: 0
    .symbol:         _ZL13mul_mat_vec_qIL9ggml_type16ELi7ELb0ELb0EEvPKvS2_PKi31ggml_cuda_mm_fusion_args_devicePfj15HIP_vector_typeIjLj3EEjjjS8_jjjS8_jjjj.kd
    .uniform_work_group_size: 1
    .uses_dynamic_stack: false
    .vgpr_count:     43
    .vgpr_spill_count: 0
    .wavefront_size: 32
    .workgroup_processor_mode: 1
  - .args:
      - .address_space:  global
        .offset:         0
        .size:           8
        .value_kind:     global_buffer
      - .address_space:  global
        .offset:         8
        .size:           8
        .value_kind:     global_buffer
      - .address_space:  global
        .offset:         16
        .size:           8
        .value_kind:     global_buffer
      - .offset:         24
        .size:           32
        .value_kind:     by_value
      - .address_space:  global
        .offset:         56
        .size:           8
        .value_kind:     global_buffer
      - .offset:         64
        .size:           4
        .value_kind:     by_value
      - .offset:         68
        .size:           12
        .value_kind:     by_value
      - .offset:         80
        .size:           4
        .value_kind:     by_value
      - .offset:         84
        .size:           4
        .value_kind:     by_value
      - .offset:         88
        .size:           4
        .value_kind:     by_value
      - .offset:         92
        .size:           12
        .value_kind:     by_value
      - .offset:         104
        .size:           4
        .value_kind:     by_value
      - .offset:         108
        .size:           4
        .value_kind:     by_value
      - .offset:         112
        .size:           4
        .value_kind:     by_value
      - .offset:         116
        .size:           12
        .value_kind:     by_value
      - .offset:         128
        .size:           4
        .value_kind:     by_value
      - .offset:         132
        .size:           4
        .value_kind:     by_value
      - .offset:         136
        .size:           4
        .value_kind:     by_value
      - .offset:         140
        .size:           4
        .value_kind:     by_value
    .group_segment_fixed_size: 0
    .kernarg_segment_align: 8
    .kernarg_segment_size: 144
    .language:       OpenCL C
    .language_version:
      - 2
      - 0
    .max_flat_workgroup_size: 32
    .name:           _ZL13mul_mat_vec_qIL9ggml_type16ELi8ELb0ELb0EEvPKvS2_PKi31ggml_cuda_mm_fusion_args_devicePfj15HIP_vector_typeIjLj3EEjjjS8_jjjS8_jjjj
    .private_segment_fixed_size: 0
    .sgpr_count:     30
    .sgpr_spill_count: 0
    .symbol:         _ZL13mul_mat_vec_qIL9ggml_type16ELi8ELb0ELb0EEvPKvS2_PKi31ggml_cuda_mm_fusion_args_devicePfj15HIP_vector_typeIjLj3EEjjjS8_jjjS8_jjjj.kd
    .uniform_work_group_size: 1
    .uses_dynamic_stack: false
    .vgpr_count:     39
    .vgpr_spill_count: 0
    .wavefront_size: 32
    .workgroup_processor_mode: 1
  - .args:
      - .address_space:  global
        .offset:         0
        .size:           8
        .value_kind:     global_buffer
      - .address_space:  global
        .offset:         8
        .size:           8
        .value_kind:     global_buffer
      - .address_space:  global
        .offset:         16
        .size:           8
        .value_kind:     global_buffer
      - .address_space:  global
        .offset:         24
        .size:           8
        .value_kind:     global_buffer
      - .offset:         32
        .size:           4
        .value_kind:     by_value
      - .offset:         36
        .size:           12
        .value_kind:     by_value
      - .offset:         48
        .size:           4
        .value_kind:     by_value
      - .offset:         52
        .size:           4
        .value_kind:     by_value
      - .offset:         56
        .size:           4
        .value_kind:     by_value
      - .offset:         60
        .size:           4
        .value_kind:     by_value
      - .offset:         64
        .size:           4
        .value_kind:     by_value
      - .offset:         68
        .size:           4
        .value_kind:     by_value
      - .offset:         72
        .size:           4
        .value_kind:     by_value
      - .offset:         76
        .size:           4
        .value_kind:     by_value
      - .offset:         80
        .size:           4
        .value_kind:     by_value
    .group_segment_fixed_size: 0
    .kernarg_segment_align: 8
    .kernarg_segment_size: 84
    .language:       OpenCL C
    .language_version:
      - 2
      - 0
    .max_flat_workgroup_size: 128
    .name:           _ZL17mul_mat_vec_q_moeIL9ggml_type17ELi2EEvPKvS2_PKiPfj15HIP_vector_typeIjLj3EEjjjjjjjjj
    .private_segment_fixed_size: 0
    .sgpr_count:     30
    .sgpr_spill_count: 0
    .symbol:         _ZL17mul_mat_vec_q_moeIL9ggml_type17ELi2EEvPKvS2_PKiPfj15HIP_vector_typeIjLj3EEjjjjjjjjj.kd
    .uniform_work_group_size: 1
    .uses_dynamic_stack: false
    .vgpr_count:     109
    .vgpr_spill_count: 0
    .wavefront_size: 32
    .workgroup_processor_mode: 1
  - .args:
      - .address_space:  global
        .offset:         0
        .size:           8
        .value_kind:     global_buffer
      - .address_space:  global
        .offset:         8
        .size:           8
        .value_kind:     global_buffer
      - .address_space:  global
        .offset:         16
        .size:           8
        .value_kind:     global_buffer
      - .offset:         24
        .size:           32
        .value_kind:     by_value
      - .address_space:  global
        .offset:         56
        .size:           8
        .value_kind:     global_buffer
      - .offset:         64
        .size:           4
        .value_kind:     by_value
      - .offset:         68
        .size:           12
        .value_kind:     by_value
      - .offset:         80
        .size:           4
        .value_kind:     by_value
      - .offset:         84
        .size:           4
        .value_kind:     by_value
      - .offset:         88
        .size:           4
        .value_kind:     by_value
      - .offset:         92
        .size:           12
        .value_kind:     by_value
      - .offset:         104
        .size:           4
        .value_kind:     by_value
      - .offset:         108
        .size:           4
        .value_kind:     by_value
      - .offset:         112
        .size:           4
        .value_kind:     by_value
      - .offset:         116
        .size:           12
        .value_kind:     by_value
      - .offset:         128
        .size:           4
        .value_kind:     by_value
      - .offset:         132
        .size:           4
        .value_kind:     by_value
      - .offset:         136
        .size:           4
        .value_kind:     by_value
      - .offset:         140
        .size:           4
        .value_kind:     by_value
    .group_segment_fixed_size: 0
    .kernarg_segment_align: 8
    .kernarg_segment_size: 144
    .language:       OpenCL C
    .language_version:
      - 2
      - 0
    .max_flat_workgroup_size: 32
    .name:           _ZL13mul_mat_vec_qIL9ggml_type17ELi1ELb1ELb1EEvPKvS2_PKi31ggml_cuda_mm_fusion_args_devicePfj15HIP_vector_typeIjLj3EEjjjS8_jjjS8_jjjj
    .private_segment_fixed_size: 0
    .sgpr_count:     42
    .sgpr_spill_count: 0
    .symbol:         _ZL13mul_mat_vec_qIL9ggml_type17ELi1ELb1ELb1EEvPKvS2_PKi31ggml_cuda_mm_fusion_args_devicePfj15HIP_vector_typeIjLj3EEjjjS8_jjjS8_jjjj.kd
    .uniform_work_group_size: 1
    .uses_dynamic_stack: false
    .vgpr_count:     52
    .vgpr_spill_count: 0
    .wavefront_size: 32
    .workgroup_processor_mode: 1
  - .args:
      - .address_space:  global
        .offset:         0
        .size:           8
        .value_kind:     global_buffer
      - .address_space:  global
        .offset:         8
        .size:           8
        .value_kind:     global_buffer
      - .address_space:  global
        .offset:         16
        .size:           8
        .value_kind:     global_buffer
      - .offset:         24
        .size:           32
        .value_kind:     by_value
      - .address_space:  global
        .offset:         56
        .size:           8
        .value_kind:     global_buffer
      - .offset:         64
        .size:           4
        .value_kind:     by_value
      - .offset:         68
        .size:           12
        .value_kind:     by_value
      - .offset:         80
        .size:           4
        .value_kind:     by_value
      - .offset:         84
        .size:           4
        .value_kind:     by_value
      - .offset:         88
        .size:           4
        .value_kind:     by_value
      - .offset:         92
        .size:           12
        .value_kind:     by_value
      - .offset:         104
        .size:           4
        .value_kind:     by_value
      - .offset:         108
        .size:           4
        .value_kind:     by_value
      - .offset:         112
        .size:           4
        .value_kind:     by_value
      - .offset:         116
        .size:           12
        .value_kind:     by_value
      - .offset:         128
        .size:           4
        .value_kind:     by_value
      - .offset:         132
        .size:           4
        .value_kind:     by_value
      - .offset:         136
        .size:           4
        .value_kind:     by_value
      - .offset:         140
        .size:           4
        .value_kind:     by_value
    .group_segment_fixed_size: 0
    .kernarg_segment_align: 8
    .kernarg_segment_size: 144
    .language:       OpenCL C
    .language_version:
      - 2
      - 0
    .max_flat_workgroup_size: 32
    .name:           _ZL13mul_mat_vec_qIL9ggml_type17ELi1ELb0ELb1EEvPKvS2_PKi31ggml_cuda_mm_fusion_args_devicePfj15HIP_vector_typeIjLj3EEjjjS8_jjjS8_jjjj
    .private_segment_fixed_size: 0
    .sgpr_count:     24
    .sgpr_spill_count: 0
    .symbol:         _ZL13mul_mat_vec_qIL9ggml_type17ELi1ELb0ELb1EEvPKvS2_PKi31ggml_cuda_mm_fusion_args_devicePfj15HIP_vector_typeIjLj3EEjjjS8_jjjS8_jjjj.kd
    .uniform_work_group_size: 1
    .uses_dynamic_stack: false
    .vgpr_count:     62
    .vgpr_spill_count: 0
    .wavefront_size: 32
    .workgroup_processor_mode: 1
  - .args:
      - .address_space:  global
        .offset:         0
        .size:           8
        .value_kind:     global_buffer
      - .address_space:  global
        .offset:         8
        .size:           8
        .value_kind:     global_buffer
      - .address_space:  global
        .offset:         16
        .size:           8
        .value_kind:     global_buffer
      - .offset:         24
        .size:           32
        .value_kind:     by_value
      - .address_space:  global
        .offset:         56
        .size:           8
        .value_kind:     global_buffer
      - .offset:         64
        .size:           4
        .value_kind:     by_value
      - .offset:         68
        .size:           12
        .value_kind:     by_value
      - .offset:         80
        .size:           4
        .value_kind:     by_value
      - .offset:         84
        .size:           4
        .value_kind:     by_value
      - .offset:         88
        .size:           4
        .value_kind:     by_value
      - .offset:         92
        .size:           12
        .value_kind:     by_value
      - .offset:         104
        .size:           4
        .value_kind:     by_value
      - .offset:         108
        .size:           4
        .value_kind:     by_value
      - .offset:         112
        .size:           4
        .value_kind:     by_value
      - .offset:         116
        .size:           12
        .value_kind:     by_value
      - .offset:         128
        .size:           4
        .value_kind:     by_value
      - .offset:         132
        .size:           4
        .value_kind:     by_value
      - .offset:         136
        .size:           4
        .value_kind:     by_value
      - .offset:         140
        .size:           4
        .value_kind:     by_value
    .group_segment_fixed_size: 0
    .kernarg_segment_align: 8
    .kernarg_segment_size: 144
    .language:       OpenCL C
    .language_version:
      - 2
      - 0
    .max_flat_workgroup_size: 32
    .name:           _ZL13mul_mat_vec_qIL9ggml_type17ELi1ELb1ELb0EEvPKvS2_PKi31ggml_cuda_mm_fusion_args_devicePfj15HIP_vector_typeIjLj3EEjjjS8_jjjS8_jjjj
    .private_segment_fixed_size: 0
    .sgpr_count:     42
    .sgpr_spill_count: 0
    .symbol:         _ZL13mul_mat_vec_qIL9ggml_type17ELi1ELb1ELb0EEvPKvS2_PKi31ggml_cuda_mm_fusion_args_devicePfj15HIP_vector_typeIjLj3EEjjjS8_jjjS8_jjjj.kd
    .uniform_work_group_size: 1
    .uses_dynamic_stack: false
    .vgpr_count:     52
    .vgpr_spill_count: 0
    .wavefront_size: 32
    .workgroup_processor_mode: 1
  - .args:
      - .address_space:  global
        .offset:         0
        .size:           8
        .value_kind:     global_buffer
      - .address_space:  global
        .offset:         8
        .size:           8
        .value_kind:     global_buffer
      - .address_space:  global
        .offset:         16
        .size:           8
        .value_kind:     global_buffer
      - .offset:         24
        .size:           32
        .value_kind:     by_value
      - .address_space:  global
        .offset:         56
        .size:           8
        .value_kind:     global_buffer
      - .offset:         64
        .size:           4
        .value_kind:     by_value
      - .offset:         68
        .size:           12
        .value_kind:     by_value
      - .offset:         80
        .size:           4
        .value_kind:     by_value
      - .offset:         84
        .size:           4
        .value_kind:     by_value
      - .offset:         88
        .size:           4
        .value_kind:     by_value
      - .offset:         92
        .size:           12
        .value_kind:     by_value
      - .offset:         104
        .size:           4
        .value_kind:     by_value
      - .offset:         108
        .size:           4
        .value_kind:     by_value
      - .offset:         112
        .size:           4
        .value_kind:     by_value
      - .offset:         116
        .size:           12
        .value_kind:     by_value
      - .offset:         128
        .size:           4
        .value_kind:     by_value
      - .offset:         132
        .size:           4
        .value_kind:     by_value
      - .offset:         136
        .size:           4
        .value_kind:     by_value
      - .offset:         140
        .size:           4
        .value_kind:     by_value
    .group_segment_fixed_size: 0
    .kernarg_segment_align: 8
    .kernarg_segment_size: 144
    .language:       OpenCL C
    .language_version:
      - 2
      - 0
    .max_flat_workgroup_size: 32
    .name:           _ZL13mul_mat_vec_qIL9ggml_type17ELi1ELb0ELb0EEvPKvS2_PKi31ggml_cuda_mm_fusion_args_devicePfj15HIP_vector_typeIjLj3EEjjjS8_jjjS8_jjjj
    .private_segment_fixed_size: 0
    .sgpr_count:     24
    .sgpr_spill_count: 0
    .symbol:         _ZL13mul_mat_vec_qIL9ggml_type17ELi1ELb0ELb0EEvPKvS2_PKi31ggml_cuda_mm_fusion_args_devicePfj15HIP_vector_typeIjLj3EEjjjS8_jjjS8_jjjj.kd
    .uniform_work_group_size: 1
    .uses_dynamic_stack: false
    .vgpr_count:     62
    .vgpr_spill_count: 0
    .wavefront_size: 32
    .workgroup_processor_mode: 1
  - .args:
      - .address_space:  global
        .offset:         0
        .size:           8
        .value_kind:     global_buffer
      - .address_space:  global
        .offset:         8
        .size:           8
        .value_kind:     global_buffer
      - .address_space:  global
        .offset:         16
        .size:           8
        .value_kind:     global_buffer
      - .offset:         24
        .size:           32
        .value_kind:     by_value
      - .address_space:  global
        .offset:         56
        .size:           8
        .value_kind:     global_buffer
      - .offset:         64
        .size:           4
        .value_kind:     by_value
      - .offset:         68
        .size:           12
        .value_kind:     by_value
      - .offset:         80
        .size:           4
        .value_kind:     by_value
      - .offset:         84
        .size:           4
        .value_kind:     by_value
      - .offset:         88
        .size:           4
        .value_kind:     by_value
      - .offset:         92
        .size:           12
        .value_kind:     by_value
      - .offset:         104
        .size:           4
        .value_kind:     by_value
      - .offset:         108
        .size:           4
        .value_kind:     by_value
      - .offset:         112
        .size:           4
        .value_kind:     by_value
      - .offset:         116
        .size:           12
        .value_kind:     by_value
      - .offset:         128
        .size:           4
        .value_kind:     by_value
      - .offset:         132
        .size:           4
        .value_kind:     by_value
      - .offset:         136
        .size:           4
        .value_kind:     by_value
      - .offset:         140
        .size:           4
        .value_kind:     by_value
    .group_segment_fixed_size: 0
    .kernarg_segment_align: 8
    .kernarg_segment_size: 144
    .language:       OpenCL C
    .language_version:
      - 2
      - 0
    .max_flat_workgroup_size: 32
    .name:           _ZL13mul_mat_vec_qIL9ggml_type17ELi2ELb0ELb0EEvPKvS2_PKi31ggml_cuda_mm_fusion_args_devicePfj15HIP_vector_typeIjLj3EEjjjS8_jjjS8_jjjj
    .private_segment_fixed_size: 0
    .sgpr_count:     28
    .sgpr_spill_count: 0
    .symbol:         _ZL13mul_mat_vec_qIL9ggml_type17ELi2ELb0ELb0EEvPKvS2_PKi31ggml_cuda_mm_fusion_args_devicePfj15HIP_vector_typeIjLj3EEjjjS8_jjjS8_jjjj.kd
    .uniform_work_group_size: 1
    .uses_dynamic_stack: false
    .vgpr_count:     64
    .vgpr_spill_count: 0
    .wavefront_size: 32
    .workgroup_processor_mode: 1
  - .args:
      - .address_space:  global
        .offset:         0
        .size:           8
        .value_kind:     global_buffer
      - .address_space:  global
        .offset:         8
        .size:           8
        .value_kind:     global_buffer
      - .address_space:  global
        .offset:         16
        .size:           8
        .value_kind:     global_buffer
      - .offset:         24
        .size:           32
        .value_kind:     by_value
      - .address_space:  global
        .offset:         56
        .size:           8
        .value_kind:     global_buffer
      - .offset:         64
        .size:           4
        .value_kind:     by_value
      - .offset:         68
        .size:           12
        .value_kind:     by_value
      - .offset:         80
        .size:           4
        .value_kind:     by_value
      - .offset:         84
        .size:           4
        .value_kind:     by_value
      - .offset:         88
        .size:           4
        .value_kind:     by_value
      - .offset:         92
        .size:           12
        .value_kind:     by_value
      - .offset:         104
        .size:           4
        .value_kind:     by_value
      - .offset:         108
        .size:           4
        .value_kind:     by_value
      - .offset:         112
        .size:           4
        .value_kind:     by_value
      - .offset:         116
        .size:           12
        .value_kind:     by_value
      - .offset:         128
        .size:           4
        .value_kind:     by_value
      - .offset:         132
        .size:           4
        .value_kind:     by_value
      - .offset:         136
        .size:           4
        .value_kind:     by_value
      - .offset:         140
        .size:           4
        .value_kind:     by_value
    .group_segment_fixed_size: 0
    .kernarg_segment_align: 8
    .kernarg_segment_size: 144
    .language:       OpenCL C
    .language_version:
      - 2
      - 0
    .max_flat_workgroup_size: 32
    .name:           _ZL13mul_mat_vec_qIL9ggml_type17ELi3ELb0ELb0EEvPKvS2_PKi31ggml_cuda_mm_fusion_args_devicePfj15HIP_vector_typeIjLj3EEjjjS8_jjjS8_jjjj
    .private_segment_fixed_size: 0
    .sgpr_count:     30
    .sgpr_spill_count: 0
    .symbol:         _ZL13mul_mat_vec_qIL9ggml_type17ELi3ELb0ELb0EEvPKvS2_PKi31ggml_cuda_mm_fusion_args_devicePfj15HIP_vector_typeIjLj3EEjjjS8_jjjS8_jjjj.kd
    .uniform_work_group_size: 1
    .uses_dynamic_stack: false
    .vgpr_count:     68
    .vgpr_spill_count: 0
    .wavefront_size: 32
    .workgroup_processor_mode: 1
  - .args:
      - .address_space:  global
        .offset:         0
        .size:           8
        .value_kind:     global_buffer
      - .address_space:  global
        .offset:         8
        .size:           8
        .value_kind:     global_buffer
      - .address_space:  global
        .offset:         16
        .size:           8
        .value_kind:     global_buffer
      - .offset:         24
        .size:           32
        .value_kind:     by_value
      - .address_space:  global
        .offset:         56
        .size:           8
        .value_kind:     global_buffer
      - .offset:         64
        .size:           4
        .value_kind:     by_value
      - .offset:         68
        .size:           12
        .value_kind:     by_value
      - .offset:         80
        .size:           4
        .value_kind:     by_value
      - .offset:         84
        .size:           4
        .value_kind:     by_value
      - .offset:         88
        .size:           4
        .value_kind:     by_value
      - .offset:         92
        .size:           12
        .value_kind:     by_value
      - .offset:         104
        .size:           4
        .value_kind:     by_value
      - .offset:         108
        .size:           4
        .value_kind:     by_value
      - .offset:         112
        .size:           4
        .value_kind:     by_value
      - .offset:         116
        .size:           12
        .value_kind:     by_value
      - .offset:         128
        .size:           4
        .value_kind:     by_value
      - .offset:         132
        .size:           4
        .value_kind:     by_value
      - .offset:         136
        .size:           4
        .value_kind:     by_value
      - .offset:         140
        .size:           4
        .value_kind:     by_value
    .group_segment_fixed_size: 0
    .kernarg_segment_align: 8
    .kernarg_segment_size: 144
    .language:       OpenCL C
    .language_version:
      - 2
      - 0
    .max_flat_workgroup_size: 32
    .name:           _ZL13mul_mat_vec_qIL9ggml_type17ELi4ELb0ELb0EEvPKvS2_PKi31ggml_cuda_mm_fusion_args_devicePfj15HIP_vector_typeIjLj3EEjjjS8_jjjS8_jjjj
    .private_segment_fixed_size: 0
    .sgpr_count:     30
    .sgpr_spill_count: 0
    .symbol:         _ZL13mul_mat_vec_qIL9ggml_type17ELi4ELb0ELb0EEvPKvS2_PKi31ggml_cuda_mm_fusion_args_devicePfj15HIP_vector_typeIjLj3EEjjjS8_jjjS8_jjjj.kd
    .uniform_work_group_size: 1
    .uses_dynamic_stack: false
    .vgpr_count:     63
    .vgpr_spill_count: 0
    .wavefront_size: 32
    .workgroup_processor_mode: 1
  - .args:
      - .address_space:  global
        .offset:         0
        .size:           8
        .value_kind:     global_buffer
      - .address_space:  global
        .offset:         8
        .size:           8
        .value_kind:     global_buffer
      - .address_space:  global
        .offset:         16
        .size:           8
        .value_kind:     global_buffer
      - .offset:         24
        .size:           32
        .value_kind:     by_value
      - .address_space:  global
        .offset:         56
        .size:           8
        .value_kind:     global_buffer
      - .offset:         64
        .size:           4
        .value_kind:     by_value
      - .offset:         68
        .size:           12
        .value_kind:     by_value
      - .offset:         80
        .size:           4
        .value_kind:     by_value
      - .offset:         84
        .size:           4
        .value_kind:     by_value
      - .offset:         88
        .size:           4
        .value_kind:     by_value
      - .offset:         92
        .size:           12
        .value_kind:     by_value
      - .offset:         104
        .size:           4
        .value_kind:     by_value
      - .offset:         108
        .size:           4
        .value_kind:     by_value
      - .offset:         112
        .size:           4
        .value_kind:     by_value
      - .offset:         116
        .size:           12
        .value_kind:     by_value
      - .offset:         128
        .size:           4
        .value_kind:     by_value
      - .offset:         132
        .size:           4
        .value_kind:     by_value
      - .offset:         136
        .size:           4
        .value_kind:     by_value
      - .offset:         140
        .size:           4
        .value_kind:     by_value
    .group_segment_fixed_size: 0
    .kernarg_segment_align: 8
    .kernarg_segment_size: 144
    .language:       OpenCL C
    .language_version:
      - 2
      - 0
    .max_flat_workgroup_size: 32
    .name:           _ZL13mul_mat_vec_qIL9ggml_type17ELi5ELb0ELb0EEvPKvS2_PKi31ggml_cuda_mm_fusion_args_devicePfj15HIP_vector_typeIjLj3EEjjjS8_jjjS8_jjjj
    .private_segment_fixed_size: 0
    .sgpr_count:     30
    .sgpr_spill_count: 0
    .symbol:         _ZL13mul_mat_vec_qIL9ggml_type17ELi5ELb0ELb0EEvPKvS2_PKi31ggml_cuda_mm_fusion_args_devicePfj15HIP_vector_typeIjLj3EEjjjS8_jjjS8_jjjj.kd
    .uniform_work_group_size: 1
    .uses_dynamic_stack: false
    .vgpr_count:     40
    .vgpr_spill_count: 0
    .wavefront_size: 32
    .workgroup_processor_mode: 1
  - .args:
      - .address_space:  global
        .offset:         0
        .size:           8
        .value_kind:     global_buffer
      - .address_space:  global
        .offset:         8
        .size:           8
        .value_kind:     global_buffer
      - .address_space:  global
        .offset:         16
        .size:           8
        .value_kind:     global_buffer
      - .offset:         24
        .size:           32
        .value_kind:     by_value
      - .address_space:  global
        .offset:         56
        .size:           8
        .value_kind:     global_buffer
      - .offset:         64
        .size:           4
        .value_kind:     by_value
      - .offset:         68
        .size:           12
        .value_kind:     by_value
      - .offset:         80
        .size:           4
        .value_kind:     by_value
      - .offset:         84
        .size:           4
        .value_kind:     by_value
      - .offset:         88
        .size:           4
        .value_kind:     by_value
      - .offset:         92
        .size:           12
        .value_kind:     by_value
      - .offset:         104
        .size:           4
        .value_kind:     by_value
      - .offset:         108
        .size:           4
        .value_kind:     by_value
      - .offset:         112
        .size:           4
        .value_kind:     by_value
      - .offset:         116
        .size:           12
        .value_kind:     by_value
      - .offset:         128
        .size:           4
        .value_kind:     by_value
      - .offset:         132
        .size:           4
        .value_kind:     by_value
      - .offset:         136
        .size:           4
        .value_kind:     by_value
      - .offset:         140
        .size:           4
        .value_kind:     by_value
    .group_segment_fixed_size: 0
    .kernarg_segment_align: 8
    .kernarg_segment_size: 144
    .language:       OpenCL C
    .language_version:
      - 2
      - 0
    .max_flat_workgroup_size: 32
    .name:           _ZL13mul_mat_vec_qIL9ggml_type17ELi6ELb0ELb0EEvPKvS2_PKi31ggml_cuda_mm_fusion_args_devicePfj15HIP_vector_typeIjLj3EEjjjS8_jjjS8_jjjj
    .private_segment_fixed_size: 0
    .sgpr_count:     30
    .sgpr_spill_count: 0
    .symbol:         _ZL13mul_mat_vec_qIL9ggml_type17ELi6ELb0ELb0EEvPKvS2_PKi31ggml_cuda_mm_fusion_args_devicePfj15HIP_vector_typeIjLj3EEjjjS8_jjjS8_jjjj.kd
    .uniform_work_group_size: 1
    .uses_dynamic_stack: false
    .vgpr_count:     42
    .vgpr_spill_count: 0
    .wavefront_size: 32
    .workgroup_processor_mode: 1
  - .args:
      - .address_space:  global
        .offset:         0
        .size:           8
        .value_kind:     global_buffer
      - .address_space:  global
        .offset:         8
        .size:           8
        .value_kind:     global_buffer
      - .address_space:  global
        .offset:         16
        .size:           8
        .value_kind:     global_buffer
      - .offset:         24
        .size:           32
        .value_kind:     by_value
      - .address_space:  global
        .offset:         56
        .size:           8
        .value_kind:     global_buffer
      - .offset:         64
        .size:           4
        .value_kind:     by_value
      - .offset:         68
        .size:           12
        .value_kind:     by_value
      - .offset:         80
        .size:           4
        .value_kind:     by_value
      - .offset:         84
        .size:           4
        .value_kind:     by_value
      - .offset:         88
        .size:           4
        .value_kind:     by_value
      - .offset:         92
        .size:           12
        .value_kind:     by_value
      - .offset:         104
        .size:           4
        .value_kind:     by_value
      - .offset:         108
        .size:           4
        .value_kind:     by_value
      - .offset:         112
        .size:           4
        .value_kind:     by_value
      - .offset:         116
        .size:           12
        .value_kind:     by_value
      - .offset:         128
        .size:           4
        .value_kind:     by_value
      - .offset:         132
        .size:           4
        .value_kind:     by_value
      - .offset:         136
        .size:           4
        .value_kind:     by_value
      - .offset:         140
        .size:           4
        .value_kind:     by_value
    .group_segment_fixed_size: 0
    .kernarg_segment_align: 8
    .kernarg_segment_size: 144
    .language:       OpenCL C
    .language_version:
      - 2
      - 0
    .max_flat_workgroup_size: 32
    .name:           _ZL13mul_mat_vec_qIL9ggml_type17ELi7ELb0ELb0EEvPKvS2_PKi31ggml_cuda_mm_fusion_args_devicePfj15HIP_vector_typeIjLj3EEjjjS8_jjjS8_jjjj
    .private_segment_fixed_size: 0
    .sgpr_count:     30
    .sgpr_spill_count: 0
    .symbol:         _ZL13mul_mat_vec_qIL9ggml_type17ELi7ELb0ELb0EEvPKvS2_PKi31ggml_cuda_mm_fusion_args_devicePfj15HIP_vector_typeIjLj3EEjjjS8_jjjS8_jjjj.kd
    .uniform_work_group_size: 1
    .uses_dynamic_stack: false
    .vgpr_count:     44
    .vgpr_spill_count: 0
    .wavefront_size: 32
    .workgroup_processor_mode: 1
  - .args:
      - .address_space:  global
        .offset:         0
        .size:           8
        .value_kind:     global_buffer
      - .address_space:  global
        .offset:         8
        .size:           8
        .value_kind:     global_buffer
      - .address_space:  global
        .offset:         16
        .size:           8
        .value_kind:     global_buffer
      - .offset:         24
        .size:           32
        .value_kind:     by_value
      - .address_space:  global
        .offset:         56
        .size:           8
        .value_kind:     global_buffer
      - .offset:         64
        .size:           4
        .value_kind:     by_value
      - .offset:         68
        .size:           12
        .value_kind:     by_value
      - .offset:         80
        .size:           4
        .value_kind:     by_value
      - .offset:         84
        .size:           4
        .value_kind:     by_value
      - .offset:         88
        .size:           4
        .value_kind:     by_value
      - .offset:         92
        .size:           12
        .value_kind:     by_value
      - .offset:         104
        .size:           4
        .value_kind:     by_value
      - .offset:         108
        .size:           4
        .value_kind:     by_value
      - .offset:         112
        .size:           4
        .value_kind:     by_value
      - .offset:         116
        .size:           12
        .value_kind:     by_value
      - .offset:         128
        .size:           4
        .value_kind:     by_value
      - .offset:         132
        .size:           4
        .value_kind:     by_value
      - .offset:         136
        .size:           4
        .value_kind:     by_value
      - .offset:         140
        .size:           4
        .value_kind:     by_value
    .group_segment_fixed_size: 0
    .kernarg_segment_align: 8
    .kernarg_segment_size: 144
    .language:       OpenCL C
    .language_version:
      - 2
      - 0
    .max_flat_workgroup_size: 32
    .name:           _ZL13mul_mat_vec_qIL9ggml_type17ELi8ELb0ELb0EEvPKvS2_PKi31ggml_cuda_mm_fusion_args_devicePfj15HIP_vector_typeIjLj3EEjjjS8_jjjS8_jjjj
    .private_segment_fixed_size: 0
    .sgpr_count:     30
    .sgpr_spill_count: 0
    .symbol:         _ZL13mul_mat_vec_qIL9ggml_type17ELi8ELb0ELb0EEvPKvS2_PKi31ggml_cuda_mm_fusion_args_devicePfj15HIP_vector_typeIjLj3EEjjjS8_jjjS8_jjjj.kd
    .uniform_work_group_size: 1
    .uses_dynamic_stack: false
    .vgpr_count:     40
    .vgpr_spill_count: 0
    .wavefront_size: 32
    .workgroup_processor_mode: 1
  - .args:
      - .address_space:  global
        .offset:         0
        .size:           8
        .value_kind:     global_buffer
      - .address_space:  global
        .offset:         8
        .size:           8
        .value_kind:     global_buffer
      - .address_space:  global
        .offset:         16
        .size:           8
        .value_kind:     global_buffer
      - .address_space:  global
        .offset:         24
        .size:           8
        .value_kind:     global_buffer
      - .offset:         32
        .size:           4
        .value_kind:     by_value
      - .offset:         36
        .size:           12
        .value_kind:     by_value
      - .offset:         48
        .size:           4
        .value_kind:     by_value
      - .offset:         52
        .size:           4
        .value_kind:     by_value
      - .offset:         56
        .size:           4
        .value_kind:     by_value
      - .offset:         60
        .size:           4
        .value_kind:     by_value
      - .offset:         64
        .size:           4
        .value_kind:     by_value
      - .offset:         68
        .size:           4
        .value_kind:     by_value
      - .offset:         72
        .size:           4
        .value_kind:     by_value
      - .offset:         76
        .size:           4
        .value_kind:     by_value
      - .offset:         80
        .size:           4
        .value_kind:     by_value
    .group_segment_fixed_size: 0
    .kernarg_segment_align: 8
    .kernarg_segment_size: 84
    .language:       OpenCL C
    .language_version:
      - 2
      - 0
    .max_flat_workgroup_size: 128
    .name:           _ZL17mul_mat_vec_q_moeIL9ggml_type22ELi2EEvPKvS2_PKiPfj15HIP_vector_typeIjLj3EEjjjjjjjjj
    .private_segment_fixed_size: 0
    .sgpr_count:     30
    .sgpr_spill_count: 0
    .symbol:         _ZL17mul_mat_vec_q_moeIL9ggml_type22ELi2EEvPKvS2_PKiPfj15HIP_vector_typeIjLj3EEjjjjjjjjj.kd
    .uniform_work_group_size: 1
    .uses_dynamic_stack: false
    .vgpr_count:     107
    .vgpr_spill_count: 0
    .wavefront_size: 32
    .workgroup_processor_mode: 1
  - .args:
      - .address_space:  global
        .offset:         0
        .size:           8
        .value_kind:     global_buffer
      - .address_space:  global
        .offset:         8
        .size:           8
        .value_kind:     global_buffer
      - .address_space:  global
        .offset:         16
        .size:           8
        .value_kind:     global_buffer
      - .offset:         24
        .size:           32
        .value_kind:     by_value
      - .address_space:  global
        .offset:         56
        .size:           8
        .value_kind:     global_buffer
      - .offset:         64
        .size:           4
        .value_kind:     by_value
      - .offset:         68
        .size:           12
        .value_kind:     by_value
      - .offset:         80
        .size:           4
        .value_kind:     by_value
      - .offset:         84
        .size:           4
        .value_kind:     by_value
      - .offset:         88
        .size:           4
        .value_kind:     by_value
      - .offset:         92
        .size:           12
        .value_kind:     by_value
      - .offset:         104
        .size:           4
        .value_kind:     by_value
      - .offset:         108
        .size:           4
        .value_kind:     by_value
      - .offset:         112
        .size:           4
        .value_kind:     by_value
      - .offset:         116
        .size:           12
        .value_kind:     by_value
      - .offset:         128
        .size:           4
        .value_kind:     by_value
      - .offset:         132
        .size:           4
        .value_kind:     by_value
      - .offset:         136
        .size:           4
        .value_kind:     by_value
      - .offset:         140
        .size:           4
        .value_kind:     by_value
    .group_segment_fixed_size: 0
    .kernarg_segment_align: 8
    .kernarg_segment_size: 144
    .language:       OpenCL C
    .language_version:
      - 2
      - 0
    .max_flat_workgroup_size: 32
    .name:           _ZL13mul_mat_vec_qIL9ggml_type22ELi1ELb1ELb1EEvPKvS2_PKi31ggml_cuda_mm_fusion_args_devicePfj15HIP_vector_typeIjLj3EEjjjS8_jjjS8_jjjj
    .private_segment_fixed_size: 0
    .sgpr_count:     42
    .sgpr_spill_count: 0
    .symbol:         _ZL13mul_mat_vec_qIL9ggml_type22ELi1ELb1ELb1EEvPKvS2_PKi31ggml_cuda_mm_fusion_args_devicePfj15HIP_vector_typeIjLj3EEjjjS8_jjjS8_jjjj.kd
    .uniform_work_group_size: 1
    .uses_dynamic_stack: false
    .vgpr_count:     55
    .vgpr_spill_count: 0
    .wavefront_size: 32
    .workgroup_processor_mode: 1
  - .args:
      - .address_space:  global
        .offset:         0
        .size:           8
        .value_kind:     global_buffer
      - .address_space:  global
        .offset:         8
        .size:           8
        .value_kind:     global_buffer
      - .address_space:  global
        .offset:         16
        .size:           8
        .value_kind:     global_buffer
      - .offset:         24
        .size:           32
        .value_kind:     by_value
      - .address_space:  global
        .offset:         56
        .size:           8
        .value_kind:     global_buffer
      - .offset:         64
        .size:           4
        .value_kind:     by_value
      - .offset:         68
        .size:           12
        .value_kind:     by_value
      - .offset:         80
        .size:           4
        .value_kind:     by_value
      - .offset:         84
        .size:           4
        .value_kind:     by_value
      - .offset:         88
        .size:           4
        .value_kind:     by_value
      - .offset:         92
        .size:           12
        .value_kind:     by_value
      - .offset:         104
        .size:           4
        .value_kind:     by_value
      - .offset:         108
        .size:           4
        .value_kind:     by_value
      - .offset:         112
        .size:           4
        .value_kind:     by_value
      - .offset:         116
        .size:           12
        .value_kind:     by_value
      - .offset:         128
        .size:           4
        .value_kind:     by_value
      - .offset:         132
        .size:           4
        .value_kind:     by_value
      - .offset:         136
        .size:           4
        .value_kind:     by_value
      - .offset:         140
        .size:           4
        .value_kind:     by_value
    .group_segment_fixed_size: 0
    .kernarg_segment_align: 8
    .kernarg_segment_size: 144
    .language:       OpenCL C
    .language_version:
      - 2
      - 0
    .max_flat_workgroup_size: 32
    .name:           _ZL13mul_mat_vec_qIL9ggml_type22ELi1ELb0ELb1EEvPKvS2_PKi31ggml_cuda_mm_fusion_args_devicePfj15HIP_vector_typeIjLj3EEjjjS8_jjjS8_jjjj
    .private_segment_fixed_size: 0
    .sgpr_count:     24
    .sgpr_spill_count: 0
    .symbol:         _ZL13mul_mat_vec_qIL9ggml_type22ELi1ELb0ELb1EEvPKvS2_PKi31ggml_cuda_mm_fusion_args_devicePfj15HIP_vector_typeIjLj3EEjjjS8_jjjS8_jjjj.kd
    .uniform_work_group_size: 1
    .uses_dynamic_stack: false
    .vgpr_count:     62
    .vgpr_spill_count: 0
    .wavefront_size: 32
    .workgroup_processor_mode: 1
  - .args:
      - .address_space:  global
        .offset:         0
        .size:           8
        .value_kind:     global_buffer
      - .address_space:  global
        .offset:         8
        .size:           8
        .value_kind:     global_buffer
      - .address_space:  global
        .offset:         16
        .size:           8
        .value_kind:     global_buffer
      - .offset:         24
        .size:           32
        .value_kind:     by_value
      - .address_space:  global
        .offset:         56
        .size:           8
        .value_kind:     global_buffer
      - .offset:         64
        .size:           4
        .value_kind:     by_value
      - .offset:         68
        .size:           12
        .value_kind:     by_value
      - .offset:         80
        .size:           4
        .value_kind:     by_value
      - .offset:         84
        .size:           4
        .value_kind:     by_value
      - .offset:         88
        .size:           4
        .value_kind:     by_value
      - .offset:         92
        .size:           12
        .value_kind:     by_value
      - .offset:         104
        .size:           4
        .value_kind:     by_value
      - .offset:         108
        .size:           4
        .value_kind:     by_value
      - .offset:         112
        .size:           4
        .value_kind:     by_value
      - .offset:         116
        .size:           12
        .value_kind:     by_value
      - .offset:         128
        .size:           4
        .value_kind:     by_value
      - .offset:         132
        .size:           4
        .value_kind:     by_value
      - .offset:         136
        .size:           4
        .value_kind:     by_value
      - .offset:         140
        .size:           4
        .value_kind:     by_value
    .group_segment_fixed_size: 0
    .kernarg_segment_align: 8
    .kernarg_segment_size: 144
    .language:       OpenCL C
    .language_version:
      - 2
      - 0
    .max_flat_workgroup_size: 32
    .name:           _ZL13mul_mat_vec_qIL9ggml_type22ELi1ELb1ELb0EEvPKvS2_PKi31ggml_cuda_mm_fusion_args_devicePfj15HIP_vector_typeIjLj3EEjjjS8_jjjS8_jjjj
    .private_segment_fixed_size: 0
    .sgpr_count:     42
    .sgpr_spill_count: 0
    .symbol:         _ZL13mul_mat_vec_qIL9ggml_type22ELi1ELb1ELb0EEvPKvS2_PKi31ggml_cuda_mm_fusion_args_devicePfj15HIP_vector_typeIjLj3EEjjjS8_jjjS8_jjjj.kd
    .uniform_work_group_size: 1
    .uses_dynamic_stack: false
    .vgpr_count:     55
    .vgpr_spill_count: 0
    .wavefront_size: 32
    .workgroup_processor_mode: 1
  - .args:
      - .address_space:  global
        .offset:         0
        .size:           8
        .value_kind:     global_buffer
      - .address_space:  global
        .offset:         8
        .size:           8
        .value_kind:     global_buffer
      - .address_space:  global
        .offset:         16
        .size:           8
        .value_kind:     global_buffer
      - .offset:         24
        .size:           32
        .value_kind:     by_value
      - .address_space:  global
        .offset:         56
        .size:           8
        .value_kind:     global_buffer
      - .offset:         64
        .size:           4
        .value_kind:     by_value
      - .offset:         68
        .size:           12
        .value_kind:     by_value
      - .offset:         80
        .size:           4
        .value_kind:     by_value
      - .offset:         84
        .size:           4
        .value_kind:     by_value
      - .offset:         88
        .size:           4
        .value_kind:     by_value
      - .offset:         92
        .size:           12
        .value_kind:     by_value
      - .offset:         104
        .size:           4
        .value_kind:     by_value
      - .offset:         108
        .size:           4
        .value_kind:     by_value
      - .offset:         112
        .size:           4
        .value_kind:     by_value
      - .offset:         116
        .size:           12
        .value_kind:     by_value
      - .offset:         128
        .size:           4
        .value_kind:     by_value
      - .offset:         132
        .size:           4
        .value_kind:     by_value
      - .offset:         136
        .size:           4
        .value_kind:     by_value
      - .offset:         140
        .size:           4
        .value_kind:     by_value
    .group_segment_fixed_size: 0
    .kernarg_segment_align: 8
    .kernarg_segment_size: 144
    .language:       OpenCL C
    .language_version:
      - 2
      - 0
    .max_flat_workgroup_size: 32
    .name:           _ZL13mul_mat_vec_qIL9ggml_type22ELi1ELb0ELb0EEvPKvS2_PKi31ggml_cuda_mm_fusion_args_devicePfj15HIP_vector_typeIjLj3EEjjjS8_jjjS8_jjjj
    .private_segment_fixed_size: 0
    .sgpr_count:     24
    .sgpr_spill_count: 0
    .symbol:         _ZL13mul_mat_vec_qIL9ggml_type22ELi1ELb0ELb0EEvPKvS2_PKi31ggml_cuda_mm_fusion_args_devicePfj15HIP_vector_typeIjLj3EEjjjS8_jjjS8_jjjj.kd
    .uniform_work_group_size: 1
    .uses_dynamic_stack: false
    .vgpr_count:     62
    .vgpr_spill_count: 0
    .wavefront_size: 32
    .workgroup_processor_mode: 1
  - .args:
      - .address_space:  global
        .offset:         0
        .size:           8
        .value_kind:     global_buffer
      - .address_space:  global
        .offset:         8
        .size:           8
        .value_kind:     global_buffer
      - .address_space:  global
        .offset:         16
        .size:           8
        .value_kind:     global_buffer
      - .offset:         24
        .size:           32
        .value_kind:     by_value
      - .address_space:  global
        .offset:         56
        .size:           8
        .value_kind:     global_buffer
      - .offset:         64
        .size:           4
        .value_kind:     by_value
      - .offset:         68
        .size:           12
        .value_kind:     by_value
      - .offset:         80
        .size:           4
        .value_kind:     by_value
      - .offset:         84
        .size:           4
        .value_kind:     by_value
      - .offset:         88
        .size:           4
        .value_kind:     by_value
      - .offset:         92
        .size:           12
        .value_kind:     by_value
      - .offset:         104
        .size:           4
        .value_kind:     by_value
      - .offset:         108
        .size:           4
        .value_kind:     by_value
      - .offset:         112
        .size:           4
        .value_kind:     by_value
      - .offset:         116
        .size:           12
        .value_kind:     by_value
      - .offset:         128
        .size:           4
        .value_kind:     by_value
      - .offset:         132
        .size:           4
        .value_kind:     by_value
      - .offset:         136
        .size:           4
        .value_kind:     by_value
      - .offset:         140
        .size:           4
        .value_kind:     by_value
    .group_segment_fixed_size: 0
    .kernarg_segment_align: 8
    .kernarg_segment_size: 144
    .language:       OpenCL C
    .language_version:
      - 2
      - 0
    .max_flat_workgroup_size: 32
    .name:           _ZL13mul_mat_vec_qIL9ggml_type22ELi2ELb0ELb0EEvPKvS2_PKi31ggml_cuda_mm_fusion_args_devicePfj15HIP_vector_typeIjLj3EEjjjS8_jjjS8_jjjj
    .private_segment_fixed_size: 0
    .sgpr_count:     30
    .sgpr_spill_count: 0
    .symbol:         _ZL13mul_mat_vec_qIL9ggml_type22ELi2ELb0ELb0EEvPKvS2_PKi31ggml_cuda_mm_fusion_args_devicePfj15HIP_vector_typeIjLj3EEjjjS8_jjjS8_jjjj.kd
    .uniform_work_group_size: 1
    .uses_dynamic_stack: false
    .vgpr_count:     66
    .vgpr_spill_count: 0
    .wavefront_size: 32
    .workgroup_processor_mode: 1
  - .args:
      - .address_space:  global
        .offset:         0
        .size:           8
        .value_kind:     global_buffer
      - .address_space:  global
        .offset:         8
        .size:           8
        .value_kind:     global_buffer
      - .address_space:  global
        .offset:         16
        .size:           8
        .value_kind:     global_buffer
      - .offset:         24
        .size:           32
        .value_kind:     by_value
      - .address_space:  global
        .offset:         56
        .size:           8
        .value_kind:     global_buffer
      - .offset:         64
        .size:           4
        .value_kind:     by_value
      - .offset:         68
        .size:           12
        .value_kind:     by_value
      - .offset:         80
        .size:           4
        .value_kind:     by_value
      - .offset:         84
        .size:           4
        .value_kind:     by_value
      - .offset:         88
        .size:           4
        .value_kind:     by_value
      - .offset:         92
        .size:           12
        .value_kind:     by_value
      - .offset:         104
        .size:           4
        .value_kind:     by_value
      - .offset:         108
        .size:           4
        .value_kind:     by_value
      - .offset:         112
        .size:           4
        .value_kind:     by_value
      - .offset:         116
        .size:           12
        .value_kind:     by_value
      - .offset:         128
        .size:           4
        .value_kind:     by_value
      - .offset:         132
        .size:           4
        .value_kind:     by_value
      - .offset:         136
        .size:           4
        .value_kind:     by_value
      - .offset:         140
        .size:           4
        .value_kind:     by_value
    .group_segment_fixed_size: 0
    .kernarg_segment_align: 8
    .kernarg_segment_size: 144
    .language:       OpenCL C
    .language_version:
      - 2
      - 0
    .max_flat_workgroup_size: 32
    .name:           _ZL13mul_mat_vec_qIL9ggml_type22ELi3ELb0ELb0EEvPKvS2_PKi31ggml_cuda_mm_fusion_args_devicePfj15HIP_vector_typeIjLj3EEjjjS8_jjjS8_jjjj
    .private_segment_fixed_size: 0
    .sgpr_count:     30
    .sgpr_spill_count: 0
    .symbol:         _ZL13mul_mat_vec_qIL9ggml_type22ELi3ELb0ELb0EEvPKvS2_PKi31ggml_cuda_mm_fusion_args_devicePfj15HIP_vector_typeIjLj3EEjjjS8_jjjS8_jjjj.kd
    .uniform_work_group_size: 1
    .uses_dynamic_stack: false
    .vgpr_count:     68
    .vgpr_spill_count: 0
    .wavefront_size: 32
    .workgroup_processor_mode: 1
  - .args:
      - .address_space:  global
        .offset:         0
        .size:           8
        .value_kind:     global_buffer
      - .address_space:  global
        .offset:         8
        .size:           8
        .value_kind:     global_buffer
      - .address_space:  global
        .offset:         16
        .size:           8
        .value_kind:     global_buffer
      - .offset:         24
        .size:           32
        .value_kind:     by_value
      - .address_space:  global
        .offset:         56
        .size:           8
        .value_kind:     global_buffer
      - .offset:         64
        .size:           4
        .value_kind:     by_value
      - .offset:         68
        .size:           12
        .value_kind:     by_value
      - .offset:         80
        .size:           4
        .value_kind:     by_value
      - .offset:         84
        .size:           4
        .value_kind:     by_value
      - .offset:         88
        .size:           4
        .value_kind:     by_value
      - .offset:         92
        .size:           12
        .value_kind:     by_value
      - .offset:         104
        .size:           4
        .value_kind:     by_value
      - .offset:         108
        .size:           4
        .value_kind:     by_value
      - .offset:         112
        .size:           4
        .value_kind:     by_value
      - .offset:         116
        .size:           12
        .value_kind:     by_value
      - .offset:         128
        .size:           4
        .value_kind:     by_value
      - .offset:         132
        .size:           4
        .value_kind:     by_value
      - .offset:         136
        .size:           4
        .value_kind:     by_value
      - .offset:         140
        .size:           4
        .value_kind:     by_value
    .group_segment_fixed_size: 0
    .kernarg_segment_align: 8
    .kernarg_segment_size: 144
    .language:       OpenCL C
    .language_version:
      - 2
      - 0
    .max_flat_workgroup_size: 32
    .name:           _ZL13mul_mat_vec_qIL9ggml_type22ELi4ELb0ELb0EEvPKvS2_PKi31ggml_cuda_mm_fusion_args_devicePfj15HIP_vector_typeIjLj3EEjjjS8_jjjS8_jjjj
    .private_segment_fixed_size: 0
    .sgpr_count:     30
    .sgpr_spill_count: 0
    .symbol:         _ZL13mul_mat_vec_qIL9ggml_type22ELi4ELb0ELb0EEvPKvS2_PKi31ggml_cuda_mm_fusion_args_devicePfj15HIP_vector_typeIjLj3EEjjjS8_jjjS8_jjjj.kd
    .uniform_work_group_size: 1
    .uses_dynamic_stack: false
    .vgpr_count:     64
    .vgpr_spill_count: 0
    .wavefront_size: 32
    .workgroup_processor_mode: 1
  - .args:
      - .address_space:  global
        .offset:         0
        .size:           8
        .value_kind:     global_buffer
      - .address_space:  global
        .offset:         8
        .size:           8
        .value_kind:     global_buffer
      - .address_space:  global
        .offset:         16
        .size:           8
        .value_kind:     global_buffer
      - .offset:         24
        .size:           32
        .value_kind:     by_value
      - .address_space:  global
        .offset:         56
        .size:           8
        .value_kind:     global_buffer
      - .offset:         64
        .size:           4
        .value_kind:     by_value
      - .offset:         68
        .size:           12
        .value_kind:     by_value
      - .offset:         80
        .size:           4
        .value_kind:     by_value
      - .offset:         84
        .size:           4
        .value_kind:     by_value
      - .offset:         88
        .size:           4
        .value_kind:     by_value
      - .offset:         92
        .size:           12
        .value_kind:     by_value
      - .offset:         104
        .size:           4
        .value_kind:     by_value
      - .offset:         108
        .size:           4
        .value_kind:     by_value
      - .offset:         112
        .size:           4
        .value_kind:     by_value
      - .offset:         116
        .size:           12
        .value_kind:     by_value
      - .offset:         128
        .size:           4
        .value_kind:     by_value
      - .offset:         132
        .size:           4
        .value_kind:     by_value
      - .offset:         136
        .size:           4
        .value_kind:     by_value
      - .offset:         140
        .size:           4
        .value_kind:     by_value
    .group_segment_fixed_size: 0
    .kernarg_segment_align: 8
    .kernarg_segment_size: 144
    .language:       OpenCL C
    .language_version:
      - 2
      - 0
    .max_flat_workgroup_size: 32
    .name:           _ZL13mul_mat_vec_qIL9ggml_type22ELi5ELb0ELb0EEvPKvS2_PKi31ggml_cuda_mm_fusion_args_devicePfj15HIP_vector_typeIjLj3EEjjjS8_jjjS8_jjjj
    .private_segment_fixed_size: 0
    .sgpr_count:     30
    .sgpr_spill_count: 0
    .symbol:         _ZL13mul_mat_vec_qIL9ggml_type22ELi5ELb0ELb0EEvPKvS2_PKi31ggml_cuda_mm_fusion_args_devicePfj15HIP_vector_typeIjLj3EEjjjS8_jjjS8_jjjj.kd
    .uniform_work_group_size: 1
    .uses_dynamic_stack: false
    .vgpr_count:     42
    .vgpr_spill_count: 0
    .wavefront_size: 32
    .workgroup_processor_mode: 1
  - .args:
      - .address_space:  global
        .offset:         0
        .size:           8
        .value_kind:     global_buffer
      - .address_space:  global
        .offset:         8
        .size:           8
        .value_kind:     global_buffer
      - .address_space:  global
        .offset:         16
        .size:           8
        .value_kind:     global_buffer
      - .offset:         24
        .size:           32
        .value_kind:     by_value
      - .address_space:  global
        .offset:         56
        .size:           8
        .value_kind:     global_buffer
      - .offset:         64
        .size:           4
        .value_kind:     by_value
      - .offset:         68
        .size:           12
        .value_kind:     by_value
      - .offset:         80
        .size:           4
        .value_kind:     by_value
      - .offset:         84
        .size:           4
        .value_kind:     by_value
      - .offset:         88
        .size:           4
        .value_kind:     by_value
      - .offset:         92
        .size:           12
        .value_kind:     by_value
      - .offset:         104
        .size:           4
        .value_kind:     by_value
      - .offset:         108
        .size:           4
        .value_kind:     by_value
      - .offset:         112
        .size:           4
        .value_kind:     by_value
      - .offset:         116
        .size:           12
        .value_kind:     by_value
      - .offset:         128
        .size:           4
        .value_kind:     by_value
      - .offset:         132
        .size:           4
        .value_kind:     by_value
      - .offset:         136
        .size:           4
        .value_kind:     by_value
      - .offset:         140
        .size:           4
        .value_kind:     by_value
    .group_segment_fixed_size: 0
    .kernarg_segment_align: 8
    .kernarg_segment_size: 144
    .language:       OpenCL C
    .language_version:
      - 2
      - 0
    .max_flat_workgroup_size: 32
    .name:           _ZL13mul_mat_vec_qIL9ggml_type22ELi6ELb0ELb0EEvPKvS2_PKi31ggml_cuda_mm_fusion_args_devicePfj15HIP_vector_typeIjLj3EEjjjS8_jjjS8_jjjj
    .private_segment_fixed_size: 0
    .sgpr_count:     30
    .sgpr_spill_count: 0
    .symbol:         _ZL13mul_mat_vec_qIL9ggml_type22ELi6ELb0ELb0EEvPKvS2_PKi31ggml_cuda_mm_fusion_args_devicePfj15HIP_vector_typeIjLj3EEjjjS8_jjjS8_jjjj.kd
    .uniform_work_group_size: 1
    .uses_dynamic_stack: false
    .vgpr_count:     44
    .vgpr_spill_count: 0
    .wavefront_size: 32
    .workgroup_processor_mode: 1
  - .args:
      - .address_space:  global
        .offset:         0
        .size:           8
        .value_kind:     global_buffer
      - .address_space:  global
        .offset:         8
        .size:           8
        .value_kind:     global_buffer
      - .address_space:  global
        .offset:         16
        .size:           8
        .value_kind:     global_buffer
      - .offset:         24
        .size:           32
        .value_kind:     by_value
      - .address_space:  global
        .offset:         56
        .size:           8
        .value_kind:     global_buffer
      - .offset:         64
        .size:           4
        .value_kind:     by_value
      - .offset:         68
        .size:           12
        .value_kind:     by_value
      - .offset:         80
        .size:           4
        .value_kind:     by_value
      - .offset:         84
        .size:           4
        .value_kind:     by_value
      - .offset:         88
        .size:           4
        .value_kind:     by_value
      - .offset:         92
        .size:           12
        .value_kind:     by_value
      - .offset:         104
        .size:           4
        .value_kind:     by_value
      - .offset:         108
        .size:           4
        .value_kind:     by_value
      - .offset:         112
        .size:           4
        .value_kind:     by_value
      - .offset:         116
        .size:           12
        .value_kind:     by_value
      - .offset:         128
        .size:           4
        .value_kind:     by_value
      - .offset:         132
        .size:           4
        .value_kind:     by_value
      - .offset:         136
        .size:           4
        .value_kind:     by_value
      - .offset:         140
        .size:           4
        .value_kind:     by_value
    .group_segment_fixed_size: 0
    .kernarg_segment_align: 8
    .kernarg_segment_size: 144
    .language:       OpenCL C
    .language_version:
      - 2
      - 0
    .max_flat_workgroup_size: 32
    .name:           _ZL13mul_mat_vec_qIL9ggml_type22ELi7ELb0ELb0EEvPKvS2_PKi31ggml_cuda_mm_fusion_args_devicePfj15HIP_vector_typeIjLj3EEjjjS8_jjjS8_jjjj
    .private_segment_fixed_size: 0
    .sgpr_count:     30
    .sgpr_spill_count: 0
    .symbol:         _ZL13mul_mat_vec_qIL9ggml_type22ELi7ELb0ELb0EEvPKvS2_PKi31ggml_cuda_mm_fusion_args_devicePfj15HIP_vector_typeIjLj3EEjjjS8_jjjS8_jjjj.kd
    .uniform_work_group_size: 1
    .uses_dynamic_stack: false
    .vgpr_count:     46
    .vgpr_spill_count: 0
    .wavefront_size: 32
    .workgroup_processor_mode: 1
  - .args:
      - .address_space:  global
        .offset:         0
        .size:           8
        .value_kind:     global_buffer
      - .address_space:  global
        .offset:         8
        .size:           8
        .value_kind:     global_buffer
      - .address_space:  global
        .offset:         16
        .size:           8
        .value_kind:     global_buffer
      - .offset:         24
        .size:           32
        .value_kind:     by_value
      - .address_space:  global
        .offset:         56
        .size:           8
        .value_kind:     global_buffer
      - .offset:         64
        .size:           4
        .value_kind:     by_value
      - .offset:         68
        .size:           12
        .value_kind:     by_value
      - .offset:         80
        .size:           4
        .value_kind:     by_value
      - .offset:         84
        .size:           4
        .value_kind:     by_value
      - .offset:         88
        .size:           4
        .value_kind:     by_value
      - .offset:         92
        .size:           12
        .value_kind:     by_value
      - .offset:         104
        .size:           4
        .value_kind:     by_value
      - .offset:         108
        .size:           4
        .value_kind:     by_value
      - .offset:         112
        .size:           4
        .value_kind:     by_value
      - .offset:         116
        .size:           12
        .value_kind:     by_value
      - .offset:         128
        .size:           4
        .value_kind:     by_value
      - .offset:         132
        .size:           4
        .value_kind:     by_value
      - .offset:         136
        .size:           4
        .value_kind:     by_value
      - .offset:         140
        .size:           4
        .value_kind:     by_value
    .group_segment_fixed_size: 0
    .kernarg_segment_align: 8
    .kernarg_segment_size: 144
    .language:       OpenCL C
    .language_version:
      - 2
      - 0
    .max_flat_workgroup_size: 32
    .name:           _ZL13mul_mat_vec_qIL9ggml_type22ELi8ELb0ELb0EEvPKvS2_PKi31ggml_cuda_mm_fusion_args_devicePfj15HIP_vector_typeIjLj3EEjjjS8_jjjS8_jjjj
    .private_segment_fixed_size: 0
    .sgpr_count:     30
    .sgpr_spill_count: 0
    .symbol:         _ZL13mul_mat_vec_qIL9ggml_type22ELi8ELb0ELb0EEvPKvS2_PKi31ggml_cuda_mm_fusion_args_devicePfj15HIP_vector_typeIjLj3EEjjjS8_jjjS8_jjjj.kd
    .uniform_work_group_size: 1
    .uses_dynamic_stack: false
    .vgpr_count:     42
    .vgpr_spill_count: 0
    .wavefront_size: 32
    .workgroup_processor_mode: 1
  - .args:
      - .address_space:  global
        .offset:         0
        .size:           8
        .value_kind:     global_buffer
      - .address_space:  global
        .offset:         8
        .size:           8
        .value_kind:     global_buffer
      - .address_space:  global
        .offset:         16
        .size:           8
        .value_kind:     global_buffer
      - .address_space:  global
        .offset:         24
        .size:           8
        .value_kind:     global_buffer
      - .offset:         32
        .size:           4
        .value_kind:     by_value
      - .offset:         36
        .size:           12
        .value_kind:     by_value
      - .offset:         48
        .size:           4
        .value_kind:     by_value
      - .offset:         52
        .size:           4
        .value_kind:     by_value
      - .offset:         56
        .size:           4
        .value_kind:     by_value
      - .offset:         60
        .size:           4
        .value_kind:     by_value
      - .offset:         64
        .size:           4
        .value_kind:     by_value
      - .offset:         68
        .size:           4
        .value_kind:     by_value
      - .offset:         72
        .size:           4
        .value_kind:     by_value
      - .offset:         76
        .size:           4
        .value_kind:     by_value
      - .offset:         80
        .size:           4
        .value_kind:     by_value
    .group_segment_fixed_size: 0
    .kernarg_segment_align: 8
    .kernarg_segment_size: 84
    .language:       OpenCL C
    .language_version:
      - 2
      - 0
    .max_flat_workgroup_size: 128
    .name:           _ZL17mul_mat_vec_q_moeIL9ggml_type18ELi2EEvPKvS2_PKiPfj15HIP_vector_typeIjLj3EEjjjjjjjjj
    .private_segment_fixed_size: 0
    .sgpr_count:     30
    .sgpr_spill_count: 0
    .symbol:         _ZL17mul_mat_vec_q_moeIL9ggml_type18ELi2EEvPKvS2_PKiPfj15HIP_vector_typeIjLj3EEjjjjjjjjj.kd
    .uniform_work_group_size: 1
    .uses_dynamic_stack: false
    .vgpr_count:     123
    .vgpr_spill_count: 0
    .wavefront_size: 32
    .workgroup_processor_mode: 1
  - .args:
      - .address_space:  global
        .offset:         0
        .size:           8
        .value_kind:     global_buffer
      - .address_space:  global
        .offset:         8
        .size:           8
        .value_kind:     global_buffer
      - .address_space:  global
        .offset:         16
        .size:           8
        .value_kind:     global_buffer
      - .offset:         24
        .size:           32
        .value_kind:     by_value
      - .address_space:  global
        .offset:         56
        .size:           8
        .value_kind:     global_buffer
      - .offset:         64
        .size:           4
        .value_kind:     by_value
      - .offset:         68
        .size:           12
        .value_kind:     by_value
      - .offset:         80
        .size:           4
        .value_kind:     by_value
      - .offset:         84
        .size:           4
        .value_kind:     by_value
      - .offset:         88
        .size:           4
        .value_kind:     by_value
      - .offset:         92
        .size:           12
        .value_kind:     by_value
      - .offset:         104
        .size:           4
        .value_kind:     by_value
      - .offset:         108
        .size:           4
        .value_kind:     by_value
      - .offset:         112
        .size:           4
        .value_kind:     by_value
      - .offset:         116
        .size:           12
        .value_kind:     by_value
      - .offset:         128
        .size:           4
        .value_kind:     by_value
      - .offset:         132
        .size:           4
        .value_kind:     by_value
      - .offset:         136
        .size:           4
        .value_kind:     by_value
      - .offset:         140
        .size:           4
        .value_kind:     by_value
    .group_segment_fixed_size: 0
    .kernarg_segment_align: 8
    .kernarg_segment_size: 144
    .language:       OpenCL C
    .language_version:
      - 2
      - 0
    .max_flat_workgroup_size: 32
    .name:           _ZL13mul_mat_vec_qIL9ggml_type18ELi1ELb1ELb1EEvPKvS2_PKi31ggml_cuda_mm_fusion_args_devicePfj15HIP_vector_typeIjLj3EEjjjS8_jjjS8_jjjj
    .private_segment_fixed_size: 0
    .sgpr_count:     42
    .sgpr_spill_count: 0
    .symbol:         _ZL13mul_mat_vec_qIL9ggml_type18ELi1ELb1ELb1EEvPKvS2_PKi31ggml_cuda_mm_fusion_args_devicePfj15HIP_vector_typeIjLj3EEjjjS8_jjjS8_jjjj.kd
    .uniform_work_group_size: 1
    .uses_dynamic_stack: false
    .vgpr_count:     52
    .vgpr_spill_count: 0
    .wavefront_size: 32
    .workgroup_processor_mode: 1
  - .args:
      - .address_space:  global
        .offset:         0
        .size:           8
        .value_kind:     global_buffer
      - .address_space:  global
        .offset:         8
        .size:           8
        .value_kind:     global_buffer
      - .address_space:  global
        .offset:         16
        .size:           8
        .value_kind:     global_buffer
      - .offset:         24
        .size:           32
        .value_kind:     by_value
      - .address_space:  global
        .offset:         56
        .size:           8
        .value_kind:     global_buffer
      - .offset:         64
        .size:           4
        .value_kind:     by_value
      - .offset:         68
        .size:           12
        .value_kind:     by_value
      - .offset:         80
        .size:           4
        .value_kind:     by_value
      - .offset:         84
        .size:           4
        .value_kind:     by_value
      - .offset:         88
        .size:           4
        .value_kind:     by_value
      - .offset:         92
        .size:           12
        .value_kind:     by_value
      - .offset:         104
        .size:           4
        .value_kind:     by_value
      - .offset:         108
        .size:           4
        .value_kind:     by_value
      - .offset:         112
        .size:           4
        .value_kind:     by_value
      - .offset:         116
        .size:           12
        .value_kind:     by_value
      - .offset:         128
        .size:           4
        .value_kind:     by_value
      - .offset:         132
        .size:           4
        .value_kind:     by_value
      - .offset:         136
        .size:           4
        .value_kind:     by_value
      - .offset:         140
        .size:           4
        .value_kind:     by_value
    .group_segment_fixed_size: 0
    .kernarg_segment_align: 8
    .kernarg_segment_size: 144
    .language:       OpenCL C
    .language_version:
      - 2
      - 0
    .max_flat_workgroup_size: 32
    .name:           _ZL13mul_mat_vec_qIL9ggml_type18ELi1ELb0ELb1EEvPKvS2_PKi31ggml_cuda_mm_fusion_args_devicePfj15HIP_vector_typeIjLj3EEjjjS8_jjjS8_jjjj
    .private_segment_fixed_size: 0
    .sgpr_count:     24
    .sgpr_spill_count: 0
    .symbol:         _ZL13mul_mat_vec_qIL9ggml_type18ELi1ELb0ELb1EEvPKvS2_PKi31ggml_cuda_mm_fusion_args_devicePfj15HIP_vector_typeIjLj3EEjjjS8_jjjS8_jjjj.kd
    .uniform_work_group_size: 1
    .uses_dynamic_stack: false
    .vgpr_count:     63
    .vgpr_spill_count: 0
    .wavefront_size: 32
    .workgroup_processor_mode: 1
  - .args:
      - .address_space:  global
        .offset:         0
        .size:           8
        .value_kind:     global_buffer
      - .address_space:  global
        .offset:         8
        .size:           8
        .value_kind:     global_buffer
      - .address_space:  global
        .offset:         16
        .size:           8
        .value_kind:     global_buffer
      - .offset:         24
        .size:           32
        .value_kind:     by_value
      - .address_space:  global
        .offset:         56
        .size:           8
        .value_kind:     global_buffer
      - .offset:         64
        .size:           4
        .value_kind:     by_value
      - .offset:         68
        .size:           12
        .value_kind:     by_value
      - .offset:         80
        .size:           4
        .value_kind:     by_value
      - .offset:         84
        .size:           4
        .value_kind:     by_value
      - .offset:         88
        .size:           4
        .value_kind:     by_value
      - .offset:         92
        .size:           12
        .value_kind:     by_value
      - .offset:         104
        .size:           4
        .value_kind:     by_value
      - .offset:         108
        .size:           4
        .value_kind:     by_value
      - .offset:         112
        .size:           4
        .value_kind:     by_value
      - .offset:         116
        .size:           12
        .value_kind:     by_value
      - .offset:         128
        .size:           4
        .value_kind:     by_value
      - .offset:         132
        .size:           4
        .value_kind:     by_value
      - .offset:         136
        .size:           4
        .value_kind:     by_value
      - .offset:         140
        .size:           4
        .value_kind:     by_value
    .group_segment_fixed_size: 0
    .kernarg_segment_align: 8
    .kernarg_segment_size: 144
    .language:       OpenCL C
    .language_version:
      - 2
      - 0
    .max_flat_workgroup_size: 32
    .name:           _ZL13mul_mat_vec_qIL9ggml_type18ELi1ELb1ELb0EEvPKvS2_PKi31ggml_cuda_mm_fusion_args_devicePfj15HIP_vector_typeIjLj3EEjjjS8_jjjS8_jjjj
    .private_segment_fixed_size: 0
    .sgpr_count:     42
    .sgpr_spill_count: 0
    .symbol:         _ZL13mul_mat_vec_qIL9ggml_type18ELi1ELb1ELb0EEvPKvS2_PKi31ggml_cuda_mm_fusion_args_devicePfj15HIP_vector_typeIjLj3EEjjjS8_jjjS8_jjjj.kd
    .uniform_work_group_size: 1
    .uses_dynamic_stack: false
    .vgpr_count:     52
    .vgpr_spill_count: 0
    .wavefront_size: 32
    .workgroup_processor_mode: 1
  - .args:
      - .address_space:  global
        .offset:         0
        .size:           8
        .value_kind:     global_buffer
      - .address_space:  global
        .offset:         8
        .size:           8
        .value_kind:     global_buffer
      - .address_space:  global
        .offset:         16
        .size:           8
        .value_kind:     global_buffer
      - .offset:         24
        .size:           32
        .value_kind:     by_value
      - .address_space:  global
        .offset:         56
        .size:           8
        .value_kind:     global_buffer
      - .offset:         64
        .size:           4
        .value_kind:     by_value
      - .offset:         68
        .size:           12
        .value_kind:     by_value
      - .offset:         80
        .size:           4
        .value_kind:     by_value
      - .offset:         84
        .size:           4
        .value_kind:     by_value
      - .offset:         88
        .size:           4
        .value_kind:     by_value
      - .offset:         92
        .size:           12
        .value_kind:     by_value
      - .offset:         104
        .size:           4
        .value_kind:     by_value
      - .offset:         108
        .size:           4
        .value_kind:     by_value
      - .offset:         112
        .size:           4
        .value_kind:     by_value
      - .offset:         116
        .size:           12
        .value_kind:     by_value
      - .offset:         128
        .size:           4
        .value_kind:     by_value
      - .offset:         132
        .size:           4
        .value_kind:     by_value
      - .offset:         136
        .size:           4
        .value_kind:     by_value
      - .offset:         140
        .size:           4
        .value_kind:     by_value
    .group_segment_fixed_size: 0
    .kernarg_segment_align: 8
    .kernarg_segment_size: 144
    .language:       OpenCL C
    .language_version:
      - 2
      - 0
    .max_flat_workgroup_size: 32
    .name:           _ZL13mul_mat_vec_qIL9ggml_type18ELi1ELb0ELb0EEvPKvS2_PKi31ggml_cuda_mm_fusion_args_devicePfj15HIP_vector_typeIjLj3EEjjjS8_jjjS8_jjjj
    .private_segment_fixed_size: 0
    .sgpr_count:     24
    .sgpr_spill_count: 0
    .symbol:         _ZL13mul_mat_vec_qIL9ggml_type18ELi1ELb0ELb0EEvPKvS2_PKi31ggml_cuda_mm_fusion_args_devicePfj15HIP_vector_typeIjLj3EEjjjS8_jjjS8_jjjj.kd
    .uniform_work_group_size: 1
    .uses_dynamic_stack: false
    .vgpr_count:     63
    .vgpr_spill_count: 0
    .wavefront_size: 32
    .workgroup_processor_mode: 1
  - .args:
      - .address_space:  global
        .offset:         0
        .size:           8
        .value_kind:     global_buffer
      - .address_space:  global
        .offset:         8
        .size:           8
        .value_kind:     global_buffer
      - .address_space:  global
        .offset:         16
        .size:           8
        .value_kind:     global_buffer
      - .offset:         24
        .size:           32
        .value_kind:     by_value
      - .address_space:  global
        .offset:         56
        .size:           8
        .value_kind:     global_buffer
      - .offset:         64
        .size:           4
        .value_kind:     by_value
      - .offset:         68
        .size:           12
        .value_kind:     by_value
      - .offset:         80
        .size:           4
        .value_kind:     by_value
      - .offset:         84
        .size:           4
        .value_kind:     by_value
      - .offset:         88
        .size:           4
        .value_kind:     by_value
      - .offset:         92
        .size:           12
        .value_kind:     by_value
      - .offset:         104
        .size:           4
        .value_kind:     by_value
      - .offset:         108
        .size:           4
        .value_kind:     by_value
      - .offset:         112
        .size:           4
        .value_kind:     by_value
      - .offset:         116
        .size:           12
        .value_kind:     by_value
      - .offset:         128
        .size:           4
        .value_kind:     by_value
      - .offset:         132
        .size:           4
        .value_kind:     by_value
      - .offset:         136
        .size:           4
        .value_kind:     by_value
      - .offset:         140
        .size:           4
        .value_kind:     by_value
    .group_segment_fixed_size: 0
    .kernarg_segment_align: 8
    .kernarg_segment_size: 144
    .language:       OpenCL C
    .language_version:
      - 2
      - 0
    .max_flat_workgroup_size: 32
    .name:           _ZL13mul_mat_vec_qIL9ggml_type18ELi2ELb0ELb0EEvPKvS2_PKi31ggml_cuda_mm_fusion_args_devicePfj15HIP_vector_typeIjLj3EEjjjS8_jjjS8_jjjj
    .private_segment_fixed_size: 0
    .sgpr_count:     28
    .sgpr_spill_count: 0
    .symbol:         _ZL13mul_mat_vec_qIL9ggml_type18ELi2ELb0ELb0EEvPKvS2_PKi31ggml_cuda_mm_fusion_args_devicePfj15HIP_vector_typeIjLj3EEjjjS8_jjjS8_jjjj.kd
    .uniform_work_group_size: 1
    .uses_dynamic_stack: false
    .vgpr_count:     35
    .vgpr_spill_count: 0
    .wavefront_size: 32
    .workgroup_processor_mode: 1
  - .args:
      - .address_space:  global
        .offset:         0
        .size:           8
        .value_kind:     global_buffer
      - .address_space:  global
        .offset:         8
        .size:           8
        .value_kind:     global_buffer
      - .address_space:  global
        .offset:         16
        .size:           8
        .value_kind:     global_buffer
      - .offset:         24
        .size:           32
        .value_kind:     by_value
      - .address_space:  global
        .offset:         56
        .size:           8
        .value_kind:     global_buffer
      - .offset:         64
        .size:           4
        .value_kind:     by_value
      - .offset:         68
        .size:           12
        .value_kind:     by_value
      - .offset:         80
        .size:           4
        .value_kind:     by_value
      - .offset:         84
        .size:           4
        .value_kind:     by_value
      - .offset:         88
        .size:           4
        .value_kind:     by_value
      - .offset:         92
        .size:           12
        .value_kind:     by_value
      - .offset:         104
        .size:           4
        .value_kind:     by_value
      - .offset:         108
        .size:           4
        .value_kind:     by_value
      - .offset:         112
        .size:           4
        .value_kind:     by_value
      - .offset:         116
        .size:           12
        .value_kind:     by_value
      - .offset:         128
        .size:           4
        .value_kind:     by_value
      - .offset:         132
        .size:           4
        .value_kind:     by_value
      - .offset:         136
        .size:           4
        .value_kind:     by_value
      - .offset:         140
        .size:           4
        .value_kind:     by_value
    .group_segment_fixed_size: 0
    .kernarg_segment_align: 8
    .kernarg_segment_size: 144
    .language:       OpenCL C
    .language_version:
      - 2
      - 0
    .max_flat_workgroup_size: 32
    .name:           _ZL13mul_mat_vec_qIL9ggml_type18ELi3ELb0ELb0EEvPKvS2_PKi31ggml_cuda_mm_fusion_args_devicePfj15HIP_vector_typeIjLj3EEjjjS8_jjjS8_jjjj
    .private_segment_fixed_size: 0
    .sgpr_count:     30
    .sgpr_spill_count: 0
    .symbol:         _ZL13mul_mat_vec_qIL9ggml_type18ELi3ELb0ELb0EEvPKvS2_PKi31ggml_cuda_mm_fusion_args_devicePfj15HIP_vector_typeIjLj3EEjjjS8_jjjS8_jjjj.kd
    .uniform_work_group_size: 1
    .uses_dynamic_stack: false
    .vgpr_count:     37
    .vgpr_spill_count: 0
    .wavefront_size: 32
    .workgroup_processor_mode: 1
  - .args:
      - .address_space:  global
        .offset:         0
        .size:           8
        .value_kind:     global_buffer
      - .address_space:  global
        .offset:         8
        .size:           8
        .value_kind:     global_buffer
      - .address_space:  global
        .offset:         16
        .size:           8
        .value_kind:     global_buffer
      - .offset:         24
        .size:           32
        .value_kind:     by_value
      - .address_space:  global
        .offset:         56
        .size:           8
        .value_kind:     global_buffer
      - .offset:         64
        .size:           4
        .value_kind:     by_value
      - .offset:         68
        .size:           12
        .value_kind:     by_value
      - .offset:         80
        .size:           4
        .value_kind:     by_value
      - .offset:         84
        .size:           4
        .value_kind:     by_value
      - .offset:         88
        .size:           4
        .value_kind:     by_value
      - .offset:         92
        .size:           12
        .value_kind:     by_value
      - .offset:         104
        .size:           4
        .value_kind:     by_value
      - .offset:         108
        .size:           4
        .value_kind:     by_value
      - .offset:         112
        .size:           4
        .value_kind:     by_value
      - .offset:         116
        .size:           12
        .value_kind:     by_value
      - .offset:         128
        .size:           4
        .value_kind:     by_value
      - .offset:         132
        .size:           4
        .value_kind:     by_value
      - .offset:         136
        .size:           4
        .value_kind:     by_value
      - .offset:         140
        .size:           4
        .value_kind:     by_value
    .group_segment_fixed_size: 0
    .kernarg_segment_align: 8
    .kernarg_segment_size: 144
    .language:       OpenCL C
    .language_version:
      - 2
      - 0
    .max_flat_workgroup_size: 32
    .name:           _ZL13mul_mat_vec_qIL9ggml_type18ELi4ELb0ELb0EEvPKvS2_PKi31ggml_cuda_mm_fusion_args_devicePfj15HIP_vector_typeIjLj3EEjjjS8_jjjS8_jjjj
    .private_segment_fixed_size: 0
    .sgpr_count:     30
    .sgpr_spill_count: 0
    .symbol:         _ZL13mul_mat_vec_qIL9ggml_type18ELi4ELb0ELb0EEvPKvS2_PKi31ggml_cuda_mm_fusion_args_devicePfj15HIP_vector_typeIjLj3EEjjjS8_jjjS8_jjjj.kd
    .uniform_work_group_size: 1
    .uses_dynamic_stack: false
    .vgpr_count:     39
    .vgpr_spill_count: 0
    .wavefront_size: 32
    .workgroup_processor_mode: 1
  - .args:
      - .address_space:  global
        .offset:         0
        .size:           8
        .value_kind:     global_buffer
      - .address_space:  global
        .offset:         8
        .size:           8
        .value_kind:     global_buffer
      - .address_space:  global
        .offset:         16
        .size:           8
        .value_kind:     global_buffer
      - .offset:         24
        .size:           32
        .value_kind:     by_value
      - .address_space:  global
        .offset:         56
        .size:           8
        .value_kind:     global_buffer
      - .offset:         64
        .size:           4
        .value_kind:     by_value
      - .offset:         68
        .size:           12
        .value_kind:     by_value
      - .offset:         80
        .size:           4
        .value_kind:     by_value
      - .offset:         84
        .size:           4
        .value_kind:     by_value
      - .offset:         88
        .size:           4
        .value_kind:     by_value
      - .offset:         92
        .size:           12
        .value_kind:     by_value
      - .offset:         104
        .size:           4
        .value_kind:     by_value
      - .offset:         108
        .size:           4
        .value_kind:     by_value
      - .offset:         112
        .size:           4
        .value_kind:     by_value
      - .offset:         116
        .size:           12
        .value_kind:     by_value
      - .offset:         128
        .size:           4
        .value_kind:     by_value
      - .offset:         132
        .size:           4
        .value_kind:     by_value
      - .offset:         136
        .size:           4
        .value_kind:     by_value
      - .offset:         140
        .size:           4
        .value_kind:     by_value
    .group_segment_fixed_size: 0
    .kernarg_segment_align: 8
    .kernarg_segment_size: 144
    .language:       OpenCL C
    .language_version:
      - 2
      - 0
    .max_flat_workgroup_size: 32
    .name:           _ZL13mul_mat_vec_qIL9ggml_type18ELi5ELb0ELb0EEvPKvS2_PKi31ggml_cuda_mm_fusion_args_devicePfj15HIP_vector_typeIjLj3EEjjjS8_jjjS8_jjjj
    .private_segment_fixed_size: 0
    .sgpr_count:     30
    .sgpr_spill_count: 0
    .symbol:         _ZL13mul_mat_vec_qIL9ggml_type18ELi5ELb0ELb0EEvPKvS2_PKi31ggml_cuda_mm_fusion_args_devicePfj15HIP_vector_typeIjLj3EEjjjS8_jjjS8_jjjj.kd
    .uniform_work_group_size: 1
    .uses_dynamic_stack: false
    .vgpr_count:     40
    .vgpr_spill_count: 0
    .wavefront_size: 32
    .workgroup_processor_mode: 1
  - .args:
      - .address_space:  global
        .offset:         0
        .size:           8
        .value_kind:     global_buffer
      - .address_space:  global
        .offset:         8
        .size:           8
        .value_kind:     global_buffer
      - .address_space:  global
        .offset:         16
        .size:           8
        .value_kind:     global_buffer
      - .offset:         24
        .size:           32
        .value_kind:     by_value
      - .address_space:  global
        .offset:         56
        .size:           8
        .value_kind:     global_buffer
      - .offset:         64
        .size:           4
        .value_kind:     by_value
      - .offset:         68
        .size:           12
        .value_kind:     by_value
      - .offset:         80
        .size:           4
        .value_kind:     by_value
      - .offset:         84
        .size:           4
        .value_kind:     by_value
      - .offset:         88
        .size:           4
        .value_kind:     by_value
      - .offset:         92
        .size:           12
        .value_kind:     by_value
      - .offset:         104
        .size:           4
        .value_kind:     by_value
      - .offset:         108
        .size:           4
        .value_kind:     by_value
      - .offset:         112
        .size:           4
        .value_kind:     by_value
      - .offset:         116
        .size:           12
        .value_kind:     by_value
      - .offset:         128
        .size:           4
        .value_kind:     by_value
      - .offset:         132
        .size:           4
        .value_kind:     by_value
      - .offset:         136
        .size:           4
        .value_kind:     by_value
      - .offset:         140
        .size:           4
        .value_kind:     by_value
    .group_segment_fixed_size: 0
    .kernarg_segment_align: 8
    .kernarg_segment_size: 144
    .language:       OpenCL C
    .language_version:
      - 2
      - 0
    .max_flat_workgroup_size: 32
    .name:           _ZL13mul_mat_vec_qIL9ggml_type18ELi6ELb0ELb0EEvPKvS2_PKi31ggml_cuda_mm_fusion_args_devicePfj15HIP_vector_typeIjLj3EEjjjS8_jjjS8_jjjj
    .private_segment_fixed_size: 0
    .sgpr_count:     30
    .sgpr_spill_count: 0
    .symbol:         _ZL13mul_mat_vec_qIL9ggml_type18ELi6ELb0ELb0EEvPKvS2_PKi31ggml_cuda_mm_fusion_args_devicePfj15HIP_vector_typeIjLj3EEjjjS8_jjjS8_jjjj.kd
    .uniform_work_group_size: 1
    .uses_dynamic_stack: false
    .vgpr_count:     42
    .vgpr_spill_count: 0
    .wavefront_size: 32
    .workgroup_processor_mode: 1
  - .args:
      - .address_space:  global
        .offset:         0
        .size:           8
        .value_kind:     global_buffer
      - .address_space:  global
        .offset:         8
        .size:           8
        .value_kind:     global_buffer
      - .address_space:  global
        .offset:         16
        .size:           8
        .value_kind:     global_buffer
      - .offset:         24
        .size:           32
        .value_kind:     by_value
      - .address_space:  global
        .offset:         56
        .size:           8
        .value_kind:     global_buffer
      - .offset:         64
        .size:           4
        .value_kind:     by_value
      - .offset:         68
        .size:           12
        .value_kind:     by_value
      - .offset:         80
        .size:           4
        .value_kind:     by_value
      - .offset:         84
        .size:           4
        .value_kind:     by_value
      - .offset:         88
        .size:           4
        .value_kind:     by_value
      - .offset:         92
        .size:           12
        .value_kind:     by_value
      - .offset:         104
        .size:           4
        .value_kind:     by_value
      - .offset:         108
        .size:           4
        .value_kind:     by_value
      - .offset:         112
        .size:           4
        .value_kind:     by_value
      - .offset:         116
        .size:           12
        .value_kind:     by_value
      - .offset:         128
        .size:           4
        .value_kind:     by_value
      - .offset:         132
        .size:           4
        .value_kind:     by_value
      - .offset:         136
        .size:           4
        .value_kind:     by_value
      - .offset:         140
        .size:           4
        .value_kind:     by_value
    .group_segment_fixed_size: 0
    .kernarg_segment_align: 8
    .kernarg_segment_size: 144
    .language:       OpenCL C
    .language_version:
      - 2
      - 0
    .max_flat_workgroup_size: 32
    .name:           _ZL13mul_mat_vec_qIL9ggml_type18ELi7ELb0ELb0EEvPKvS2_PKi31ggml_cuda_mm_fusion_args_devicePfj15HIP_vector_typeIjLj3EEjjjS8_jjjS8_jjjj
    .private_segment_fixed_size: 0
    .sgpr_count:     30
    .sgpr_spill_count: 0
    .symbol:         _ZL13mul_mat_vec_qIL9ggml_type18ELi7ELb0ELb0EEvPKvS2_PKi31ggml_cuda_mm_fusion_args_devicePfj15HIP_vector_typeIjLj3EEjjjS8_jjjS8_jjjj.kd
    .uniform_work_group_size: 1
    .uses_dynamic_stack: false
    .vgpr_count:     44
    .vgpr_spill_count: 0
    .wavefront_size: 32
    .workgroup_processor_mode: 1
  - .args:
      - .address_space:  global
        .offset:         0
        .size:           8
        .value_kind:     global_buffer
      - .address_space:  global
        .offset:         8
        .size:           8
        .value_kind:     global_buffer
      - .address_space:  global
        .offset:         16
        .size:           8
        .value_kind:     global_buffer
      - .offset:         24
        .size:           32
        .value_kind:     by_value
      - .address_space:  global
        .offset:         56
        .size:           8
        .value_kind:     global_buffer
      - .offset:         64
        .size:           4
        .value_kind:     by_value
      - .offset:         68
        .size:           12
        .value_kind:     by_value
      - .offset:         80
        .size:           4
        .value_kind:     by_value
      - .offset:         84
        .size:           4
        .value_kind:     by_value
      - .offset:         88
        .size:           4
        .value_kind:     by_value
      - .offset:         92
        .size:           12
        .value_kind:     by_value
      - .offset:         104
        .size:           4
        .value_kind:     by_value
      - .offset:         108
        .size:           4
        .value_kind:     by_value
      - .offset:         112
        .size:           4
        .value_kind:     by_value
      - .offset:         116
        .size:           12
        .value_kind:     by_value
      - .offset:         128
        .size:           4
        .value_kind:     by_value
      - .offset:         132
        .size:           4
        .value_kind:     by_value
      - .offset:         136
        .size:           4
        .value_kind:     by_value
      - .offset:         140
        .size:           4
        .value_kind:     by_value
    .group_segment_fixed_size: 0
    .kernarg_segment_align: 8
    .kernarg_segment_size: 144
    .language:       OpenCL C
    .language_version:
      - 2
      - 0
    .max_flat_workgroup_size: 32
    .name:           _ZL13mul_mat_vec_qIL9ggml_type18ELi8ELb0ELb0EEvPKvS2_PKi31ggml_cuda_mm_fusion_args_devicePfj15HIP_vector_typeIjLj3EEjjjS8_jjjS8_jjjj
    .private_segment_fixed_size: 0
    .sgpr_count:     30
    .sgpr_spill_count: 0
    .symbol:         _ZL13mul_mat_vec_qIL9ggml_type18ELi8ELb0ELb0EEvPKvS2_PKi31ggml_cuda_mm_fusion_args_devicePfj15HIP_vector_typeIjLj3EEjjjS8_jjjS8_jjjj.kd
    .uniform_work_group_size: 1
    .uses_dynamic_stack: false
    .vgpr_count:     40
    .vgpr_spill_count: 0
    .wavefront_size: 32
    .workgroup_processor_mode: 1
  - .args:
      - .address_space:  global
        .offset:         0
        .size:           8
        .value_kind:     global_buffer
      - .address_space:  global
        .offset:         8
        .size:           8
        .value_kind:     global_buffer
      - .address_space:  global
        .offset:         16
        .size:           8
        .value_kind:     global_buffer
      - .address_space:  global
        .offset:         24
        .size:           8
        .value_kind:     global_buffer
      - .offset:         32
        .size:           4
        .value_kind:     by_value
      - .offset:         36
        .size:           12
        .value_kind:     by_value
      - .offset:         48
        .size:           4
        .value_kind:     by_value
      - .offset:         52
        .size:           4
        .value_kind:     by_value
      - .offset:         56
        .size:           4
        .value_kind:     by_value
      - .offset:         60
        .size:           4
        .value_kind:     by_value
      - .offset:         64
        .size:           4
        .value_kind:     by_value
      - .offset:         68
        .size:           4
        .value_kind:     by_value
      - .offset:         72
        .size:           4
        .value_kind:     by_value
      - .offset:         76
        .size:           4
        .value_kind:     by_value
      - .offset:         80
        .size:           4
        .value_kind:     by_value
    .group_segment_fixed_size: 0
    .kernarg_segment_align: 8
    .kernarg_segment_size: 84
    .language:       OpenCL C
    .language_version:
      - 2
      - 0
    .max_flat_workgroup_size: 256
    .name:           _ZL17mul_mat_vec_q_moeIL9ggml_type19ELi2EEvPKvS2_PKiPfj15HIP_vector_typeIjLj3EEjjjjjjjjj
    .private_segment_fixed_size: 0
    .sgpr_count:     30
    .sgpr_spill_count: 0
    .symbol:         _ZL17mul_mat_vec_q_moeIL9ggml_type19ELi2EEvPKvS2_PKiPfj15HIP_vector_typeIjLj3EEjjjjjjjjj.kd
    .uniform_work_group_size: 1
    .uses_dynamic_stack: false
    .vgpr_count:     42
    .vgpr_spill_count: 0
    .wavefront_size: 32
    .workgroup_processor_mode: 1
  - .args:
      - .address_space:  global
        .offset:         0
        .size:           8
        .value_kind:     global_buffer
      - .address_space:  global
        .offset:         8
        .size:           8
        .value_kind:     global_buffer
      - .address_space:  global
        .offset:         16
        .size:           8
        .value_kind:     global_buffer
      - .offset:         24
        .size:           32
        .value_kind:     by_value
      - .address_space:  global
        .offset:         56
        .size:           8
        .value_kind:     global_buffer
      - .offset:         64
        .size:           4
        .value_kind:     by_value
      - .offset:         68
        .size:           12
        .value_kind:     by_value
      - .offset:         80
        .size:           4
        .value_kind:     by_value
      - .offset:         84
        .size:           4
        .value_kind:     by_value
      - .offset:         88
        .size:           4
        .value_kind:     by_value
      - .offset:         92
        .size:           12
        .value_kind:     by_value
      - .offset:         104
        .size:           4
        .value_kind:     by_value
      - .offset:         108
        .size:           4
        .value_kind:     by_value
      - .offset:         112
        .size:           4
        .value_kind:     by_value
      - .offset:         116
        .size:           12
        .value_kind:     by_value
      - .offset:         128
        .size:           4
        .value_kind:     by_value
      - .offset:         132
        .size:           4
        .value_kind:     by_value
      - .offset:         136
        .size:           4
        .value_kind:     by_value
      - .offset:         140
        .size:           4
        .value_kind:     by_value
    .group_segment_fixed_size: 0
    .kernarg_segment_align: 8
    .kernarg_segment_size: 144
    .language:       OpenCL C
    .language_version:
      - 2
      - 0
    .max_flat_workgroup_size: 32
    .name:           _ZL13mul_mat_vec_qIL9ggml_type19ELi1ELb1ELb1EEvPKvS2_PKi31ggml_cuda_mm_fusion_args_devicePfj15HIP_vector_typeIjLj3EEjjjS8_jjjS8_jjjj
    .private_segment_fixed_size: 0
    .sgpr_count:     42
    .sgpr_spill_count: 0
    .symbol:         _ZL13mul_mat_vec_qIL9ggml_type19ELi1ELb1ELb1EEvPKvS2_PKi31ggml_cuda_mm_fusion_args_devicePfj15HIP_vector_typeIjLj3EEjjjS8_jjjS8_jjjj.kd
    .uniform_work_group_size: 1
    .uses_dynamic_stack: false
    .vgpr_count:     36
    .vgpr_spill_count: 0
    .wavefront_size: 32
    .workgroup_processor_mode: 1
  - .args:
      - .address_space:  global
        .offset:         0
        .size:           8
        .value_kind:     global_buffer
      - .address_space:  global
        .offset:         8
        .size:           8
        .value_kind:     global_buffer
      - .address_space:  global
        .offset:         16
        .size:           8
        .value_kind:     global_buffer
      - .offset:         24
        .size:           32
        .value_kind:     by_value
      - .address_space:  global
        .offset:         56
        .size:           8
        .value_kind:     global_buffer
      - .offset:         64
        .size:           4
        .value_kind:     by_value
      - .offset:         68
        .size:           12
        .value_kind:     by_value
      - .offset:         80
        .size:           4
        .value_kind:     by_value
      - .offset:         84
        .size:           4
        .value_kind:     by_value
      - .offset:         88
        .size:           4
        .value_kind:     by_value
      - .offset:         92
        .size:           12
        .value_kind:     by_value
      - .offset:         104
        .size:           4
        .value_kind:     by_value
      - .offset:         108
        .size:           4
        .value_kind:     by_value
      - .offset:         112
        .size:           4
        .value_kind:     by_value
      - .offset:         116
        .size:           12
        .value_kind:     by_value
      - .offset:         128
        .size:           4
        .value_kind:     by_value
      - .offset:         132
        .size:           4
        .value_kind:     by_value
      - .offset:         136
        .size:           4
        .value_kind:     by_value
      - .offset:         140
        .size:           4
        .value_kind:     by_value
    .group_segment_fixed_size: 0
    .kernarg_segment_align: 8
    .kernarg_segment_size: 144
    .language:       OpenCL C
    .language_version:
      - 2
      - 0
    .max_flat_workgroup_size: 32
    .name:           _ZL13mul_mat_vec_qIL9ggml_type19ELi1ELb0ELb1EEvPKvS2_PKi31ggml_cuda_mm_fusion_args_devicePfj15HIP_vector_typeIjLj3EEjjjS8_jjjS8_jjjj
    .private_segment_fixed_size: 0
    .sgpr_count:     24
    .sgpr_spill_count: 0
    .symbol:         _ZL13mul_mat_vec_qIL9ggml_type19ELi1ELb0ELb1EEvPKvS2_PKi31ggml_cuda_mm_fusion_args_devicePfj15HIP_vector_typeIjLj3EEjjjS8_jjjS8_jjjj.kd
    .uniform_work_group_size: 1
    .uses_dynamic_stack: false
    .vgpr_count:     25
    .vgpr_spill_count: 0
    .wavefront_size: 32
    .workgroup_processor_mode: 1
  - .args:
      - .address_space:  global
        .offset:         0
        .size:           8
        .value_kind:     global_buffer
      - .address_space:  global
        .offset:         8
        .size:           8
        .value_kind:     global_buffer
      - .address_space:  global
        .offset:         16
        .size:           8
        .value_kind:     global_buffer
      - .offset:         24
        .size:           32
        .value_kind:     by_value
      - .address_space:  global
        .offset:         56
        .size:           8
        .value_kind:     global_buffer
      - .offset:         64
        .size:           4
        .value_kind:     by_value
      - .offset:         68
        .size:           12
        .value_kind:     by_value
      - .offset:         80
        .size:           4
        .value_kind:     by_value
      - .offset:         84
        .size:           4
        .value_kind:     by_value
      - .offset:         88
        .size:           4
        .value_kind:     by_value
      - .offset:         92
        .size:           12
        .value_kind:     by_value
      - .offset:         104
        .size:           4
        .value_kind:     by_value
      - .offset:         108
        .size:           4
        .value_kind:     by_value
      - .offset:         112
        .size:           4
        .value_kind:     by_value
      - .offset:         116
        .size:           12
        .value_kind:     by_value
      - .offset:         128
        .size:           4
        .value_kind:     by_value
      - .offset:         132
        .size:           4
        .value_kind:     by_value
      - .offset:         136
        .size:           4
        .value_kind:     by_value
      - .offset:         140
        .size:           4
        .value_kind:     by_value
    .group_segment_fixed_size: 0
    .kernarg_segment_align: 8
    .kernarg_segment_size: 144
    .language:       OpenCL C
    .language_version:
      - 2
      - 0
    .max_flat_workgroup_size: 32
    .name:           _ZL13mul_mat_vec_qIL9ggml_type19ELi1ELb1ELb0EEvPKvS2_PKi31ggml_cuda_mm_fusion_args_devicePfj15HIP_vector_typeIjLj3EEjjjS8_jjjS8_jjjj
    .private_segment_fixed_size: 0
    .sgpr_count:     42
    .sgpr_spill_count: 0
    .symbol:         _ZL13mul_mat_vec_qIL9ggml_type19ELi1ELb1ELb0EEvPKvS2_PKi31ggml_cuda_mm_fusion_args_devicePfj15HIP_vector_typeIjLj3EEjjjS8_jjjS8_jjjj.kd
    .uniform_work_group_size: 1
    .uses_dynamic_stack: false
    .vgpr_count:     36
    .vgpr_spill_count: 0
    .wavefront_size: 32
    .workgroup_processor_mode: 1
  - .args:
      - .address_space:  global
        .offset:         0
        .size:           8
        .value_kind:     global_buffer
      - .address_space:  global
        .offset:         8
        .size:           8
        .value_kind:     global_buffer
      - .address_space:  global
        .offset:         16
        .size:           8
        .value_kind:     global_buffer
      - .offset:         24
        .size:           32
        .value_kind:     by_value
      - .address_space:  global
        .offset:         56
        .size:           8
        .value_kind:     global_buffer
      - .offset:         64
        .size:           4
        .value_kind:     by_value
      - .offset:         68
        .size:           12
        .value_kind:     by_value
      - .offset:         80
        .size:           4
        .value_kind:     by_value
      - .offset:         84
        .size:           4
        .value_kind:     by_value
      - .offset:         88
        .size:           4
        .value_kind:     by_value
      - .offset:         92
        .size:           12
        .value_kind:     by_value
      - .offset:         104
        .size:           4
        .value_kind:     by_value
      - .offset:         108
        .size:           4
        .value_kind:     by_value
      - .offset:         112
        .size:           4
        .value_kind:     by_value
      - .offset:         116
        .size:           12
        .value_kind:     by_value
      - .offset:         128
        .size:           4
        .value_kind:     by_value
      - .offset:         132
        .size:           4
        .value_kind:     by_value
      - .offset:         136
        .size:           4
        .value_kind:     by_value
      - .offset:         140
        .size:           4
        .value_kind:     by_value
    .group_segment_fixed_size: 0
    .kernarg_segment_align: 8
    .kernarg_segment_size: 144
    .language:       OpenCL C
    .language_version:
      - 2
      - 0
    .max_flat_workgroup_size: 32
    .name:           _ZL13mul_mat_vec_qIL9ggml_type19ELi1ELb0ELb0EEvPKvS2_PKi31ggml_cuda_mm_fusion_args_devicePfj15HIP_vector_typeIjLj3EEjjjS8_jjjS8_jjjj
    .private_segment_fixed_size: 0
    .sgpr_count:     24
    .sgpr_spill_count: 0
    .symbol:         _ZL13mul_mat_vec_qIL9ggml_type19ELi1ELb0ELb0EEvPKvS2_PKi31ggml_cuda_mm_fusion_args_devicePfj15HIP_vector_typeIjLj3EEjjjS8_jjjS8_jjjj.kd
    .uniform_work_group_size: 1
    .uses_dynamic_stack: false
    .vgpr_count:     25
    .vgpr_spill_count: 0
    .wavefront_size: 32
    .workgroup_processor_mode: 1
  - .args:
      - .address_space:  global
        .offset:         0
        .size:           8
        .value_kind:     global_buffer
      - .address_space:  global
        .offset:         8
        .size:           8
        .value_kind:     global_buffer
      - .address_space:  global
        .offset:         16
        .size:           8
        .value_kind:     global_buffer
      - .offset:         24
        .size:           32
        .value_kind:     by_value
      - .address_space:  global
        .offset:         56
        .size:           8
        .value_kind:     global_buffer
      - .offset:         64
        .size:           4
        .value_kind:     by_value
      - .offset:         68
        .size:           12
        .value_kind:     by_value
      - .offset:         80
        .size:           4
        .value_kind:     by_value
      - .offset:         84
        .size:           4
        .value_kind:     by_value
      - .offset:         88
        .size:           4
        .value_kind:     by_value
      - .offset:         92
        .size:           12
        .value_kind:     by_value
      - .offset:         104
        .size:           4
        .value_kind:     by_value
      - .offset:         108
        .size:           4
        .value_kind:     by_value
      - .offset:         112
        .size:           4
        .value_kind:     by_value
      - .offset:         116
        .size:           12
        .value_kind:     by_value
      - .offset:         128
        .size:           4
        .value_kind:     by_value
      - .offset:         132
        .size:           4
        .value_kind:     by_value
      - .offset:         136
        .size:           4
        .value_kind:     by_value
      - .offset:         140
        .size:           4
        .value_kind:     by_value
    .group_segment_fixed_size: 0
    .kernarg_segment_align: 8
    .kernarg_segment_size: 144
    .language:       OpenCL C
    .language_version:
      - 2
      - 0
    .max_flat_workgroup_size: 32
    .name:           _ZL13mul_mat_vec_qIL9ggml_type19ELi2ELb0ELb0EEvPKvS2_PKi31ggml_cuda_mm_fusion_args_devicePfj15HIP_vector_typeIjLj3EEjjjS8_jjjS8_jjjj
    .private_segment_fixed_size: 0
    .sgpr_count:     30
    .sgpr_spill_count: 0
    .symbol:         _ZL13mul_mat_vec_qIL9ggml_type19ELi2ELb0ELb0EEvPKvS2_PKi31ggml_cuda_mm_fusion_args_devicePfj15HIP_vector_typeIjLj3EEjjjS8_jjjS8_jjjj.kd
    .uniform_work_group_size: 1
    .uses_dynamic_stack: false
    .vgpr_count:     39
    .vgpr_spill_count: 0
    .wavefront_size: 32
    .workgroup_processor_mode: 1
  - .args:
      - .address_space:  global
        .offset:         0
        .size:           8
        .value_kind:     global_buffer
      - .address_space:  global
        .offset:         8
        .size:           8
        .value_kind:     global_buffer
      - .address_space:  global
        .offset:         16
        .size:           8
        .value_kind:     global_buffer
      - .offset:         24
        .size:           32
        .value_kind:     by_value
      - .address_space:  global
        .offset:         56
        .size:           8
        .value_kind:     global_buffer
      - .offset:         64
        .size:           4
        .value_kind:     by_value
      - .offset:         68
        .size:           12
        .value_kind:     by_value
      - .offset:         80
        .size:           4
        .value_kind:     by_value
      - .offset:         84
        .size:           4
        .value_kind:     by_value
      - .offset:         88
        .size:           4
        .value_kind:     by_value
      - .offset:         92
        .size:           12
        .value_kind:     by_value
      - .offset:         104
        .size:           4
        .value_kind:     by_value
      - .offset:         108
        .size:           4
        .value_kind:     by_value
      - .offset:         112
        .size:           4
        .value_kind:     by_value
      - .offset:         116
        .size:           12
        .value_kind:     by_value
      - .offset:         128
        .size:           4
        .value_kind:     by_value
      - .offset:         132
        .size:           4
        .value_kind:     by_value
      - .offset:         136
        .size:           4
        .value_kind:     by_value
      - .offset:         140
        .size:           4
        .value_kind:     by_value
    .group_segment_fixed_size: 0
    .kernarg_segment_align: 8
    .kernarg_segment_size: 144
    .language:       OpenCL C
    .language_version:
      - 2
      - 0
    .max_flat_workgroup_size: 32
    .name:           _ZL13mul_mat_vec_qIL9ggml_type19ELi3ELb0ELb0EEvPKvS2_PKi31ggml_cuda_mm_fusion_args_devicePfj15HIP_vector_typeIjLj3EEjjjS8_jjjS8_jjjj
    .private_segment_fixed_size: 0
    .sgpr_count:     30
    .sgpr_spill_count: 0
    .symbol:         _ZL13mul_mat_vec_qIL9ggml_type19ELi3ELb0ELb0EEvPKvS2_PKi31ggml_cuda_mm_fusion_args_devicePfj15HIP_vector_typeIjLj3EEjjjS8_jjjS8_jjjj.kd
    .uniform_work_group_size: 1
    .uses_dynamic_stack: false
    .vgpr_count:     57
    .vgpr_spill_count: 0
    .wavefront_size: 32
    .workgroup_processor_mode: 1
  - .args:
      - .address_space:  global
        .offset:         0
        .size:           8
        .value_kind:     global_buffer
      - .address_space:  global
        .offset:         8
        .size:           8
        .value_kind:     global_buffer
      - .address_space:  global
        .offset:         16
        .size:           8
        .value_kind:     global_buffer
      - .offset:         24
        .size:           32
        .value_kind:     by_value
      - .address_space:  global
        .offset:         56
        .size:           8
        .value_kind:     global_buffer
      - .offset:         64
        .size:           4
        .value_kind:     by_value
      - .offset:         68
        .size:           12
        .value_kind:     by_value
      - .offset:         80
        .size:           4
        .value_kind:     by_value
      - .offset:         84
        .size:           4
        .value_kind:     by_value
      - .offset:         88
        .size:           4
        .value_kind:     by_value
      - .offset:         92
        .size:           12
        .value_kind:     by_value
      - .offset:         104
        .size:           4
        .value_kind:     by_value
      - .offset:         108
        .size:           4
        .value_kind:     by_value
      - .offset:         112
        .size:           4
        .value_kind:     by_value
      - .offset:         116
        .size:           12
        .value_kind:     by_value
      - .offset:         128
        .size:           4
        .value_kind:     by_value
      - .offset:         132
        .size:           4
        .value_kind:     by_value
      - .offset:         136
        .size:           4
        .value_kind:     by_value
      - .offset:         140
        .size:           4
        .value_kind:     by_value
    .group_segment_fixed_size: 0
    .kernarg_segment_align: 8
    .kernarg_segment_size: 144
    .language:       OpenCL C
    .language_version:
      - 2
      - 0
    .max_flat_workgroup_size: 32
    .name:           _ZL13mul_mat_vec_qIL9ggml_type19ELi4ELb0ELb0EEvPKvS2_PKi31ggml_cuda_mm_fusion_args_devicePfj15HIP_vector_typeIjLj3EEjjjS8_jjjS8_jjjj
    .private_segment_fixed_size: 0
    .sgpr_count:     30
    .sgpr_spill_count: 0
    .symbol:         _ZL13mul_mat_vec_qIL9ggml_type19ELi4ELb0ELb0EEvPKvS2_PKi31ggml_cuda_mm_fusion_args_devicePfj15HIP_vector_typeIjLj3EEjjjS8_jjjS8_jjjj.kd
    .uniform_work_group_size: 1
    .uses_dynamic_stack: false
    .vgpr_count:     60
    .vgpr_spill_count: 0
    .wavefront_size: 32
    .workgroup_processor_mode: 1
  - .args:
      - .address_space:  global
        .offset:         0
        .size:           8
        .value_kind:     global_buffer
      - .address_space:  global
        .offset:         8
        .size:           8
        .value_kind:     global_buffer
      - .address_space:  global
        .offset:         16
        .size:           8
        .value_kind:     global_buffer
      - .offset:         24
        .size:           32
        .value_kind:     by_value
      - .address_space:  global
        .offset:         56
        .size:           8
        .value_kind:     global_buffer
      - .offset:         64
        .size:           4
        .value_kind:     by_value
      - .offset:         68
        .size:           12
        .value_kind:     by_value
      - .offset:         80
        .size:           4
        .value_kind:     by_value
      - .offset:         84
        .size:           4
        .value_kind:     by_value
      - .offset:         88
        .size:           4
        .value_kind:     by_value
      - .offset:         92
        .size:           12
        .value_kind:     by_value
      - .offset:         104
        .size:           4
        .value_kind:     by_value
      - .offset:         108
        .size:           4
        .value_kind:     by_value
      - .offset:         112
        .size:           4
        .value_kind:     by_value
      - .offset:         116
        .size:           12
        .value_kind:     by_value
      - .offset:         128
        .size:           4
        .value_kind:     by_value
      - .offset:         132
        .size:           4
        .value_kind:     by_value
      - .offset:         136
        .size:           4
        .value_kind:     by_value
      - .offset:         140
        .size:           4
        .value_kind:     by_value
    .group_segment_fixed_size: 0
    .kernarg_segment_align: 8
    .kernarg_segment_size: 144
    .language:       OpenCL C
    .language_version:
      - 2
      - 0
    .max_flat_workgroup_size: 32
    .name:           _ZL13mul_mat_vec_qIL9ggml_type19ELi5ELb0ELb0EEvPKvS2_PKi31ggml_cuda_mm_fusion_args_devicePfj15HIP_vector_typeIjLj3EEjjjS8_jjjS8_jjjj
    .private_segment_fixed_size: 0
    .sgpr_count:     30
    .sgpr_spill_count: 0
    .symbol:         _ZL13mul_mat_vec_qIL9ggml_type19ELi5ELb0ELb0EEvPKvS2_PKi31ggml_cuda_mm_fusion_args_devicePfj15HIP_vector_typeIjLj3EEjjjS8_jjjS8_jjjj.kd
    .uniform_work_group_size: 1
    .uses_dynamic_stack: false
    .vgpr_count:     60
    .vgpr_spill_count: 0
    .wavefront_size: 32
    .workgroup_processor_mode: 1
  - .args:
      - .address_space:  global
        .offset:         0
        .size:           8
        .value_kind:     global_buffer
      - .address_space:  global
        .offset:         8
        .size:           8
        .value_kind:     global_buffer
      - .address_space:  global
        .offset:         16
        .size:           8
        .value_kind:     global_buffer
      - .offset:         24
        .size:           32
        .value_kind:     by_value
      - .address_space:  global
        .offset:         56
        .size:           8
        .value_kind:     global_buffer
      - .offset:         64
        .size:           4
        .value_kind:     by_value
      - .offset:         68
        .size:           12
        .value_kind:     by_value
      - .offset:         80
        .size:           4
        .value_kind:     by_value
      - .offset:         84
        .size:           4
        .value_kind:     by_value
      - .offset:         88
        .size:           4
        .value_kind:     by_value
      - .offset:         92
        .size:           12
        .value_kind:     by_value
      - .offset:         104
        .size:           4
        .value_kind:     by_value
      - .offset:         108
        .size:           4
        .value_kind:     by_value
      - .offset:         112
        .size:           4
        .value_kind:     by_value
      - .offset:         116
        .size:           12
        .value_kind:     by_value
      - .offset:         128
        .size:           4
        .value_kind:     by_value
      - .offset:         132
        .size:           4
        .value_kind:     by_value
      - .offset:         136
        .size:           4
        .value_kind:     by_value
      - .offset:         140
        .size:           4
        .value_kind:     by_value
    .group_segment_fixed_size: 0
    .kernarg_segment_align: 8
    .kernarg_segment_size: 144
    .language:       OpenCL C
    .language_version:
      - 2
      - 0
    .max_flat_workgroup_size: 32
    .name:           _ZL13mul_mat_vec_qIL9ggml_type19ELi6ELb0ELb0EEvPKvS2_PKi31ggml_cuda_mm_fusion_args_devicePfj15HIP_vector_typeIjLj3EEjjjS8_jjjS8_jjjj
    .private_segment_fixed_size: 0
    .sgpr_count:     30
    .sgpr_spill_count: 0
    .symbol:         _ZL13mul_mat_vec_qIL9ggml_type19ELi6ELb0ELb0EEvPKvS2_PKi31ggml_cuda_mm_fusion_args_devicePfj15HIP_vector_typeIjLj3EEjjjS8_jjjS8_jjjj.kd
    .uniform_work_group_size: 1
    .uses_dynamic_stack: false
    .vgpr_count:     60
    .vgpr_spill_count: 0
    .wavefront_size: 32
    .workgroup_processor_mode: 1
  - .args:
      - .address_space:  global
        .offset:         0
        .size:           8
        .value_kind:     global_buffer
      - .address_space:  global
        .offset:         8
        .size:           8
        .value_kind:     global_buffer
      - .address_space:  global
        .offset:         16
        .size:           8
        .value_kind:     global_buffer
      - .offset:         24
        .size:           32
        .value_kind:     by_value
      - .address_space:  global
        .offset:         56
        .size:           8
        .value_kind:     global_buffer
      - .offset:         64
        .size:           4
        .value_kind:     by_value
      - .offset:         68
        .size:           12
        .value_kind:     by_value
      - .offset:         80
        .size:           4
        .value_kind:     by_value
      - .offset:         84
        .size:           4
        .value_kind:     by_value
      - .offset:         88
        .size:           4
        .value_kind:     by_value
      - .offset:         92
        .size:           12
        .value_kind:     by_value
      - .offset:         104
        .size:           4
        .value_kind:     by_value
      - .offset:         108
        .size:           4
        .value_kind:     by_value
      - .offset:         112
        .size:           4
        .value_kind:     by_value
      - .offset:         116
        .size:           12
        .value_kind:     by_value
      - .offset:         128
        .size:           4
        .value_kind:     by_value
      - .offset:         132
        .size:           4
        .value_kind:     by_value
      - .offset:         136
        .size:           4
        .value_kind:     by_value
      - .offset:         140
        .size:           4
        .value_kind:     by_value
    .group_segment_fixed_size: 0
    .kernarg_segment_align: 8
    .kernarg_segment_size: 144
    .language:       OpenCL C
    .language_version:
      - 2
      - 0
    .max_flat_workgroup_size: 32
    .name:           _ZL13mul_mat_vec_qIL9ggml_type19ELi7ELb0ELb0EEvPKvS2_PKi31ggml_cuda_mm_fusion_args_devicePfj15HIP_vector_typeIjLj3EEjjjS8_jjjS8_jjjj
    .private_segment_fixed_size: 0
    .sgpr_count:     30
    .sgpr_spill_count: 0
    .symbol:         _ZL13mul_mat_vec_qIL9ggml_type19ELi7ELb0ELb0EEvPKvS2_PKi31ggml_cuda_mm_fusion_args_devicePfj15HIP_vector_typeIjLj3EEjjjS8_jjjS8_jjjj.kd
    .uniform_work_group_size: 1
    .uses_dynamic_stack: false
    .vgpr_count:     62
    .vgpr_spill_count: 0
    .wavefront_size: 32
    .workgroup_processor_mode: 1
  - .args:
      - .address_space:  global
        .offset:         0
        .size:           8
        .value_kind:     global_buffer
      - .address_space:  global
        .offset:         8
        .size:           8
        .value_kind:     global_buffer
      - .address_space:  global
        .offset:         16
        .size:           8
        .value_kind:     global_buffer
      - .offset:         24
        .size:           32
        .value_kind:     by_value
      - .address_space:  global
        .offset:         56
        .size:           8
        .value_kind:     global_buffer
      - .offset:         64
        .size:           4
        .value_kind:     by_value
      - .offset:         68
        .size:           12
        .value_kind:     by_value
      - .offset:         80
        .size:           4
        .value_kind:     by_value
      - .offset:         84
        .size:           4
        .value_kind:     by_value
      - .offset:         88
        .size:           4
        .value_kind:     by_value
      - .offset:         92
        .size:           12
        .value_kind:     by_value
      - .offset:         104
        .size:           4
        .value_kind:     by_value
      - .offset:         108
        .size:           4
        .value_kind:     by_value
      - .offset:         112
        .size:           4
        .value_kind:     by_value
      - .offset:         116
        .size:           12
        .value_kind:     by_value
      - .offset:         128
        .size:           4
        .value_kind:     by_value
      - .offset:         132
        .size:           4
        .value_kind:     by_value
      - .offset:         136
        .size:           4
        .value_kind:     by_value
      - .offset:         140
        .size:           4
        .value_kind:     by_value
    .group_segment_fixed_size: 0
    .kernarg_segment_align: 8
    .kernarg_segment_size: 144
    .language:       OpenCL C
    .language_version:
      - 2
      - 0
    .max_flat_workgroup_size: 32
    .name:           _ZL13mul_mat_vec_qIL9ggml_type19ELi8ELb0ELb0EEvPKvS2_PKi31ggml_cuda_mm_fusion_args_devicePfj15HIP_vector_typeIjLj3EEjjjS8_jjjS8_jjjj
    .private_segment_fixed_size: 0
    .sgpr_count:     30
    .sgpr_spill_count: 0
    .symbol:         _ZL13mul_mat_vec_qIL9ggml_type19ELi8ELb0ELb0EEvPKvS2_PKi31ggml_cuda_mm_fusion_args_devicePfj15HIP_vector_typeIjLj3EEjjjS8_jjjS8_jjjj.kd
    .uniform_work_group_size: 1
    .uses_dynamic_stack: false
    .vgpr_count:     38
    .vgpr_spill_count: 0
    .wavefront_size: 32
    .workgroup_processor_mode: 1
  - .args:
      - .address_space:  global
        .offset:         0
        .size:           8
        .value_kind:     global_buffer
      - .address_space:  global
        .offset:         8
        .size:           8
        .value_kind:     global_buffer
      - .address_space:  global
        .offset:         16
        .size:           8
        .value_kind:     global_buffer
      - .address_space:  global
        .offset:         24
        .size:           8
        .value_kind:     global_buffer
      - .offset:         32
        .size:           4
        .value_kind:     by_value
      - .offset:         36
        .size:           12
        .value_kind:     by_value
      - .offset:         48
        .size:           4
        .value_kind:     by_value
      - .offset:         52
        .size:           4
        .value_kind:     by_value
      - .offset:         56
        .size:           4
        .value_kind:     by_value
      - .offset:         60
        .size:           4
        .value_kind:     by_value
      - .offset:         64
        .size:           4
        .value_kind:     by_value
      - .offset:         68
        .size:           4
        .value_kind:     by_value
      - .offset:         72
        .size:           4
        .value_kind:     by_value
      - .offset:         76
        .size:           4
        .value_kind:     by_value
      - .offset:         80
        .size:           4
        .value_kind:     by_value
    .group_segment_fixed_size: 0
    .kernarg_segment_align: 8
    .kernarg_segment_size: 84
    .language:       OpenCL C
    .language_version:
      - 2
      - 0
    .max_flat_workgroup_size: 256
    .name:           _ZL17mul_mat_vec_q_moeIL9ggml_type29ELi2EEvPKvS2_PKiPfj15HIP_vector_typeIjLj3EEjjjjjjjjj
    .private_segment_fixed_size: 0
    .sgpr_count:     30
    .sgpr_spill_count: 0
    .symbol:         _ZL17mul_mat_vec_q_moeIL9ggml_type29ELi2EEvPKvS2_PKiPfj15HIP_vector_typeIjLj3EEjjjjjjjjj.kd
    .uniform_work_group_size: 1
    .uses_dynamic_stack: false
    .vgpr_count:     58
    .vgpr_spill_count: 0
    .wavefront_size: 32
    .workgroup_processor_mode: 1
  - .args:
      - .address_space:  global
        .offset:         0
        .size:           8
        .value_kind:     global_buffer
      - .address_space:  global
        .offset:         8
        .size:           8
        .value_kind:     global_buffer
      - .address_space:  global
        .offset:         16
        .size:           8
        .value_kind:     global_buffer
      - .offset:         24
        .size:           32
        .value_kind:     by_value
      - .address_space:  global
        .offset:         56
        .size:           8
        .value_kind:     global_buffer
      - .offset:         64
        .size:           4
        .value_kind:     by_value
      - .offset:         68
        .size:           12
        .value_kind:     by_value
      - .offset:         80
        .size:           4
        .value_kind:     by_value
      - .offset:         84
        .size:           4
        .value_kind:     by_value
      - .offset:         88
        .size:           4
        .value_kind:     by_value
      - .offset:         92
        .size:           12
        .value_kind:     by_value
      - .offset:         104
        .size:           4
        .value_kind:     by_value
      - .offset:         108
        .size:           4
        .value_kind:     by_value
      - .offset:         112
        .size:           4
        .value_kind:     by_value
      - .offset:         116
        .size:           12
        .value_kind:     by_value
      - .offset:         128
        .size:           4
        .value_kind:     by_value
      - .offset:         132
        .size:           4
        .value_kind:     by_value
      - .offset:         136
        .size:           4
        .value_kind:     by_value
      - .offset:         140
        .size:           4
        .value_kind:     by_value
    .group_segment_fixed_size: 0
    .kernarg_segment_align: 8
    .kernarg_segment_size: 144
    .language:       OpenCL C
    .language_version:
      - 2
      - 0
    .max_flat_workgroup_size: 32
    .name:           _ZL13mul_mat_vec_qIL9ggml_type29ELi1ELb1ELb1EEvPKvS2_PKi31ggml_cuda_mm_fusion_args_devicePfj15HIP_vector_typeIjLj3EEjjjS8_jjjS8_jjjj
    .private_segment_fixed_size: 0
    .sgpr_count:     42
    .sgpr_spill_count: 0
    .symbol:         _ZL13mul_mat_vec_qIL9ggml_type29ELi1ELb1ELb1EEvPKvS2_PKi31ggml_cuda_mm_fusion_args_devicePfj15HIP_vector_typeIjLj3EEjjjS8_jjjS8_jjjj.kd
    .uniform_work_group_size: 1
    .uses_dynamic_stack: false
    .vgpr_count:     54
    .vgpr_spill_count: 0
    .wavefront_size: 32
    .workgroup_processor_mode: 1
  - .args:
      - .address_space:  global
        .offset:         0
        .size:           8
        .value_kind:     global_buffer
      - .address_space:  global
        .offset:         8
        .size:           8
        .value_kind:     global_buffer
      - .address_space:  global
        .offset:         16
        .size:           8
        .value_kind:     global_buffer
      - .offset:         24
        .size:           32
        .value_kind:     by_value
      - .address_space:  global
        .offset:         56
        .size:           8
        .value_kind:     global_buffer
      - .offset:         64
        .size:           4
        .value_kind:     by_value
      - .offset:         68
        .size:           12
        .value_kind:     by_value
      - .offset:         80
        .size:           4
        .value_kind:     by_value
      - .offset:         84
        .size:           4
        .value_kind:     by_value
      - .offset:         88
        .size:           4
        .value_kind:     by_value
      - .offset:         92
        .size:           12
        .value_kind:     by_value
      - .offset:         104
        .size:           4
        .value_kind:     by_value
      - .offset:         108
        .size:           4
        .value_kind:     by_value
      - .offset:         112
        .size:           4
        .value_kind:     by_value
      - .offset:         116
        .size:           12
        .value_kind:     by_value
      - .offset:         128
        .size:           4
        .value_kind:     by_value
      - .offset:         132
        .size:           4
        .value_kind:     by_value
      - .offset:         136
        .size:           4
        .value_kind:     by_value
      - .offset:         140
        .size:           4
        .value_kind:     by_value
    .group_segment_fixed_size: 0
    .kernarg_segment_align: 8
    .kernarg_segment_size: 144
    .language:       OpenCL C
    .language_version:
      - 2
      - 0
    .max_flat_workgroup_size: 32
    .name:           _ZL13mul_mat_vec_qIL9ggml_type29ELi1ELb0ELb1EEvPKvS2_PKi31ggml_cuda_mm_fusion_args_devicePfj15HIP_vector_typeIjLj3EEjjjS8_jjjS8_jjjj
    .private_segment_fixed_size: 0
    .sgpr_count:     24
    .sgpr_spill_count: 0
    .symbol:         _ZL13mul_mat_vec_qIL9ggml_type29ELi1ELb0ELb1EEvPKvS2_PKi31ggml_cuda_mm_fusion_args_devicePfj15HIP_vector_typeIjLj3EEjjjS8_jjjS8_jjjj.kd
    .uniform_work_group_size: 1
    .uses_dynamic_stack: false
    .vgpr_count:     41
    .vgpr_spill_count: 0
    .wavefront_size: 32
    .workgroup_processor_mode: 1
  - .args:
      - .address_space:  global
        .offset:         0
        .size:           8
        .value_kind:     global_buffer
      - .address_space:  global
        .offset:         8
        .size:           8
        .value_kind:     global_buffer
      - .address_space:  global
        .offset:         16
        .size:           8
        .value_kind:     global_buffer
      - .offset:         24
        .size:           32
        .value_kind:     by_value
      - .address_space:  global
        .offset:         56
        .size:           8
        .value_kind:     global_buffer
      - .offset:         64
        .size:           4
        .value_kind:     by_value
      - .offset:         68
        .size:           12
        .value_kind:     by_value
      - .offset:         80
        .size:           4
        .value_kind:     by_value
      - .offset:         84
        .size:           4
        .value_kind:     by_value
      - .offset:         88
        .size:           4
        .value_kind:     by_value
      - .offset:         92
        .size:           12
        .value_kind:     by_value
      - .offset:         104
        .size:           4
        .value_kind:     by_value
      - .offset:         108
        .size:           4
        .value_kind:     by_value
      - .offset:         112
        .size:           4
        .value_kind:     by_value
      - .offset:         116
        .size:           12
        .value_kind:     by_value
      - .offset:         128
        .size:           4
        .value_kind:     by_value
      - .offset:         132
        .size:           4
        .value_kind:     by_value
      - .offset:         136
        .size:           4
        .value_kind:     by_value
      - .offset:         140
        .size:           4
        .value_kind:     by_value
    .group_segment_fixed_size: 0
    .kernarg_segment_align: 8
    .kernarg_segment_size: 144
    .language:       OpenCL C
    .language_version:
      - 2
      - 0
    .max_flat_workgroup_size: 32
    .name:           _ZL13mul_mat_vec_qIL9ggml_type29ELi1ELb1ELb0EEvPKvS2_PKi31ggml_cuda_mm_fusion_args_devicePfj15HIP_vector_typeIjLj3EEjjjS8_jjjS8_jjjj
    .private_segment_fixed_size: 0
    .sgpr_count:     42
    .sgpr_spill_count: 0
    .symbol:         _ZL13mul_mat_vec_qIL9ggml_type29ELi1ELb1ELb0EEvPKvS2_PKi31ggml_cuda_mm_fusion_args_devicePfj15HIP_vector_typeIjLj3EEjjjS8_jjjS8_jjjj.kd
    .uniform_work_group_size: 1
    .uses_dynamic_stack: false
    .vgpr_count:     54
    .vgpr_spill_count: 0
    .wavefront_size: 32
    .workgroup_processor_mode: 1
  - .args:
      - .address_space:  global
        .offset:         0
        .size:           8
        .value_kind:     global_buffer
      - .address_space:  global
        .offset:         8
        .size:           8
        .value_kind:     global_buffer
      - .address_space:  global
        .offset:         16
        .size:           8
        .value_kind:     global_buffer
      - .offset:         24
        .size:           32
        .value_kind:     by_value
      - .address_space:  global
        .offset:         56
        .size:           8
        .value_kind:     global_buffer
      - .offset:         64
        .size:           4
        .value_kind:     by_value
      - .offset:         68
        .size:           12
        .value_kind:     by_value
      - .offset:         80
        .size:           4
        .value_kind:     by_value
      - .offset:         84
        .size:           4
        .value_kind:     by_value
      - .offset:         88
        .size:           4
        .value_kind:     by_value
      - .offset:         92
        .size:           12
        .value_kind:     by_value
      - .offset:         104
        .size:           4
        .value_kind:     by_value
      - .offset:         108
        .size:           4
        .value_kind:     by_value
      - .offset:         112
        .size:           4
        .value_kind:     by_value
      - .offset:         116
        .size:           12
        .value_kind:     by_value
      - .offset:         128
        .size:           4
        .value_kind:     by_value
      - .offset:         132
        .size:           4
        .value_kind:     by_value
      - .offset:         136
        .size:           4
        .value_kind:     by_value
      - .offset:         140
        .size:           4
        .value_kind:     by_value
    .group_segment_fixed_size: 0
    .kernarg_segment_align: 8
    .kernarg_segment_size: 144
    .language:       OpenCL C
    .language_version:
      - 2
      - 0
    .max_flat_workgroup_size: 32
    .name:           _ZL13mul_mat_vec_qIL9ggml_type29ELi1ELb0ELb0EEvPKvS2_PKi31ggml_cuda_mm_fusion_args_devicePfj15HIP_vector_typeIjLj3EEjjjS8_jjjS8_jjjj
    .private_segment_fixed_size: 0
    .sgpr_count:     24
    .sgpr_spill_count: 0
    .symbol:         _ZL13mul_mat_vec_qIL9ggml_type29ELi1ELb0ELb0EEvPKvS2_PKi31ggml_cuda_mm_fusion_args_devicePfj15HIP_vector_typeIjLj3EEjjjS8_jjjS8_jjjj.kd
    .uniform_work_group_size: 1
    .uses_dynamic_stack: false
    .vgpr_count:     41
    .vgpr_spill_count: 0
    .wavefront_size: 32
    .workgroup_processor_mode: 1
  - .args:
      - .address_space:  global
        .offset:         0
        .size:           8
        .value_kind:     global_buffer
      - .address_space:  global
        .offset:         8
        .size:           8
        .value_kind:     global_buffer
      - .address_space:  global
        .offset:         16
        .size:           8
        .value_kind:     global_buffer
      - .offset:         24
        .size:           32
        .value_kind:     by_value
      - .address_space:  global
        .offset:         56
        .size:           8
        .value_kind:     global_buffer
      - .offset:         64
        .size:           4
        .value_kind:     by_value
      - .offset:         68
        .size:           12
        .value_kind:     by_value
      - .offset:         80
        .size:           4
        .value_kind:     by_value
      - .offset:         84
        .size:           4
        .value_kind:     by_value
      - .offset:         88
        .size:           4
        .value_kind:     by_value
      - .offset:         92
        .size:           12
        .value_kind:     by_value
      - .offset:         104
        .size:           4
        .value_kind:     by_value
      - .offset:         108
        .size:           4
        .value_kind:     by_value
      - .offset:         112
        .size:           4
        .value_kind:     by_value
      - .offset:         116
        .size:           12
        .value_kind:     by_value
      - .offset:         128
        .size:           4
        .value_kind:     by_value
      - .offset:         132
        .size:           4
        .value_kind:     by_value
      - .offset:         136
        .size:           4
        .value_kind:     by_value
      - .offset:         140
        .size:           4
        .value_kind:     by_value
    .group_segment_fixed_size: 0
    .kernarg_segment_align: 8
    .kernarg_segment_size: 144
    .language:       OpenCL C
    .language_version:
      - 2
      - 0
    .max_flat_workgroup_size: 32
    .name:           _ZL13mul_mat_vec_qIL9ggml_type29ELi2ELb0ELb0EEvPKvS2_PKi31ggml_cuda_mm_fusion_args_devicePfj15HIP_vector_typeIjLj3EEjjjS8_jjjS8_jjjj
    .private_segment_fixed_size: 0
    .sgpr_count:     30
    .sgpr_spill_count: 0
    .symbol:         _ZL13mul_mat_vec_qIL9ggml_type29ELi2ELb0ELb0EEvPKvS2_PKi31ggml_cuda_mm_fusion_args_devicePfj15HIP_vector_typeIjLj3EEjjjS8_jjjS8_jjjj.kd
    .uniform_work_group_size: 1
    .uses_dynamic_stack: false
    .vgpr_count:     59
    .vgpr_spill_count: 0
    .wavefront_size: 32
    .workgroup_processor_mode: 1
  - .args:
      - .address_space:  global
        .offset:         0
        .size:           8
        .value_kind:     global_buffer
      - .address_space:  global
        .offset:         8
        .size:           8
        .value_kind:     global_buffer
      - .address_space:  global
        .offset:         16
        .size:           8
        .value_kind:     global_buffer
      - .offset:         24
        .size:           32
        .value_kind:     by_value
      - .address_space:  global
        .offset:         56
        .size:           8
        .value_kind:     global_buffer
      - .offset:         64
        .size:           4
        .value_kind:     by_value
      - .offset:         68
        .size:           12
        .value_kind:     by_value
      - .offset:         80
        .size:           4
        .value_kind:     by_value
      - .offset:         84
        .size:           4
        .value_kind:     by_value
      - .offset:         88
        .size:           4
        .value_kind:     by_value
      - .offset:         92
        .size:           12
        .value_kind:     by_value
      - .offset:         104
        .size:           4
        .value_kind:     by_value
      - .offset:         108
        .size:           4
        .value_kind:     by_value
      - .offset:         112
        .size:           4
        .value_kind:     by_value
      - .offset:         116
        .size:           12
        .value_kind:     by_value
      - .offset:         128
        .size:           4
        .value_kind:     by_value
      - .offset:         132
        .size:           4
        .value_kind:     by_value
      - .offset:         136
        .size:           4
        .value_kind:     by_value
      - .offset:         140
        .size:           4
        .value_kind:     by_value
    .group_segment_fixed_size: 0
    .kernarg_segment_align: 8
    .kernarg_segment_size: 144
    .language:       OpenCL C
    .language_version:
      - 2
      - 0
    .max_flat_workgroup_size: 32
    .name:           _ZL13mul_mat_vec_qIL9ggml_type29ELi3ELb0ELb0EEvPKvS2_PKi31ggml_cuda_mm_fusion_args_devicePfj15HIP_vector_typeIjLj3EEjjjS8_jjjS8_jjjj
    .private_segment_fixed_size: 0
    .sgpr_count:     30
    .sgpr_spill_count: 0
    .symbol:         _ZL13mul_mat_vec_qIL9ggml_type29ELi3ELb0ELb0EEvPKvS2_PKi31ggml_cuda_mm_fusion_args_devicePfj15HIP_vector_typeIjLj3EEjjjS8_jjjS8_jjjj.kd
    .uniform_work_group_size: 1
    .uses_dynamic_stack: false
    .vgpr_count:     62
    .vgpr_spill_count: 0
    .wavefront_size: 32
    .workgroup_processor_mode: 1
  - .args:
      - .address_space:  global
        .offset:         0
        .size:           8
        .value_kind:     global_buffer
      - .address_space:  global
        .offset:         8
        .size:           8
        .value_kind:     global_buffer
      - .address_space:  global
        .offset:         16
        .size:           8
        .value_kind:     global_buffer
      - .offset:         24
        .size:           32
        .value_kind:     by_value
      - .address_space:  global
        .offset:         56
        .size:           8
        .value_kind:     global_buffer
      - .offset:         64
        .size:           4
        .value_kind:     by_value
      - .offset:         68
        .size:           12
        .value_kind:     by_value
      - .offset:         80
        .size:           4
        .value_kind:     by_value
      - .offset:         84
        .size:           4
        .value_kind:     by_value
      - .offset:         88
        .size:           4
        .value_kind:     by_value
      - .offset:         92
        .size:           12
        .value_kind:     by_value
      - .offset:         104
        .size:           4
        .value_kind:     by_value
      - .offset:         108
        .size:           4
        .value_kind:     by_value
      - .offset:         112
        .size:           4
        .value_kind:     by_value
      - .offset:         116
        .size:           12
        .value_kind:     by_value
      - .offset:         128
        .size:           4
        .value_kind:     by_value
      - .offset:         132
        .size:           4
        .value_kind:     by_value
      - .offset:         136
        .size:           4
        .value_kind:     by_value
      - .offset:         140
        .size:           4
        .value_kind:     by_value
    .group_segment_fixed_size: 0
    .kernarg_segment_align: 8
    .kernarg_segment_size: 144
    .language:       OpenCL C
    .language_version:
      - 2
      - 0
    .max_flat_workgroup_size: 32
    .name:           _ZL13mul_mat_vec_qIL9ggml_type29ELi4ELb0ELb0EEvPKvS2_PKi31ggml_cuda_mm_fusion_args_devicePfj15HIP_vector_typeIjLj3EEjjjS8_jjjS8_jjjj
    .private_segment_fixed_size: 0
    .sgpr_count:     30
    .sgpr_spill_count: 0
    .symbol:         _ZL13mul_mat_vec_qIL9ggml_type29ELi4ELb0ELb0EEvPKvS2_PKi31ggml_cuda_mm_fusion_args_devicePfj15HIP_vector_typeIjLj3EEjjjS8_jjjS8_jjjj.kd
    .uniform_work_group_size: 1
    .uses_dynamic_stack: false
    .vgpr_count:     79
    .vgpr_spill_count: 0
    .wavefront_size: 32
    .workgroup_processor_mode: 1
  - .args:
      - .address_space:  global
        .offset:         0
        .size:           8
        .value_kind:     global_buffer
      - .address_space:  global
        .offset:         8
        .size:           8
        .value_kind:     global_buffer
      - .address_space:  global
        .offset:         16
        .size:           8
        .value_kind:     global_buffer
      - .offset:         24
        .size:           32
        .value_kind:     by_value
      - .address_space:  global
        .offset:         56
        .size:           8
        .value_kind:     global_buffer
      - .offset:         64
        .size:           4
        .value_kind:     by_value
      - .offset:         68
        .size:           12
        .value_kind:     by_value
      - .offset:         80
        .size:           4
        .value_kind:     by_value
      - .offset:         84
        .size:           4
        .value_kind:     by_value
      - .offset:         88
        .size:           4
        .value_kind:     by_value
      - .offset:         92
        .size:           12
        .value_kind:     by_value
      - .offset:         104
        .size:           4
        .value_kind:     by_value
      - .offset:         108
        .size:           4
        .value_kind:     by_value
      - .offset:         112
        .size:           4
        .value_kind:     by_value
      - .offset:         116
        .size:           12
        .value_kind:     by_value
      - .offset:         128
        .size:           4
        .value_kind:     by_value
      - .offset:         132
        .size:           4
        .value_kind:     by_value
      - .offset:         136
        .size:           4
        .value_kind:     by_value
      - .offset:         140
        .size:           4
        .value_kind:     by_value
    .group_segment_fixed_size: 0
    .kernarg_segment_align: 8
    .kernarg_segment_size: 144
    .language:       OpenCL C
    .language_version:
      - 2
      - 0
    .max_flat_workgroup_size: 32
    .name:           _ZL13mul_mat_vec_qIL9ggml_type29ELi5ELb0ELb0EEvPKvS2_PKi31ggml_cuda_mm_fusion_args_devicePfj15HIP_vector_typeIjLj3EEjjjS8_jjjS8_jjjj
    .private_segment_fixed_size: 0
    .sgpr_count:     30
    .sgpr_spill_count: 0
    .symbol:         _ZL13mul_mat_vec_qIL9ggml_type29ELi5ELb0ELb0EEvPKvS2_PKi31ggml_cuda_mm_fusion_args_devicePfj15HIP_vector_typeIjLj3EEjjjS8_jjjS8_jjjj.kd
    .uniform_work_group_size: 1
    .uses_dynamic_stack: false
    .vgpr_count:     79
    .vgpr_spill_count: 0
    .wavefront_size: 32
    .workgroup_processor_mode: 1
  - .args:
      - .address_space:  global
        .offset:         0
        .size:           8
        .value_kind:     global_buffer
      - .address_space:  global
        .offset:         8
        .size:           8
        .value_kind:     global_buffer
      - .address_space:  global
        .offset:         16
        .size:           8
        .value_kind:     global_buffer
      - .offset:         24
        .size:           32
        .value_kind:     by_value
      - .address_space:  global
        .offset:         56
        .size:           8
        .value_kind:     global_buffer
      - .offset:         64
        .size:           4
        .value_kind:     by_value
      - .offset:         68
        .size:           12
        .value_kind:     by_value
      - .offset:         80
        .size:           4
        .value_kind:     by_value
      - .offset:         84
        .size:           4
        .value_kind:     by_value
      - .offset:         88
        .size:           4
        .value_kind:     by_value
      - .offset:         92
        .size:           12
        .value_kind:     by_value
      - .offset:         104
        .size:           4
        .value_kind:     by_value
      - .offset:         108
        .size:           4
        .value_kind:     by_value
      - .offset:         112
        .size:           4
        .value_kind:     by_value
      - .offset:         116
        .size:           12
        .value_kind:     by_value
      - .offset:         128
        .size:           4
        .value_kind:     by_value
      - .offset:         132
        .size:           4
        .value_kind:     by_value
      - .offset:         136
        .size:           4
        .value_kind:     by_value
      - .offset:         140
        .size:           4
        .value_kind:     by_value
    .group_segment_fixed_size: 0
    .kernarg_segment_align: 8
    .kernarg_segment_size: 144
    .language:       OpenCL C
    .language_version:
      - 2
      - 0
    .max_flat_workgroup_size: 32
    .name:           _ZL13mul_mat_vec_qIL9ggml_type29ELi6ELb0ELb0EEvPKvS2_PKi31ggml_cuda_mm_fusion_args_devicePfj15HIP_vector_typeIjLj3EEjjjS8_jjjS8_jjjj
    .private_segment_fixed_size: 0
    .sgpr_count:     30
    .sgpr_spill_count: 0
    .symbol:         _ZL13mul_mat_vec_qIL9ggml_type29ELi6ELb0ELb0EEvPKvS2_PKi31ggml_cuda_mm_fusion_args_devicePfj15HIP_vector_typeIjLj3EEjjjS8_jjjS8_jjjj.kd
    .uniform_work_group_size: 1
    .uses_dynamic_stack: false
    .vgpr_count:     95
    .vgpr_spill_count: 0
    .wavefront_size: 32
    .workgroup_processor_mode: 1
  - .args:
      - .address_space:  global
        .offset:         0
        .size:           8
        .value_kind:     global_buffer
      - .address_space:  global
        .offset:         8
        .size:           8
        .value_kind:     global_buffer
      - .address_space:  global
        .offset:         16
        .size:           8
        .value_kind:     global_buffer
      - .offset:         24
        .size:           32
        .value_kind:     by_value
      - .address_space:  global
        .offset:         56
        .size:           8
        .value_kind:     global_buffer
      - .offset:         64
        .size:           4
        .value_kind:     by_value
      - .offset:         68
        .size:           12
        .value_kind:     by_value
      - .offset:         80
        .size:           4
        .value_kind:     by_value
      - .offset:         84
        .size:           4
        .value_kind:     by_value
      - .offset:         88
        .size:           4
        .value_kind:     by_value
      - .offset:         92
        .size:           12
        .value_kind:     by_value
      - .offset:         104
        .size:           4
        .value_kind:     by_value
      - .offset:         108
        .size:           4
        .value_kind:     by_value
      - .offset:         112
        .size:           4
        .value_kind:     by_value
      - .offset:         116
        .size:           12
        .value_kind:     by_value
      - .offset:         128
        .size:           4
        .value_kind:     by_value
      - .offset:         132
        .size:           4
        .value_kind:     by_value
      - .offset:         136
        .size:           4
        .value_kind:     by_value
      - .offset:         140
        .size:           4
        .value_kind:     by_value
    .group_segment_fixed_size: 0
    .kernarg_segment_align: 8
    .kernarg_segment_size: 144
    .language:       OpenCL C
    .language_version:
      - 2
      - 0
    .max_flat_workgroup_size: 32
    .name:           _ZL13mul_mat_vec_qIL9ggml_type29ELi7ELb0ELb0EEvPKvS2_PKi31ggml_cuda_mm_fusion_args_devicePfj15HIP_vector_typeIjLj3EEjjjS8_jjjS8_jjjj
    .private_segment_fixed_size: 0
    .sgpr_count:     30
    .sgpr_spill_count: 0
    .symbol:         _ZL13mul_mat_vec_qIL9ggml_type29ELi7ELb0ELb0EEvPKvS2_PKi31ggml_cuda_mm_fusion_args_devicePfj15HIP_vector_typeIjLj3EEjjjS8_jjjS8_jjjj.kd
    .uniform_work_group_size: 1
    .uses_dynamic_stack: false
    .vgpr_count:     93
    .vgpr_spill_count: 0
    .wavefront_size: 32
    .workgroup_processor_mode: 1
  - .args:
      - .address_space:  global
        .offset:         0
        .size:           8
        .value_kind:     global_buffer
      - .address_space:  global
        .offset:         8
        .size:           8
        .value_kind:     global_buffer
      - .address_space:  global
        .offset:         16
        .size:           8
        .value_kind:     global_buffer
      - .offset:         24
        .size:           32
        .value_kind:     by_value
      - .address_space:  global
        .offset:         56
        .size:           8
        .value_kind:     global_buffer
      - .offset:         64
        .size:           4
        .value_kind:     by_value
      - .offset:         68
        .size:           12
        .value_kind:     by_value
      - .offset:         80
        .size:           4
        .value_kind:     by_value
      - .offset:         84
        .size:           4
        .value_kind:     by_value
      - .offset:         88
        .size:           4
        .value_kind:     by_value
      - .offset:         92
        .size:           12
        .value_kind:     by_value
      - .offset:         104
        .size:           4
        .value_kind:     by_value
      - .offset:         108
        .size:           4
        .value_kind:     by_value
      - .offset:         112
        .size:           4
        .value_kind:     by_value
      - .offset:         116
        .size:           12
        .value_kind:     by_value
      - .offset:         128
        .size:           4
        .value_kind:     by_value
      - .offset:         132
        .size:           4
        .value_kind:     by_value
      - .offset:         136
        .size:           4
        .value_kind:     by_value
      - .offset:         140
        .size:           4
        .value_kind:     by_value
    .group_segment_fixed_size: 0
    .kernarg_segment_align: 8
    .kernarg_segment_size: 144
    .language:       OpenCL C
    .language_version:
      - 2
      - 0
    .max_flat_workgroup_size: 32
    .name:           _ZL13mul_mat_vec_qIL9ggml_type29ELi8ELb0ELb0EEvPKvS2_PKi31ggml_cuda_mm_fusion_args_devicePfj15HIP_vector_typeIjLj3EEjjjS8_jjjS8_jjjj
    .private_segment_fixed_size: 0
    .sgpr_count:     30
    .sgpr_spill_count: 0
    .symbol:         _ZL13mul_mat_vec_qIL9ggml_type29ELi8ELb0ELb0EEvPKvS2_PKi31ggml_cuda_mm_fusion_args_devicePfj15HIP_vector_typeIjLj3EEjjjS8_jjjS8_jjjj.kd
    .uniform_work_group_size: 1
    .uses_dynamic_stack: false
    .vgpr_count:     118
    .vgpr_spill_count: 0
    .wavefront_size: 32
    .workgroup_processor_mode: 1
  - .args:
      - .address_space:  global
        .offset:         0
        .size:           8
        .value_kind:     global_buffer
      - .address_space:  global
        .offset:         8
        .size:           8
        .value_kind:     global_buffer
      - .address_space:  global
        .offset:         16
        .size:           8
        .value_kind:     global_buffer
      - .address_space:  global
        .offset:         24
        .size:           8
        .value_kind:     global_buffer
      - .offset:         32
        .size:           4
        .value_kind:     by_value
      - .offset:         36
        .size:           12
        .value_kind:     by_value
      - .offset:         48
        .size:           4
        .value_kind:     by_value
      - .offset:         52
        .size:           4
        .value_kind:     by_value
      - .offset:         56
        .size:           4
        .value_kind:     by_value
      - .offset:         60
        .size:           4
        .value_kind:     by_value
      - .offset:         64
        .size:           4
        .value_kind:     by_value
      - .offset:         68
        .size:           4
        .value_kind:     by_value
      - .offset:         72
        .size:           4
        .value_kind:     by_value
      - .offset:         76
        .size:           4
        .value_kind:     by_value
      - .offset:         80
        .size:           4
        .value_kind:     by_value
    .group_segment_fixed_size: 0
    .kernarg_segment_align: 8
    .kernarg_segment_size: 84
    .language:       OpenCL C
    .language_version:
      - 2
      - 0
    .max_flat_workgroup_size: 256
    .name:           _ZL17mul_mat_vec_q_moeIL9ggml_type20ELi2EEvPKvS2_PKiPfj15HIP_vector_typeIjLj3EEjjjjjjjjj
    .private_segment_fixed_size: 0
    .sgpr_count:     30
    .sgpr_spill_count: 0
    .symbol:         _ZL17mul_mat_vec_q_moeIL9ggml_type20ELi2EEvPKvS2_PKiPfj15HIP_vector_typeIjLj3EEjjjjjjjjj.kd
    .uniform_work_group_size: 1
    .uses_dynamic_stack: false
    .vgpr_count:     41
    .vgpr_spill_count: 0
    .wavefront_size: 32
    .workgroup_processor_mode: 1
  - .args:
      - .address_space:  global
        .offset:         0
        .size:           8
        .value_kind:     global_buffer
      - .address_space:  global
        .offset:         8
        .size:           8
        .value_kind:     global_buffer
      - .address_space:  global
        .offset:         16
        .size:           8
        .value_kind:     global_buffer
      - .offset:         24
        .size:           32
        .value_kind:     by_value
      - .address_space:  global
        .offset:         56
        .size:           8
        .value_kind:     global_buffer
      - .offset:         64
        .size:           4
        .value_kind:     by_value
      - .offset:         68
        .size:           12
        .value_kind:     by_value
      - .offset:         80
        .size:           4
        .value_kind:     by_value
      - .offset:         84
        .size:           4
        .value_kind:     by_value
      - .offset:         88
        .size:           4
        .value_kind:     by_value
      - .offset:         92
        .size:           12
        .value_kind:     by_value
      - .offset:         104
        .size:           4
        .value_kind:     by_value
      - .offset:         108
        .size:           4
        .value_kind:     by_value
      - .offset:         112
        .size:           4
        .value_kind:     by_value
      - .offset:         116
        .size:           12
        .value_kind:     by_value
      - .offset:         128
        .size:           4
        .value_kind:     by_value
      - .offset:         132
        .size:           4
        .value_kind:     by_value
      - .offset:         136
        .size:           4
        .value_kind:     by_value
      - .offset:         140
        .size:           4
        .value_kind:     by_value
    .group_segment_fixed_size: 0
    .kernarg_segment_align: 8
    .kernarg_segment_size: 144
    .language:       OpenCL C
    .language_version:
      - 2
      - 0
    .max_flat_workgroup_size: 32
    .name:           _ZL13mul_mat_vec_qIL9ggml_type20ELi1ELb1ELb1EEvPKvS2_PKi31ggml_cuda_mm_fusion_args_devicePfj15HIP_vector_typeIjLj3EEjjjS8_jjjS8_jjjj
    .private_segment_fixed_size: 0
    .sgpr_count:     42
    .sgpr_spill_count: 0
    .symbol:         _ZL13mul_mat_vec_qIL9ggml_type20ELi1ELb1ELb1EEvPKvS2_PKi31ggml_cuda_mm_fusion_args_devicePfj15HIP_vector_typeIjLj3EEjjjS8_jjjS8_jjjj.kd
    .uniform_work_group_size: 1
    .uses_dynamic_stack: false
    .vgpr_count:     32
    .vgpr_spill_count: 0
    .wavefront_size: 32
    .workgroup_processor_mode: 1
  - .args:
      - .address_space:  global
        .offset:         0
        .size:           8
        .value_kind:     global_buffer
      - .address_space:  global
        .offset:         8
        .size:           8
        .value_kind:     global_buffer
      - .address_space:  global
        .offset:         16
        .size:           8
        .value_kind:     global_buffer
      - .offset:         24
        .size:           32
        .value_kind:     by_value
      - .address_space:  global
        .offset:         56
        .size:           8
        .value_kind:     global_buffer
      - .offset:         64
        .size:           4
        .value_kind:     by_value
      - .offset:         68
        .size:           12
        .value_kind:     by_value
      - .offset:         80
        .size:           4
        .value_kind:     by_value
      - .offset:         84
        .size:           4
        .value_kind:     by_value
      - .offset:         88
        .size:           4
        .value_kind:     by_value
      - .offset:         92
        .size:           12
        .value_kind:     by_value
      - .offset:         104
        .size:           4
        .value_kind:     by_value
      - .offset:         108
        .size:           4
        .value_kind:     by_value
      - .offset:         112
        .size:           4
        .value_kind:     by_value
      - .offset:         116
        .size:           12
        .value_kind:     by_value
      - .offset:         128
        .size:           4
        .value_kind:     by_value
      - .offset:         132
        .size:           4
        .value_kind:     by_value
      - .offset:         136
        .size:           4
        .value_kind:     by_value
      - .offset:         140
        .size:           4
        .value_kind:     by_value
    .group_segment_fixed_size: 0
    .kernarg_segment_align: 8
    .kernarg_segment_size: 144
    .language:       OpenCL C
    .language_version:
      - 2
      - 0
    .max_flat_workgroup_size: 32
    .name:           _ZL13mul_mat_vec_qIL9ggml_type20ELi1ELb0ELb1EEvPKvS2_PKi31ggml_cuda_mm_fusion_args_devicePfj15HIP_vector_typeIjLj3EEjjjS8_jjjS8_jjjj
    .private_segment_fixed_size: 0
    .sgpr_count:     25
    .sgpr_spill_count: 0
    .symbol:         _ZL13mul_mat_vec_qIL9ggml_type20ELi1ELb0ELb1EEvPKvS2_PKi31ggml_cuda_mm_fusion_args_devicePfj15HIP_vector_typeIjLj3EEjjjS8_jjjS8_jjjj.kd
    .uniform_work_group_size: 1
    .uses_dynamic_stack: false
    .vgpr_count:     26
    .vgpr_spill_count: 0
    .wavefront_size: 32
    .workgroup_processor_mode: 1
  - .args:
      - .address_space:  global
        .offset:         0
        .size:           8
        .value_kind:     global_buffer
      - .address_space:  global
        .offset:         8
        .size:           8
        .value_kind:     global_buffer
      - .address_space:  global
        .offset:         16
        .size:           8
        .value_kind:     global_buffer
      - .offset:         24
        .size:           32
        .value_kind:     by_value
      - .address_space:  global
        .offset:         56
        .size:           8
        .value_kind:     global_buffer
      - .offset:         64
        .size:           4
        .value_kind:     by_value
      - .offset:         68
        .size:           12
        .value_kind:     by_value
      - .offset:         80
        .size:           4
        .value_kind:     by_value
      - .offset:         84
        .size:           4
        .value_kind:     by_value
      - .offset:         88
        .size:           4
        .value_kind:     by_value
      - .offset:         92
        .size:           12
        .value_kind:     by_value
      - .offset:         104
        .size:           4
        .value_kind:     by_value
      - .offset:         108
        .size:           4
        .value_kind:     by_value
      - .offset:         112
        .size:           4
        .value_kind:     by_value
      - .offset:         116
        .size:           12
        .value_kind:     by_value
      - .offset:         128
        .size:           4
        .value_kind:     by_value
      - .offset:         132
        .size:           4
        .value_kind:     by_value
      - .offset:         136
        .size:           4
        .value_kind:     by_value
      - .offset:         140
        .size:           4
        .value_kind:     by_value
    .group_segment_fixed_size: 0
    .kernarg_segment_align: 8
    .kernarg_segment_size: 144
    .language:       OpenCL C
    .language_version:
      - 2
      - 0
    .max_flat_workgroup_size: 32
    .name:           _ZL13mul_mat_vec_qIL9ggml_type20ELi1ELb1ELb0EEvPKvS2_PKi31ggml_cuda_mm_fusion_args_devicePfj15HIP_vector_typeIjLj3EEjjjS8_jjjS8_jjjj
    .private_segment_fixed_size: 0
    .sgpr_count:     42
    .sgpr_spill_count: 0
    .symbol:         _ZL13mul_mat_vec_qIL9ggml_type20ELi1ELb1ELb0EEvPKvS2_PKi31ggml_cuda_mm_fusion_args_devicePfj15HIP_vector_typeIjLj3EEjjjS8_jjjS8_jjjj.kd
    .uniform_work_group_size: 1
    .uses_dynamic_stack: false
    .vgpr_count:     32
    .vgpr_spill_count: 0
    .wavefront_size: 32
    .workgroup_processor_mode: 1
  - .args:
      - .address_space:  global
        .offset:         0
        .size:           8
        .value_kind:     global_buffer
      - .address_space:  global
        .offset:         8
        .size:           8
        .value_kind:     global_buffer
      - .address_space:  global
        .offset:         16
        .size:           8
        .value_kind:     global_buffer
      - .offset:         24
        .size:           32
        .value_kind:     by_value
      - .address_space:  global
        .offset:         56
        .size:           8
        .value_kind:     global_buffer
      - .offset:         64
        .size:           4
        .value_kind:     by_value
      - .offset:         68
        .size:           12
        .value_kind:     by_value
      - .offset:         80
        .size:           4
        .value_kind:     by_value
      - .offset:         84
        .size:           4
        .value_kind:     by_value
      - .offset:         88
        .size:           4
        .value_kind:     by_value
      - .offset:         92
        .size:           12
        .value_kind:     by_value
      - .offset:         104
        .size:           4
        .value_kind:     by_value
      - .offset:         108
        .size:           4
        .value_kind:     by_value
      - .offset:         112
        .size:           4
        .value_kind:     by_value
      - .offset:         116
        .size:           12
        .value_kind:     by_value
      - .offset:         128
        .size:           4
        .value_kind:     by_value
      - .offset:         132
        .size:           4
        .value_kind:     by_value
      - .offset:         136
        .size:           4
        .value_kind:     by_value
      - .offset:         140
        .size:           4
        .value_kind:     by_value
    .group_segment_fixed_size: 0
    .kernarg_segment_align: 8
    .kernarg_segment_size: 144
    .language:       OpenCL C
    .language_version:
      - 2
      - 0
    .max_flat_workgroup_size: 32
    .name:           _ZL13mul_mat_vec_qIL9ggml_type20ELi1ELb0ELb0EEvPKvS2_PKi31ggml_cuda_mm_fusion_args_devicePfj15HIP_vector_typeIjLj3EEjjjS8_jjjS8_jjjj
    .private_segment_fixed_size: 0
    .sgpr_count:     25
    .sgpr_spill_count: 0
    .symbol:         _ZL13mul_mat_vec_qIL9ggml_type20ELi1ELb0ELb0EEvPKvS2_PKi31ggml_cuda_mm_fusion_args_devicePfj15HIP_vector_typeIjLj3EEjjjS8_jjjS8_jjjj.kd
    .uniform_work_group_size: 1
    .uses_dynamic_stack: false
    .vgpr_count:     26
    .vgpr_spill_count: 0
    .wavefront_size: 32
    .workgroup_processor_mode: 1
  - .args:
      - .address_space:  global
        .offset:         0
        .size:           8
        .value_kind:     global_buffer
      - .address_space:  global
        .offset:         8
        .size:           8
        .value_kind:     global_buffer
      - .address_space:  global
        .offset:         16
        .size:           8
        .value_kind:     global_buffer
      - .offset:         24
        .size:           32
        .value_kind:     by_value
      - .address_space:  global
        .offset:         56
        .size:           8
        .value_kind:     global_buffer
      - .offset:         64
        .size:           4
        .value_kind:     by_value
      - .offset:         68
        .size:           12
        .value_kind:     by_value
      - .offset:         80
        .size:           4
        .value_kind:     by_value
      - .offset:         84
        .size:           4
        .value_kind:     by_value
      - .offset:         88
        .size:           4
        .value_kind:     by_value
      - .offset:         92
        .size:           12
        .value_kind:     by_value
      - .offset:         104
        .size:           4
        .value_kind:     by_value
      - .offset:         108
        .size:           4
        .value_kind:     by_value
      - .offset:         112
        .size:           4
        .value_kind:     by_value
      - .offset:         116
        .size:           12
        .value_kind:     by_value
      - .offset:         128
        .size:           4
        .value_kind:     by_value
      - .offset:         132
        .size:           4
        .value_kind:     by_value
      - .offset:         136
        .size:           4
        .value_kind:     by_value
      - .offset:         140
        .size:           4
        .value_kind:     by_value
    .group_segment_fixed_size: 0
    .kernarg_segment_align: 8
    .kernarg_segment_size: 144
    .language:       OpenCL C
    .language_version:
      - 2
      - 0
    .max_flat_workgroup_size: 32
    .name:           _ZL13mul_mat_vec_qIL9ggml_type20ELi2ELb0ELb0EEvPKvS2_PKi31ggml_cuda_mm_fusion_args_devicePfj15HIP_vector_typeIjLj3EEjjjS8_jjjS8_jjjj
    .private_segment_fixed_size: 0
    .sgpr_count:     29
    .sgpr_spill_count: 0
    .symbol:         _ZL13mul_mat_vec_qIL9ggml_type20ELi2ELb0ELb0EEvPKvS2_PKi31ggml_cuda_mm_fusion_args_devicePfj15HIP_vector_typeIjLj3EEjjjS8_jjjS8_jjjj.kd
    .uniform_work_group_size: 1
    .uses_dynamic_stack: false
    .vgpr_count:     34
    .vgpr_spill_count: 0
    .wavefront_size: 32
    .workgroup_processor_mode: 1
  - .args:
      - .address_space:  global
        .offset:         0
        .size:           8
        .value_kind:     global_buffer
      - .address_space:  global
        .offset:         8
        .size:           8
        .value_kind:     global_buffer
      - .address_space:  global
        .offset:         16
        .size:           8
        .value_kind:     global_buffer
      - .offset:         24
        .size:           32
        .value_kind:     by_value
      - .address_space:  global
        .offset:         56
        .size:           8
        .value_kind:     global_buffer
      - .offset:         64
        .size:           4
        .value_kind:     by_value
      - .offset:         68
        .size:           12
        .value_kind:     by_value
      - .offset:         80
        .size:           4
        .value_kind:     by_value
      - .offset:         84
        .size:           4
        .value_kind:     by_value
      - .offset:         88
        .size:           4
        .value_kind:     by_value
      - .offset:         92
        .size:           12
        .value_kind:     by_value
      - .offset:         104
        .size:           4
        .value_kind:     by_value
      - .offset:         108
        .size:           4
        .value_kind:     by_value
      - .offset:         112
        .size:           4
        .value_kind:     by_value
      - .offset:         116
        .size:           12
        .value_kind:     by_value
      - .offset:         128
        .size:           4
        .value_kind:     by_value
      - .offset:         132
        .size:           4
        .value_kind:     by_value
      - .offset:         136
        .size:           4
        .value_kind:     by_value
      - .offset:         140
        .size:           4
        .value_kind:     by_value
    .group_segment_fixed_size: 0
    .kernarg_segment_align: 8
    .kernarg_segment_size: 144
    .language:       OpenCL C
    .language_version:
      - 2
      - 0
    .max_flat_workgroup_size: 32
    .name:           _ZL13mul_mat_vec_qIL9ggml_type20ELi3ELb0ELb0EEvPKvS2_PKi31ggml_cuda_mm_fusion_args_devicePfj15HIP_vector_typeIjLj3EEjjjS8_jjjS8_jjjj
    .private_segment_fixed_size: 0
    .sgpr_count:     28
    .sgpr_spill_count: 0
    .symbol:         _ZL13mul_mat_vec_qIL9ggml_type20ELi3ELb0ELb0EEvPKvS2_PKi31ggml_cuda_mm_fusion_args_devicePfj15HIP_vector_typeIjLj3EEjjjS8_jjjS8_jjjj.kd
    .uniform_work_group_size: 1
    .uses_dynamic_stack: false
    .vgpr_count:     41
    .vgpr_spill_count: 0
    .wavefront_size: 32
    .workgroup_processor_mode: 1
  - .args:
      - .address_space:  global
        .offset:         0
        .size:           8
        .value_kind:     global_buffer
      - .address_space:  global
        .offset:         8
        .size:           8
        .value_kind:     global_buffer
      - .address_space:  global
        .offset:         16
        .size:           8
        .value_kind:     global_buffer
      - .offset:         24
        .size:           32
        .value_kind:     by_value
      - .address_space:  global
        .offset:         56
        .size:           8
        .value_kind:     global_buffer
      - .offset:         64
        .size:           4
        .value_kind:     by_value
      - .offset:         68
        .size:           12
        .value_kind:     by_value
      - .offset:         80
        .size:           4
        .value_kind:     by_value
      - .offset:         84
        .size:           4
        .value_kind:     by_value
      - .offset:         88
        .size:           4
        .value_kind:     by_value
      - .offset:         92
        .size:           12
        .value_kind:     by_value
      - .offset:         104
        .size:           4
        .value_kind:     by_value
      - .offset:         108
        .size:           4
        .value_kind:     by_value
      - .offset:         112
        .size:           4
        .value_kind:     by_value
      - .offset:         116
        .size:           12
        .value_kind:     by_value
      - .offset:         128
        .size:           4
        .value_kind:     by_value
      - .offset:         132
        .size:           4
        .value_kind:     by_value
      - .offset:         136
        .size:           4
        .value_kind:     by_value
      - .offset:         140
        .size:           4
        .value_kind:     by_value
    .group_segment_fixed_size: 0
    .kernarg_segment_align: 8
    .kernarg_segment_size: 144
    .language:       OpenCL C
    .language_version:
      - 2
      - 0
    .max_flat_workgroup_size: 32
    .name:           _ZL13mul_mat_vec_qIL9ggml_type20ELi4ELb0ELb0EEvPKvS2_PKi31ggml_cuda_mm_fusion_args_devicePfj15HIP_vector_typeIjLj3EEjjjS8_jjjS8_jjjj
    .private_segment_fixed_size: 0
    .sgpr_count:     28
    .sgpr_spill_count: 0
    .symbol:         _ZL13mul_mat_vec_qIL9ggml_type20ELi4ELb0ELb0EEvPKvS2_PKi31ggml_cuda_mm_fusion_args_devicePfj15HIP_vector_typeIjLj3EEjjjS8_jjjS8_jjjj.kd
    .uniform_work_group_size: 1
    .uses_dynamic_stack: false
    .vgpr_count:     48
    .vgpr_spill_count: 0
    .wavefront_size: 32
    .workgroup_processor_mode: 1
  - .args:
      - .address_space:  global
        .offset:         0
        .size:           8
        .value_kind:     global_buffer
      - .address_space:  global
        .offset:         8
        .size:           8
        .value_kind:     global_buffer
      - .address_space:  global
        .offset:         16
        .size:           8
        .value_kind:     global_buffer
      - .offset:         24
        .size:           32
        .value_kind:     by_value
      - .address_space:  global
        .offset:         56
        .size:           8
        .value_kind:     global_buffer
      - .offset:         64
        .size:           4
        .value_kind:     by_value
      - .offset:         68
        .size:           12
        .value_kind:     by_value
      - .offset:         80
        .size:           4
        .value_kind:     by_value
      - .offset:         84
        .size:           4
        .value_kind:     by_value
      - .offset:         88
        .size:           4
        .value_kind:     by_value
      - .offset:         92
        .size:           12
        .value_kind:     by_value
      - .offset:         104
        .size:           4
        .value_kind:     by_value
      - .offset:         108
        .size:           4
        .value_kind:     by_value
      - .offset:         112
        .size:           4
        .value_kind:     by_value
      - .offset:         116
        .size:           12
        .value_kind:     by_value
      - .offset:         128
        .size:           4
        .value_kind:     by_value
      - .offset:         132
        .size:           4
        .value_kind:     by_value
      - .offset:         136
        .size:           4
        .value_kind:     by_value
      - .offset:         140
        .size:           4
        .value_kind:     by_value
    .group_segment_fixed_size: 0
    .kernarg_segment_align: 8
    .kernarg_segment_size: 144
    .language:       OpenCL C
    .language_version:
      - 2
      - 0
    .max_flat_workgroup_size: 32
    .name:           _ZL13mul_mat_vec_qIL9ggml_type20ELi5ELb0ELb0EEvPKvS2_PKi31ggml_cuda_mm_fusion_args_devicePfj15HIP_vector_typeIjLj3EEjjjS8_jjjS8_jjjj
    .private_segment_fixed_size: 0
    .sgpr_count:     28
    .sgpr_spill_count: 0
    .symbol:         _ZL13mul_mat_vec_qIL9ggml_type20ELi5ELb0ELb0EEvPKvS2_PKi31ggml_cuda_mm_fusion_args_devicePfj15HIP_vector_typeIjLj3EEjjjS8_jjjS8_jjjj.kd
    .uniform_work_group_size: 1
    .uses_dynamic_stack: false
    .vgpr_count:     55
    .vgpr_spill_count: 0
    .wavefront_size: 32
    .workgroup_processor_mode: 1
  - .args:
      - .address_space:  global
        .offset:         0
        .size:           8
        .value_kind:     global_buffer
      - .address_space:  global
        .offset:         8
        .size:           8
        .value_kind:     global_buffer
      - .address_space:  global
        .offset:         16
        .size:           8
        .value_kind:     global_buffer
      - .offset:         24
        .size:           32
        .value_kind:     by_value
      - .address_space:  global
        .offset:         56
        .size:           8
        .value_kind:     global_buffer
      - .offset:         64
        .size:           4
        .value_kind:     by_value
      - .offset:         68
        .size:           12
        .value_kind:     by_value
      - .offset:         80
        .size:           4
        .value_kind:     by_value
      - .offset:         84
        .size:           4
        .value_kind:     by_value
      - .offset:         88
        .size:           4
        .value_kind:     by_value
      - .offset:         92
        .size:           12
        .value_kind:     by_value
      - .offset:         104
        .size:           4
        .value_kind:     by_value
      - .offset:         108
        .size:           4
        .value_kind:     by_value
      - .offset:         112
        .size:           4
        .value_kind:     by_value
      - .offset:         116
        .size:           12
        .value_kind:     by_value
      - .offset:         128
        .size:           4
        .value_kind:     by_value
      - .offset:         132
        .size:           4
        .value_kind:     by_value
      - .offset:         136
        .size:           4
        .value_kind:     by_value
      - .offset:         140
        .size:           4
        .value_kind:     by_value
    .group_segment_fixed_size: 0
    .kernarg_segment_align: 8
    .kernarg_segment_size: 144
    .language:       OpenCL C
    .language_version:
      - 2
      - 0
    .max_flat_workgroup_size: 32
    .name:           _ZL13mul_mat_vec_qIL9ggml_type20ELi6ELb0ELb0EEvPKvS2_PKi31ggml_cuda_mm_fusion_args_devicePfj15HIP_vector_typeIjLj3EEjjjS8_jjjS8_jjjj
    .private_segment_fixed_size: 0
    .sgpr_count:     28
    .sgpr_spill_count: 0
    .symbol:         _ZL13mul_mat_vec_qIL9ggml_type20ELi6ELb0ELb0EEvPKvS2_PKi31ggml_cuda_mm_fusion_args_devicePfj15HIP_vector_typeIjLj3EEjjjS8_jjjS8_jjjj.kd
    .uniform_work_group_size: 1
    .uses_dynamic_stack: false
    .vgpr_count:     62
    .vgpr_spill_count: 0
    .wavefront_size: 32
    .workgroup_processor_mode: 1
  - .args:
      - .address_space:  global
        .offset:         0
        .size:           8
        .value_kind:     global_buffer
      - .address_space:  global
        .offset:         8
        .size:           8
        .value_kind:     global_buffer
      - .address_space:  global
        .offset:         16
        .size:           8
        .value_kind:     global_buffer
      - .offset:         24
        .size:           32
        .value_kind:     by_value
      - .address_space:  global
        .offset:         56
        .size:           8
        .value_kind:     global_buffer
      - .offset:         64
        .size:           4
        .value_kind:     by_value
      - .offset:         68
        .size:           12
        .value_kind:     by_value
      - .offset:         80
        .size:           4
        .value_kind:     by_value
      - .offset:         84
        .size:           4
        .value_kind:     by_value
      - .offset:         88
        .size:           4
        .value_kind:     by_value
      - .offset:         92
        .size:           12
        .value_kind:     by_value
      - .offset:         104
        .size:           4
        .value_kind:     by_value
      - .offset:         108
        .size:           4
        .value_kind:     by_value
      - .offset:         112
        .size:           4
        .value_kind:     by_value
      - .offset:         116
        .size:           12
        .value_kind:     by_value
      - .offset:         128
        .size:           4
        .value_kind:     by_value
      - .offset:         132
        .size:           4
        .value_kind:     by_value
      - .offset:         136
        .size:           4
        .value_kind:     by_value
      - .offset:         140
        .size:           4
        .value_kind:     by_value
    .group_segment_fixed_size: 0
    .kernarg_segment_align: 8
    .kernarg_segment_size: 144
    .language:       OpenCL C
    .language_version:
      - 2
      - 0
    .max_flat_workgroup_size: 32
    .name:           _ZL13mul_mat_vec_qIL9ggml_type20ELi7ELb0ELb0EEvPKvS2_PKi31ggml_cuda_mm_fusion_args_devicePfj15HIP_vector_typeIjLj3EEjjjS8_jjjS8_jjjj
    .private_segment_fixed_size: 0
    .sgpr_count:     28
    .sgpr_spill_count: 0
    .symbol:         _ZL13mul_mat_vec_qIL9ggml_type20ELi7ELb0ELb0EEvPKvS2_PKi31ggml_cuda_mm_fusion_args_devicePfj15HIP_vector_typeIjLj3EEjjjS8_jjjS8_jjjj.kd
    .uniform_work_group_size: 1
    .uses_dynamic_stack: false
    .vgpr_count:     62
    .vgpr_spill_count: 0
    .wavefront_size: 32
    .workgroup_processor_mode: 1
  - .args:
      - .address_space:  global
        .offset:         0
        .size:           8
        .value_kind:     global_buffer
      - .address_space:  global
        .offset:         8
        .size:           8
        .value_kind:     global_buffer
      - .address_space:  global
        .offset:         16
        .size:           8
        .value_kind:     global_buffer
      - .offset:         24
        .size:           32
        .value_kind:     by_value
      - .address_space:  global
        .offset:         56
        .size:           8
        .value_kind:     global_buffer
      - .offset:         64
        .size:           4
        .value_kind:     by_value
      - .offset:         68
        .size:           12
        .value_kind:     by_value
      - .offset:         80
        .size:           4
        .value_kind:     by_value
      - .offset:         84
        .size:           4
        .value_kind:     by_value
      - .offset:         88
        .size:           4
        .value_kind:     by_value
      - .offset:         92
        .size:           12
        .value_kind:     by_value
      - .offset:         104
        .size:           4
        .value_kind:     by_value
      - .offset:         108
        .size:           4
        .value_kind:     by_value
      - .offset:         112
        .size:           4
        .value_kind:     by_value
      - .offset:         116
        .size:           12
        .value_kind:     by_value
      - .offset:         128
        .size:           4
        .value_kind:     by_value
      - .offset:         132
        .size:           4
        .value_kind:     by_value
      - .offset:         136
        .size:           4
        .value_kind:     by_value
      - .offset:         140
        .size:           4
        .value_kind:     by_value
    .group_segment_fixed_size: 0
    .kernarg_segment_align: 8
    .kernarg_segment_size: 144
    .language:       OpenCL C
    .language_version:
      - 2
      - 0
    .max_flat_workgroup_size: 32
    .name:           _ZL13mul_mat_vec_qIL9ggml_type20ELi8ELb0ELb0EEvPKvS2_PKi31ggml_cuda_mm_fusion_args_devicePfj15HIP_vector_typeIjLj3EEjjjS8_jjjS8_jjjj
    .private_segment_fixed_size: 0
    .sgpr_count:     28
    .sgpr_spill_count: 0
    .symbol:         _ZL13mul_mat_vec_qIL9ggml_type20ELi8ELb0ELb0EEvPKvS2_PKi31ggml_cuda_mm_fusion_args_devicePfj15HIP_vector_typeIjLj3EEjjjS8_jjjS8_jjjj.kd
    .uniform_work_group_size: 1
    .uses_dynamic_stack: false
    .vgpr_count:     69
    .vgpr_spill_count: 0
    .wavefront_size: 32
    .workgroup_processor_mode: 1
  - .args:
      - .address_space:  global
        .offset:         0
        .size:           8
        .value_kind:     global_buffer
      - .address_space:  global
        .offset:         8
        .size:           8
        .value_kind:     global_buffer
      - .address_space:  global
        .offset:         16
        .size:           8
        .value_kind:     global_buffer
      - .address_space:  global
        .offset:         24
        .size:           8
        .value_kind:     global_buffer
      - .offset:         32
        .size:           4
        .value_kind:     by_value
      - .offset:         36
        .size:           12
        .value_kind:     by_value
      - .offset:         48
        .size:           4
        .value_kind:     by_value
      - .offset:         52
        .size:           4
        .value_kind:     by_value
      - .offset:         56
        .size:           4
        .value_kind:     by_value
      - .offset:         60
        .size:           4
        .value_kind:     by_value
      - .offset:         64
        .size:           4
        .value_kind:     by_value
      - .offset:         68
        .size:           4
        .value_kind:     by_value
      - .offset:         72
        .size:           4
        .value_kind:     by_value
      - .offset:         76
        .size:           4
        .value_kind:     by_value
      - .offset:         80
        .size:           4
        .value_kind:     by_value
    .group_segment_fixed_size: 0
    .kernarg_segment_align: 8
    .kernarg_segment_size: 84
    .language:       OpenCL C
    .language_version:
      - 2
      - 0
    .max_flat_workgroup_size: 256
    .name:           _ZL17mul_mat_vec_q_moeIL9ggml_type23ELi2EEvPKvS2_PKiPfj15HIP_vector_typeIjLj3EEjjjjjjjjj
    .private_segment_fixed_size: 0
    .sgpr_count:     30
    .sgpr_spill_count: 0
    .symbol:         _ZL17mul_mat_vec_q_moeIL9ggml_type23ELi2EEvPKvS2_PKiPfj15HIP_vector_typeIjLj3EEjjjjjjjjj.kd
    .uniform_work_group_size: 1
    .uses_dynamic_stack: false
    .vgpr_count:     59
    .vgpr_spill_count: 0
    .wavefront_size: 32
    .workgroup_processor_mode: 1
  - .args:
      - .address_space:  global
        .offset:         0
        .size:           8
        .value_kind:     global_buffer
      - .address_space:  global
        .offset:         8
        .size:           8
        .value_kind:     global_buffer
      - .address_space:  global
        .offset:         16
        .size:           8
        .value_kind:     global_buffer
      - .offset:         24
        .size:           32
        .value_kind:     by_value
      - .address_space:  global
        .offset:         56
        .size:           8
        .value_kind:     global_buffer
      - .offset:         64
        .size:           4
        .value_kind:     by_value
      - .offset:         68
        .size:           12
        .value_kind:     by_value
      - .offset:         80
        .size:           4
        .value_kind:     by_value
      - .offset:         84
        .size:           4
        .value_kind:     by_value
      - .offset:         88
        .size:           4
        .value_kind:     by_value
      - .offset:         92
        .size:           12
        .value_kind:     by_value
      - .offset:         104
        .size:           4
        .value_kind:     by_value
      - .offset:         108
        .size:           4
        .value_kind:     by_value
      - .offset:         112
        .size:           4
        .value_kind:     by_value
      - .offset:         116
        .size:           12
        .value_kind:     by_value
      - .offset:         128
        .size:           4
        .value_kind:     by_value
      - .offset:         132
        .size:           4
        .value_kind:     by_value
      - .offset:         136
        .size:           4
        .value_kind:     by_value
      - .offset:         140
        .size:           4
        .value_kind:     by_value
    .group_segment_fixed_size: 0
    .kernarg_segment_align: 8
    .kernarg_segment_size: 144
    .language:       OpenCL C
    .language_version:
      - 2
      - 0
    .max_flat_workgroup_size: 32
    .name:           _ZL13mul_mat_vec_qIL9ggml_type23ELi1ELb1ELb1EEvPKvS2_PKi31ggml_cuda_mm_fusion_args_devicePfj15HIP_vector_typeIjLj3EEjjjS8_jjjS8_jjjj
    .private_segment_fixed_size: 0
    .sgpr_count:     42
    .sgpr_spill_count: 0
    .symbol:         _ZL13mul_mat_vec_qIL9ggml_type23ELi1ELb1ELb1EEvPKvS2_PKi31ggml_cuda_mm_fusion_args_devicePfj15HIP_vector_typeIjLj3EEjjjS8_jjjS8_jjjj.kd
    .uniform_work_group_size: 1
    .uses_dynamic_stack: false
    .vgpr_count:     51
    .vgpr_spill_count: 0
    .wavefront_size: 32
    .workgroup_processor_mode: 1
  - .args:
      - .address_space:  global
        .offset:         0
        .size:           8
        .value_kind:     global_buffer
      - .address_space:  global
        .offset:         8
        .size:           8
        .value_kind:     global_buffer
      - .address_space:  global
        .offset:         16
        .size:           8
        .value_kind:     global_buffer
      - .offset:         24
        .size:           32
        .value_kind:     by_value
      - .address_space:  global
        .offset:         56
        .size:           8
        .value_kind:     global_buffer
      - .offset:         64
        .size:           4
        .value_kind:     by_value
      - .offset:         68
        .size:           12
        .value_kind:     by_value
      - .offset:         80
        .size:           4
        .value_kind:     by_value
      - .offset:         84
        .size:           4
        .value_kind:     by_value
      - .offset:         88
        .size:           4
        .value_kind:     by_value
      - .offset:         92
        .size:           12
        .value_kind:     by_value
      - .offset:         104
        .size:           4
        .value_kind:     by_value
      - .offset:         108
        .size:           4
        .value_kind:     by_value
      - .offset:         112
        .size:           4
        .value_kind:     by_value
      - .offset:         116
        .size:           12
        .value_kind:     by_value
      - .offset:         128
        .size:           4
        .value_kind:     by_value
      - .offset:         132
        .size:           4
        .value_kind:     by_value
      - .offset:         136
        .size:           4
        .value_kind:     by_value
      - .offset:         140
        .size:           4
        .value_kind:     by_value
    .group_segment_fixed_size: 0
    .kernarg_segment_align: 8
    .kernarg_segment_size: 144
    .language:       OpenCL C
    .language_version:
      - 2
      - 0
    .max_flat_workgroup_size: 32
    .name:           _ZL13mul_mat_vec_qIL9ggml_type23ELi1ELb0ELb1EEvPKvS2_PKi31ggml_cuda_mm_fusion_args_devicePfj15HIP_vector_typeIjLj3EEjjjS8_jjjS8_jjjj
    .private_segment_fixed_size: 0
    .sgpr_count:     24
    .sgpr_spill_count: 0
    .symbol:         _ZL13mul_mat_vec_qIL9ggml_type23ELi1ELb0ELb1EEvPKvS2_PKi31ggml_cuda_mm_fusion_args_devicePfj15HIP_vector_typeIjLj3EEjjjS8_jjjS8_jjjj.kd
    .uniform_work_group_size: 1
    .uses_dynamic_stack: false
    .vgpr_count:     44
    .vgpr_spill_count: 0
    .wavefront_size: 32
    .workgroup_processor_mode: 1
  - .args:
      - .address_space:  global
        .offset:         0
        .size:           8
        .value_kind:     global_buffer
      - .address_space:  global
        .offset:         8
        .size:           8
        .value_kind:     global_buffer
      - .address_space:  global
        .offset:         16
        .size:           8
        .value_kind:     global_buffer
      - .offset:         24
        .size:           32
        .value_kind:     by_value
      - .address_space:  global
        .offset:         56
        .size:           8
        .value_kind:     global_buffer
      - .offset:         64
        .size:           4
        .value_kind:     by_value
      - .offset:         68
        .size:           12
        .value_kind:     by_value
      - .offset:         80
        .size:           4
        .value_kind:     by_value
      - .offset:         84
        .size:           4
        .value_kind:     by_value
      - .offset:         88
        .size:           4
        .value_kind:     by_value
      - .offset:         92
        .size:           12
        .value_kind:     by_value
      - .offset:         104
        .size:           4
        .value_kind:     by_value
      - .offset:         108
        .size:           4
        .value_kind:     by_value
      - .offset:         112
        .size:           4
        .value_kind:     by_value
      - .offset:         116
        .size:           12
        .value_kind:     by_value
      - .offset:         128
        .size:           4
        .value_kind:     by_value
      - .offset:         132
        .size:           4
        .value_kind:     by_value
      - .offset:         136
        .size:           4
        .value_kind:     by_value
      - .offset:         140
        .size:           4
        .value_kind:     by_value
    .group_segment_fixed_size: 0
    .kernarg_segment_align: 8
    .kernarg_segment_size: 144
    .language:       OpenCL C
    .language_version:
      - 2
      - 0
    .max_flat_workgroup_size: 32
    .name:           _ZL13mul_mat_vec_qIL9ggml_type23ELi1ELb1ELb0EEvPKvS2_PKi31ggml_cuda_mm_fusion_args_devicePfj15HIP_vector_typeIjLj3EEjjjS8_jjjS8_jjjj
    .private_segment_fixed_size: 0
    .sgpr_count:     42
    .sgpr_spill_count: 0
    .symbol:         _ZL13mul_mat_vec_qIL9ggml_type23ELi1ELb1ELb0EEvPKvS2_PKi31ggml_cuda_mm_fusion_args_devicePfj15HIP_vector_typeIjLj3EEjjjS8_jjjS8_jjjj.kd
    .uniform_work_group_size: 1
    .uses_dynamic_stack: false
    .vgpr_count:     51
    .vgpr_spill_count: 0
    .wavefront_size: 32
    .workgroup_processor_mode: 1
  - .args:
      - .address_space:  global
        .offset:         0
        .size:           8
        .value_kind:     global_buffer
      - .address_space:  global
        .offset:         8
        .size:           8
        .value_kind:     global_buffer
      - .address_space:  global
        .offset:         16
        .size:           8
        .value_kind:     global_buffer
      - .offset:         24
        .size:           32
        .value_kind:     by_value
      - .address_space:  global
        .offset:         56
        .size:           8
        .value_kind:     global_buffer
      - .offset:         64
        .size:           4
        .value_kind:     by_value
      - .offset:         68
        .size:           12
        .value_kind:     by_value
      - .offset:         80
        .size:           4
        .value_kind:     by_value
      - .offset:         84
        .size:           4
        .value_kind:     by_value
      - .offset:         88
        .size:           4
        .value_kind:     by_value
      - .offset:         92
        .size:           12
        .value_kind:     by_value
      - .offset:         104
        .size:           4
        .value_kind:     by_value
      - .offset:         108
        .size:           4
        .value_kind:     by_value
      - .offset:         112
        .size:           4
        .value_kind:     by_value
      - .offset:         116
        .size:           12
        .value_kind:     by_value
      - .offset:         128
        .size:           4
        .value_kind:     by_value
      - .offset:         132
        .size:           4
        .value_kind:     by_value
      - .offset:         136
        .size:           4
        .value_kind:     by_value
      - .offset:         140
        .size:           4
        .value_kind:     by_value
    .group_segment_fixed_size: 0
    .kernarg_segment_align: 8
    .kernarg_segment_size: 144
    .language:       OpenCL C
    .language_version:
      - 2
      - 0
    .max_flat_workgroup_size: 32
    .name:           _ZL13mul_mat_vec_qIL9ggml_type23ELi1ELb0ELb0EEvPKvS2_PKi31ggml_cuda_mm_fusion_args_devicePfj15HIP_vector_typeIjLj3EEjjjS8_jjjS8_jjjj
    .private_segment_fixed_size: 0
    .sgpr_count:     24
    .sgpr_spill_count: 0
    .symbol:         _ZL13mul_mat_vec_qIL9ggml_type23ELi1ELb0ELb0EEvPKvS2_PKi31ggml_cuda_mm_fusion_args_devicePfj15HIP_vector_typeIjLj3EEjjjS8_jjjS8_jjjj.kd
    .uniform_work_group_size: 1
    .uses_dynamic_stack: false
    .vgpr_count:     44
    .vgpr_spill_count: 0
    .wavefront_size: 32
    .workgroup_processor_mode: 1
  - .args:
      - .address_space:  global
        .offset:         0
        .size:           8
        .value_kind:     global_buffer
      - .address_space:  global
        .offset:         8
        .size:           8
        .value_kind:     global_buffer
      - .address_space:  global
        .offset:         16
        .size:           8
        .value_kind:     global_buffer
      - .offset:         24
        .size:           32
        .value_kind:     by_value
      - .address_space:  global
        .offset:         56
        .size:           8
        .value_kind:     global_buffer
      - .offset:         64
        .size:           4
        .value_kind:     by_value
      - .offset:         68
        .size:           12
        .value_kind:     by_value
      - .offset:         80
        .size:           4
        .value_kind:     by_value
      - .offset:         84
        .size:           4
        .value_kind:     by_value
      - .offset:         88
        .size:           4
        .value_kind:     by_value
      - .offset:         92
        .size:           12
        .value_kind:     by_value
      - .offset:         104
        .size:           4
        .value_kind:     by_value
      - .offset:         108
        .size:           4
        .value_kind:     by_value
      - .offset:         112
        .size:           4
        .value_kind:     by_value
      - .offset:         116
        .size:           12
        .value_kind:     by_value
      - .offset:         128
        .size:           4
        .value_kind:     by_value
      - .offset:         132
        .size:           4
        .value_kind:     by_value
      - .offset:         136
        .size:           4
        .value_kind:     by_value
      - .offset:         140
        .size:           4
        .value_kind:     by_value
    .group_segment_fixed_size: 0
    .kernarg_segment_align: 8
    .kernarg_segment_size: 144
    .language:       OpenCL C
    .language_version:
      - 2
      - 0
    .max_flat_workgroup_size: 32
    .name:           _ZL13mul_mat_vec_qIL9ggml_type23ELi2ELb0ELb0EEvPKvS2_PKi31ggml_cuda_mm_fusion_args_devicePfj15HIP_vector_typeIjLj3EEjjjS8_jjjS8_jjjj
    .private_segment_fixed_size: 0
    .sgpr_count:     30
    .sgpr_spill_count: 0
    .symbol:         _ZL13mul_mat_vec_qIL9ggml_type23ELi2ELb0ELb0EEvPKvS2_PKi31ggml_cuda_mm_fusion_args_devicePfj15HIP_vector_typeIjLj3EEjjjS8_jjjS8_jjjj.kd
    .uniform_work_group_size: 1
    .uses_dynamic_stack: false
    .vgpr_count:     58
    .vgpr_spill_count: 0
    .wavefront_size: 32
    .workgroup_processor_mode: 1
  - .args:
      - .address_space:  global
        .offset:         0
        .size:           8
        .value_kind:     global_buffer
      - .address_space:  global
        .offset:         8
        .size:           8
        .value_kind:     global_buffer
      - .address_space:  global
        .offset:         16
        .size:           8
        .value_kind:     global_buffer
      - .offset:         24
        .size:           32
        .value_kind:     by_value
      - .address_space:  global
        .offset:         56
        .size:           8
        .value_kind:     global_buffer
      - .offset:         64
        .size:           4
        .value_kind:     by_value
      - .offset:         68
        .size:           12
        .value_kind:     by_value
      - .offset:         80
        .size:           4
        .value_kind:     by_value
      - .offset:         84
        .size:           4
        .value_kind:     by_value
      - .offset:         88
        .size:           4
        .value_kind:     by_value
      - .offset:         92
        .size:           12
        .value_kind:     by_value
      - .offset:         104
        .size:           4
        .value_kind:     by_value
      - .offset:         108
        .size:           4
        .value_kind:     by_value
      - .offset:         112
        .size:           4
        .value_kind:     by_value
      - .offset:         116
        .size:           12
        .value_kind:     by_value
      - .offset:         128
        .size:           4
        .value_kind:     by_value
      - .offset:         132
        .size:           4
        .value_kind:     by_value
      - .offset:         136
        .size:           4
        .value_kind:     by_value
      - .offset:         140
        .size:           4
        .value_kind:     by_value
    .group_segment_fixed_size: 0
    .kernarg_segment_align: 8
    .kernarg_segment_size: 144
    .language:       OpenCL C
    .language_version:
      - 2
      - 0
    .max_flat_workgroup_size: 32
    .name:           _ZL13mul_mat_vec_qIL9ggml_type23ELi3ELb0ELb0EEvPKvS2_PKi31ggml_cuda_mm_fusion_args_devicePfj15HIP_vector_typeIjLj3EEjjjS8_jjjS8_jjjj
    .private_segment_fixed_size: 0
    .sgpr_count:     30
    .sgpr_spill_count: 0
    .symbol:         _ZL13mul_mat_vec_qIL9ggml_type23ELi3ELb0ELb0EEvPKvS2_PKi31ggml_cuda_mm_fusion_args_devicePfj15HIP_vector_typeIjLj3EEjjjS8_jjjS8_jjjj.kd
    .uniform_work_group_size: 1
    .uses_dynamic_stack: false
    .vgpr_count:     61
    .vgpr_spill_count: 0
    .wavefront_size: 32
    .workgroup_processor_mode: 1
  - .args:
      - .address_space:  global
        .offset:         0
        .size:           8
        .value_kind:     global_buffer
      - .address_space:  global
        .offset:         8
        .size:           8
        .value_kind:     global_buffer
      - .address_space:  global
        .offset:         16
        .size:           8
        .value_kind:     global_buffer
      - .offset:         24
        .size:           32
        .value_kind:     by_value
      - .address_space:  global
        .offset:         56
        .size:           8
        .value_kind:     global_buffer
      - .offset:         64
        .size:           4
        .value_kind:     by_value
      - .offset:         68
        .size:           12
        .value_kind:     by_value
      - .offset:         80
        .size:           4
        .value_kind:     by_value
      - .offset:         84
        .size:           4
        .value_kind:     by_value
      - .offset:         88
        .size:           4
        .value_kind:     by_value
      - .offset:         92
        .size:           12
        .value_kind:     by_value
      - .offset:         104
        .size:           4
        .value_kind:     by_value
      - .offset:         108
        .size:           4
        .value_kind:     by_value
      - .offset:         112
        .size:           4
        .value_kind:     by_value
      - .offset:         116
        .size:           12
        .value_kind:     by_value
      - .offset:         128
        .size:           4
        .value_kind:     by_value
      - .offset:         132
        .size:           4
        .value_kind:     by_value
      - .offset:         136
        .size:           4
        .value_kind:     by_value
      - .offset:         140
        .size:           4
        .value_kind:     by_value
    .group_segment_fixed_size: 0
    .kernarg_segment_align: 8
    .kernarg_segment_size: 144
    .language:       OpenCL C
    .language_version:
      - 2
      - 0
    .max_flat_workgroup_size: 32
    .name:           _ZL13mul_mat_vec_qIL9ggml_type23ELi4ELb0ELb0EEvPKvS2_PKi31ggml_cuda_mm_fusion_args_devicePfj15HIP_vector_typeIjLj3EEjjjS8_jjjS8_jjjj
    .private_segment_fixed_size: 0
    .sgpr_count:     30
    .sgpr_spill_count: 0
    .symbol:         _ZL13mul_mat_vec_qIL9ggml_type23ELi4ELb0ELb0EEvPKvS2_PKi31ggml_cuda_mm_fusion_args_devicePfj15HIP_vector_typeIjLj3EEjjjS8_jjjS8_jjjj.kd
    .uniform_work_group_size: 1
    .uses_dynamic_stack: false
    .vgpr_count:     61
    .vgpr_spill_count: 0
    .wavefront_size: 32
    .workgroup_processor_mode: 1
  - .args:
      - .address_space:  global
        .offset:         0
        .size:           8
        .value_kind:     global_buffer
      - .address_space:  global
        .offset:         8
        .size:           8
        .value_kind:     global_buffer
      - .address_space:  global
        .offset:         16
        .size:           8
        .value_kind:     global_buffer
      - .offset:         24
        .size:           32
        .value_kind:     by_value
      - .address_space:  global
        .offset:         56
        .size:           8
        .value_kind:     global_buffer
      - .offset:         64
        .size:           4
        .value_kind:     by_value
      - .offset:         68
        .size:           12
        .value_kind:     by_value
      - .offset:         80
        .size:           4
        .value_kind:     by_value
      - .offset:         84
        .size:           4
        .value_kind:     by_value
      - .offset:         88
        .size:           4
        .value_kind:     by_value
      - .offset:         92
        .size:           12
        .value_kind:     by_value
      - .offset:         104
        .size:           4
        .value_kind:     by_value
      - .offset:         108
        .size:           4
        .value_kind:     by_value
      - .offset:         112
        .size:           4
        .value_kind:     by_value
      - .offset:         116
        .size:           12
        .value_kind:     by_value
      - .offset:         128
        .size:           4
        .value_kind:     by_value
      - .offset:         132
        .size:           4
        .value_kind:     by_value
      - .offset:         136
        .size:           4
        .value_kind:     by_value
      - .offset:         140
        .size:           4
        .value_kind:     by_value
    .group_segment_fixed_size: 0
    .kernarg_segment_align: 8
    .kernarg_segment_size: 144
    .language:       OpenCL C
    .language_version:
      - 2
      - 0
    .max_flat_workgroup_size: 32
    .name:           _ZL13mul_mat_vec_qIL9ggml_type23ELi5ELb0ELb0EEvPKvS2_PKi31ggml_cuda_mm_fusion_args_devicePfj15HIP_vector_typeIjLj3EEjjjS8_jjjS8_jjjj
    .private_segment_fixed_size: 0
    .sgpr_count:     30
    .sgpr_spill_count: 0
    .symbol:         _ZL13mul_mat_vec_qIL9ggml_type23ELi5ELb0ELb0EEvPKvS2_PKi31ggml_cuda_mm_fusion_args_devicePfj15HIP_vector_typeIjLj3EEjjjS8_jjjS8_jjjj.kd
    .uniform_work_group_size: 1
    .uses_dynamic_stack: false
    .vgpr_count:     63
    .vgpr_spill_count: 0
    .wavefront_size: 32
    .workgroup_processor_mode: 1
  - .args:
      - .address_space:  global
        .offset:         0
        .size:           8
        .value_kind:     global_buffer
      - .address_space:  global
        .offset:         8
        .size:           8
        .value_kind:     global_buffer
      - .address_space:  global
        .offset:         16
        .size:           8
        .value_kind:     global_buffer
      - .offset:         24
        .size:           32
        .value_kind:     by_value
      - .address_space:  global
        .offset:         56
        .size:           8
        .value_kind:     global_buffer
      - .offset:         64
        .size:           4
        .value_kind:     by_value
      - .offset:         68
        .size:           12
        .value_kind:     by_value
      - .offset:         80
        .size:           4
        .value_kind:     by_value
      - .offset:         84
        .size:           4
        .value_kind:     by_value
      - .offset:         88
        .size:           4
        .value_kind:     by_value
      - .offset:         92
        .size:           12
        .value_kind:     by_value
      - .offset:         104
        .size:           4
        .value_kind:     by_value
      - .offset:         108
        .size:           4
        .value_kind:     by_value
      - .offset:         112
        .size:           4
        .value_kind:     by_value
      - .offset:         116
        .size:           12
        .value_kind:     by_value
      - .offset:         128
        .size:           4
        .value_kind:     by_value
      - .offset:         132
        .size:           4
        .value_kind:     by_value
      - .offset:         136
        .size:           4
        .value_kind:     by_value
      - .offset:         140
        .size:           4
        .value_kind:     by_value
    .group_segment_fixed_size: 0
    .kernarg_segment_align: 8
    .kernarg_segment_size: 144
    .language:       OpenCL C
    .language_version:
      - 2
      - 0
    .max_flat_workgroup_size: 32
    .name:           _ZL13mul_mat_vec_qIL9ggml_type23ELi6ELb0ELb0EEvPKvS2_PKi31ggml_cuda_mm_fusion_args_devicePfj15HIP_vector_typeIjLj3EEjjjS8_jjjS8_jjjj
    .private_segment_fixed_size: 0
    .sgpr_count:     30
    .sgpr_spill_count: 0
    .symbol:         _ZL13mul_mat_vec_qIL9ggml_type23ELi6ELb0ELb0EEvPKvS2_PKi31ggml_cuda_mm_fusion_args_devicePfj15HIP_vector_typeIjLj3EEjjjS8_jjjS8_jjjj.kd
    .uniform_work_group_size: 1
    .uses_dynamic_stack: false
    .vgpr_count:     42
    .vgpr_spill_count: 0
    .wavefront_size: 32
    .workgroup_processor_mode: 1
  - .args:
      - .address_space:  global
        .offset:         0
        .size:           8
        .value_kind:     global_buffer
      - .address_space:  global
        .offset:         8
        .size:           8
        .value_kind:     global_buffer
      - .address_space:  global
        .offset:         16
        .size:           8
        .value_kind:     global_buffer
      - .offset:         24
        .size:           32
        .value_kind:     by_value
      - .address_space:  global
        .offset:         56
        .size:           8
        .value_kind:     global_buffer
      - .offset:         64
        .size:           4
        .value_kind:     by_value
      - .offset:         68
        .size:           12
        .value_kind:     by_value
      - .offset:         80
        .size:           4
        .value_kind:     by_value
      - .offset:         84
        .size:           4
        .value_kind:     by_value
      - .offset:         88
        .size:           4
        .value_kind:     by_value
      - .offset:         92
        .size:           12
        .value_kind:     by_value
      - .offset:         104
        .size:           4
        .value_kind:     by_value
      - .offset:         108
        .size:           4
        .value_kind:     by_value
      - .offset:         112
        .size:           4
        .value_kind:     by_value
      - .offset:         116
        .size:           12
        .value_kind:     by_value
      - .offset:         128
        .size:           4
        .value_kind:     by_value
      - .offset:         132
        .size:           4
        .value_kind:     by_value
      - .offset:         136
        .size:           4
        .value_kind:     by_value
      - .offset:         140
        .size:           4
        .value_kind:     by_value
    .group_segment_fixed_size: 0
    .kernarg_segment_align: 8
    .kernarg_segment_size: 144
    .language:       OpenCL C
    .language_version:
      - 2
      - 0
    .max_flat_workgroup_size: 32
    .name:           _ZL13mul_mat_vec_qIL9ggml_type23ELi7ELb0ELb0EEvPKvS2_PKi31ggml_cuda_mm_fusion_args_devicePfj15HIP_vector_typeIjLj3EEjjjS8_jjjS8_jjjj
    .private_segment_fixed_size: 0
    .sgpr_count:     30
    .sgpr_spill_count: 0
    .symbol:         _ZL13mul_mat_vec_qIL9ggml_type23ELi7ELb0ELb0EEvPKvS2_PKi31ggml_cuda_mm_fusion_args_devicePfj15HIP_vector_typeIjLj3EEjjjS8_jjjS8_jjjj.kd
    .uniform_work_group_size: 1
    .uses_dynamic_stack: false
    .vgpr_count:     44
    .vgpr_spill_count: 0
    .wavefront_size: 32
    .workgroup_processor_mode: 1
  - .args:
      - .address_space:  global
        .offset:         0
        .size:           8
        .value_kind:     global_buffer
      - .address_space:  global
        .offset:         8
        .size:           8
        .value_kind:     global_buffer
      - .address_space:  global
        .offset:         16
        .size:           8
        .value_kind:     global_buffer
      - .offset:         24
        .size:           32
        .value_kind:     by_value
      - .address_space:  global
        .offset:         56
        .size:           8
        .value_kind:     global_buffer
      - .offset:         64
        .size:           4
        .value_kind:     by_value
      - .offset:         68
        .size:           12
        .value_kind:     by_value
      - .offset:         80
        .size:           4
        .value_kind:     by_value
      - .offset:         84
        .size:           4
        .value_kind:     by_value
      - .offset:         88
        .size:           4
        .value_kind:     by_value
      - .offset:         92
        .size:           12
        .value_kind:     by_value
      - .offset:         104
        .size:           4
        .value_kind:     by_value
      - .offset:         108
        .size:           4
        .value_kind:     by_value
      - .offset:         112
        .size:           4
        .value_kind:     by_value
      - .offset:         116
        .size:           12
        .value_kind:     by_value
      - .offset:         128
        .size:           4
        .value_kind:     by_value
      - .offset:         132
        .size:           4
        .value_kind:     by_value
      - .offset:         136
        .size:           4
        .value_kind:     by_value
      - .offset:         140
        .size:           4
        .value_kind:     by_value
    .group_segment_fixed_size: 0
    .kernarg_segment_align: 8
    .kernarg_segment_size: 144
    .language:       OpenCL C
    .language_version:
      - 2
      - 0
    .max_flat_workgroup_size: 32
    .name:           _ZL13mul_mat_vec_qIL9ggml_type23ELi8ELb0ELb0EEvPKvS2_PKi31ggml_cuda_mm_fusion_args_devicePfj15HIP_vector_typeIjLj3EEjjjS8_jjjS8_jjjj
    .private_segment_fixed_size: 0
    .sgpr_count:     30
    .sgpr_spill_count: 0
    .symbol:         _ZL13mul_mat_vec_qIL9ggml_type23ELi8ELb0ELb0EEvPKvS2_PKi31ggml_cuda_mm_fusion_args_devicePfj15HIP_vector_typeIjLj3EEjjjS8_jjjS8_jjjj.kd
    .uniform_work_group_size: 1
    .uses_dynamic_stack: false
    .vgpr_count:     40
    .vgpr_spill_count: 0
    .wavefront_size: 32
    .workgroup_processor_mode: 1
  - .args:
      - .address_space:  global
        .offset:         0
        .size:           8
        .value_kind:     global_buffer
      - .address_space:  global
        .offset:         8
        .size:           8
        .value_kind:     global_buffer
      - .address_space:  global
        .offset:         16
        .size:           8
        .value_kind:     global_buffer
      - .address_space:  global
        .offset:         24
        .size:           8
        .value_kind:     global_buffer
      - .offset:         32
        .size:           4
        .value_kind:     by_value
      - .offset:         36
        .size:           12
        .value_kind:     by_value
      - .offset:         48
        .size:           4
        .value_kind:     by_value
      - .offset:         52
        .size:           4
        .value_kind:     by_value
      - .offset:         56
        .size:           4
        .value_kind:     by_value
      - .offset:         60
        .size:           4
        .value_kind:     by_value
      - .offset:         64
        .size:           4
        .value_kind:     by_value
      - .offset:         68
        .size:           4
        .value_kind:     by_value
      - .offset:         72
        .size:           4
        .value_kind:     by_value
      - .offset:         76
        .size:           4
        .value_kind:     by_value
      - .offset:         80
        .size:           4
        .value_kind:     by_value
    .group_segment_fixed_size: 0
    .kernarg_segment_align: 8
    .kernarg_segment_size: 84
    .language:       OpenCL C
    .language_version:
      - 2
      - 0
    .max_flat_workgroup_size: 128
    .name:           _ZL17mul_mat_vec_q_moeIL9ggml_type21ELi2EEvPKvS2_PKiPfj15HIP_vector_typeIjLj3EEjjjjjjjjj
    .private_segment_fixed_size: 0
    .sgpr_count:     30
    .sgpr_spill_count: 0
    .symbol:         _ZL17mul_mat_vec_q_moeIL9ggml_type21ELi2EEvPKvS2_PKiPfj15HIP_vector_typeIjLj3EEjjjjjjjjj.kd
    .uniform_work_group_size: 1
    .uses_dynamic_stack: false
    .vgpr_count:     125
    .vgpr_spill_count: 0
    .wavefront_size: 32
    .workgroup_processor_mode: 1
  - .args:
      - .address_space:  global
        .offset:         0
        .size:           8
        .value_kind:     global_buffer
      - .address_space:  global
        .offset:         8
        .size:           8
        .value_kind:     global_buffer
      - .address_space:  global
        .offset:         16
        .size:           8
        .value_kind:     global_buffer
      - .offset:         24
        .size:           32
        .value_kind:     by_value
      - .address_space:  global
        .offset:         56
        .size:           8
        .value_kind:     global_buffer
      - .offset:         64
        .size:           4
        .value_kind:     by_value
      - .offset:         68
        .size:           12
        .value_kind:     by_value
      - .offset:         80
        .size:           4
        .value_kind:     by_value
      - .offset:         84
        .size:           4
        .value_kind:     by_value
      - .offset:         88
        .size:           4
        .value_kind:     by_value
      - .offset:         92
        .size:           12
        .value_kind:     by_value
      - .offset:         104
        .size:           4
        .value_kind:     by_value
      - .offset:         108
        .size:           4
        .value_kind:     by_value
      - .offset:         112
        .size:           4
        .value_kind:     by_value
      - .offset:         116
        .size:           12
        .value_kind:     by_value
      - .offset:         128
        .size:           4
        .value_kind:     by_value
      - .offset:         132
        .size:           4
        .value_kind:     by_value
      - .offset:         136
        .size:           4
        .value_kind:     by_value
      - .offset:         140
        .size:           4
        .value_kind:     by_value
    .group_segment_fixed_size: 0
    .kernarg_segment_align: 8
    .kernarg_segment_size: 144
    .language:       OpenCL C
    .language_version:
      - 2
      - 0
    .max_flat_workgroup_size: 32
    .name:           _ZL13mul_mat_vec_qIL9ggml_type21ELi1ELb1ELb1EEvPKvS2_PKi31ggml_cuda_mm_fusion_args_devicePfj15HIP_vector_typeIjLj3EEjjjS8_jjjS8_jjjj
    .private_segment_fixed_size: 0
    .sgpr_count:     42
    .sgpr_spill_count: 0
    .symbol:         _ZL13mul_mat_vec_qIL9ggml_type21ELi1ELb1ELb1EEvPKvS2_PKi31ggml_cuda_mm_fusion_args_devicePfj15HIP_vector_typeIjLj3EEjjjS8_jjjS8_jjjj.kd
    .uniform_work_group_size: 1
    .uses_dynamic_stack: false
    .vgpr_count:     58
    .vgpr_spill_count: 0
    .wavefront_size: 32
    .workgroup_processor_mode: 1
  - .args:
      - .address_space:  global
        .offset:         0
        .size:           8
        .value_kind:     global_buffer
      - .address_space:  global
        .offset:         8
        .size:           8
        .value_kind:     global_buffer
      - .address_space:  global
        .offset:         16
        .size:           8
        .value_kind:     global_buffer
      - .offset:         24
        .size:           32
        .value_kind:     by_value
      - .address_space:  global
        .offset:         56
        .size:           8
        .value_kind:     global_buffer
      - .offset:         64
        .size:           4
        .value_kind:     by_value
      - .offset:         68
        .size:           12
        .value_kind:     by_value
      - .offset:         80
        .size:           4
        .value_kind:     by_value
      - .offset:         84
        .size:           4
        .value_kind:     by_value
      - .offset:         88
        .size:           4
        .value_kind:     by_value
      - .offset:         92
        .size:           12
        .value_kind:     by_value
      - .offset:         104
        .size:           4
        .value_kind:     by_value
      - .offset:         108
        .size:           4
        .value_kind:     by_value
      - .offset:         112
        .size:           4
        .value_kind:     by_value
      - .offset:         116
        .size:           12
        .value_kind:     by_value
      - .offset:         128
        .size:           4
        .value_kind:     by_value
      - .offset:         132
        .size:           4
        .value_kind:     by_value
      - .offset:         136
        .size:           4
        .value_kind:     by_value
      - .offset:         140
        .size:           4
        .value_kind:     by_value
    .group_segment_fixed_size: 0
    .kernarg_segment_align: 8
    .kernarg_segment_size: 144
    .language:       OpenCL C
    .language_version:
      - 2
      - 0
    .max_flat_workgroup_size: 32
    .name:           _ZL13mul_mat_vec_qIL9ggml_type21ELi1ELb0ELb1EEvPKvS2_PKi31ggml_cuda_mm_fusion_args_devicePfj15HIP_vector_typeIjLj3EEjjjS8_jjjS8_jjjj
    .private_segment_fixed_size: 0
    .sgpr_count:     24
    .sgpr_spill_count: 0
    .symbol:         _ZL13mul_mat_vec_qIL9ggml_type21ELi1ELb0ELb1EEvPKvS2_PKi31ggml_cuda_mm_fusion_args_devicePfj15HIP_vector_typeIjLj3EEjjjS8_jjjS8_jjjj.kd
    .uniform_work_group_size: 1
    .uses_dynamic_stack: false
    .vgpr_count:     64
    .vgpr_spill_count: 0
    .wavefront_size: 32
    .workgroup_processor_mode: 1
  - .args:
      - .address_space:  global
        .offset:         0
        .size:           8
        .value_kind:     global_buffer
      - .address_space:  global
        .offset:         8
        .size:           8
        .value_kind:     global_buffer
      - .address_space:  global
        .offset:         16
        .size:           8
        .value_kind:     global_buffer
      - .offset:         24
        .size:           32
        .value_kind:     by_value
      - .address_space:  global
        .offset:         56
        .size:           8
        .value_kind:     global_buffer
      - .offset:         64
        .size:           4
        .value_kind:     by_value
      - .offset:         68
        .size:           12
        .value_kind:     by_value
      - .offset:         80
        .size:           4
        .value_kind:     by_value
      - .offset:         84
        .size:           4
        .value_kind:     by_value
      - .offset:         88
        .size:           4
        .value_kind:     by_value
      - .offset:         92
        .size:           12
        .value_kind:     by_value
      - .offset:         104
        .size:           4
        .value_kind:     by_value
      - .offset:         108
        .size:           4
        .value_kind:     by_value
      - .offset:         112
        .size:           4
        .value_kind:     by_value
      - .offset:         116
        .size:           12
        .value_kind:     by_value
      - .offset:         128
        .size:           4
        .value_kind:     by_value
      - .offset:         132
        .size:           4
        .value_kind:     by_value
      - .offset:         136
        .size:           4
        .value_kind:     by_value
      - .offset:         140
        .size:           4
        .value_kind:     by_value
    .group_segment_fixed_size: 0
    .kernarg_segment_align: 8
    .kernarg_segment_size: 144
    .language:       OpenCL C
    .language_version:
      - 2
      - 0
    .max_flat_workgroup_size: 32
    .name:           _ZL13mul_mat_vec_qIL9ggml_type21ELi1ELb1ELb0EEvPKvS2_PKi31ggml_cuda_mm_fusion_args_devicePfj15HIP_vector_typeIjLj3EEjjjS8_jjjS8_jjjj
    .private_segment_fixed_size: 0
    .sgpr_count:     42
    .sgpr_spill_count: 0
    .symbol:         _ZL13mul_mat_vec_qIL9ggml_type21ELi1ELb1ELb0EEvPKvS2_PKi31ggml_cuda_mm_fusion_args_devicePfj15HIP_vector_typeIjLj3EEjjjS8_jjjS8_jjjj.kd
    .uniform_work_group_size: 1
    .uses_dynamic_stack: false
    .vgpr_count:     58
    .vgpr_spill_count: 0
    .wavefront_size: 32
    .workgroup_processor_mode: 1
  - .args:
      - .address_space:  global
        .offset:         0
        .size:           8
        .value_kind:     global_buffer
      - .address_space:  global
        .offset:         8
        .size:           8
        .value_kind:     global_buffer
      - .address_space:  global
        .offset:         16
        .size:           8
        .value_kind:     global_buffer
      - .offset:         24
        .size:           32
        .value_kind:     by_value
      - .address_space:  global
        .offset:         56
        .size:           8
        .value_kind:     global_buffer
      - .offset:         64
        .size:           4
        .value_kind:     by_value
      - .offset:         68
        .size:           12
        .value_kind:     by_value
      - .offset:         80
        .size:           4
        .value_kind:     by_value
      - .offset:         84
        .size:           4
        .value_kind:     by_value
      - .offset:         88
        .size:           4
        .value_kind:     by_value
      - .offset:         92
        .size:           12
        .value_kind:     by_value
      - .offset:         104
        .size:           4
        .value_kind:     by_value
      - .offset:         108
        .size:           4
        .value_kind:     by_value
      - .offset:         112
        .size:           4
        .value_kind:     by_value
      - .offset:         116
        .size:           12
        .value_kind:     by_value
      - .offset:         128
        .size:           4
        .value_kind:     by_value
      - .offset:         132
        .size:           4
        .value_kind:     by_value
      - .offset:         136
        .size:           4
        .value_kind:     by_value
      - .offset:         140
        .size:           4
        .value_kind:     by_value
    .group_segment_fixed_size: 0
    .kernarg_segment_align: 8
    .kernarg_segment_size: 144
    .language:       OpenCL C
    .language_version:
      - 2
      - 0
    .max_flat_workgroup_size: 32
    .name:           _ZL13mul_mat_vec_qIL9ggml_type21ELi1ELb0ELb0EEvPKvS2_PKi31ggml_cuda_mm_fusion_args_devicePfj15HIP_vector_typeIjLj3EEjjjS8_jjjS8_jjjj
    .private_segment_fixed_size: 0
    .sgpr_count:     24
    .sgpr_spill_count: 0
    .symbol:         _ZL13mul_mat_vec_qIL9ggml_type21ELi1ELb0ELb0EEvPKvS2_PKi31ggml_cuda_mm_fusion_args_devicePfj15HIP_vector_typeIjLj3EEjjjS8_jjjS8_jjjj.kd
    .uniform_work_group_size: 1
    .uses_dynamic_stack: false
    .vgpr_count:     64
    .vgpr_spill_count: 0
    .wavefront_size: 32
    .workgroup_processor_mode: 1
  - .args:
      - .address_space:  global
        .offset:         0
        .size:           8
        .value_kind:     global_buffer
      - .address_space:  global
        .offset:         8
        .size:           8
        .value_kind:     global_buffer
      - .address_space:  global
        .offset:         16
        .size:           8
        .value_kind:     global_buffer
      - .offset:         24
        .size:           32
        .value_kind:     by_value
      - .address_space:  global
        .offset:         56
        .size:           8
        .value_kind:     global_buffer
      - .offset:         64
        .size:           4
        .value_kind:     by_value
      - .offset:         68
        .size:           12
        .value_kind:     by_value
      - .offset:         80
        .size:           4
        .value_kind:     by_value
      - .offset:         84
        .size:           4
        .value_kind:     by_value
      - .offset:         88
        .size:           4
        .value_kind:     by_value
      - .offset:         92
        .size:           12
        .value_kind:     by_value
      - .offset:         104
        .size:           4
        .value_kind:     by_value
      - .offset:         108
        .size:           4
        .value_kind:     by_value
      - .offset:         112
        .size:           4
        .value_kind:     by_value
      - .offset:         116
        .size:           12
        .value_kind:     by_value
      - .offset:         128
        .size:           4
        .value_kind:     by_value
      - .offset:         132
        .size:           4
        .value_kind:     by_value
      - .offset:         136
        .size:           4
        .value_kind:     by_value
      - .offset:         140
        .size:           4
        .value_kind:     by_value
    .group_segment_fixed_size: 0
    .kernarg_segment_align: 8
    .kernarg_segment_size: 144
    .language:       OpenCL C
    .language_version:
      - 2
      - 0
    .max_flat_workgroup_size: 32
    .name:           _ZL13mul_mat_vec_qIL9ggml_type21ELi2ELb0ELb0EEvPKvS2_PKi31ggml_cuda_mm_fusion_args_devicePfj15HIP_vector_typeIjLj3EEjjjS8_jjjS8_jjjj
    .private_segment_fixed_size: 0
    .sgpr_count:     30
    .sgpr_spill_count: 0
    .symbol:         _ZL13mul_mat_vec_qIL9ggml_type21ELi2ELb0ELb0EEvPKvS2_PKi31ggml_cuda_mm_fusion_args_devicePfj15HIP_vector_typeIjLj3EEjjjS8_jjjS8_jjjj.kd
    .uniform_work_group_size: 1
    .uses_dynamic_stack: false
    .vgpr_count:     39
    .vgpr_spill_count: 0
    .wavefront_size: 32
    .workgroup_processor_mode: 1
  - .args:
      - .address_space:  global
        .offset:         0
        .size:           8
        .value_kind:     global_buffer
      - .address_space:  global
        .offset:         8
        .size:           8
        .value_kind:     global_buffer
      - .address_space:  global
        .offset:         16
        .size:           8
        .value_kind:     global_buffer
      - .offset:         24
        .size:           32
        .value_kind:     by_value
      - .address_space:  global
        .offset:         56
        .size:           8
        .value_kind:     global_buffer
      - .offset:         64
        .size:           4
        .value_kind:     by_value
      - .offset:         68
        .size:           12
        .value_kind:     by_value
      - .offset:         80
        .size:           4
        .value_kind:     by_value
      - .offset:         84
        .size:           4
        .value_kind:     by_value
      - .offset:         88
        .size:           4
        .value_kind:     by_value
      - .offset:         92
        .size:           12
        .value_kind:     by_value
      - .offset:         104
        .size:           4
        .value_kind:     by_value
      - .offset:         108
        .size:           4
        .value_kind:     by_value
      - .offset:         112
        .size:           4
        .value_kind:     by_value
      - .offset:         116
        .size:           12
        .value_kind:     by_value
      - .offset:         128
        .size:           4
        .value_kind:     by_value
      - .offset:         132
        .size:           4
        .value_kind:     by_value
      - .offset:         136
        .size:           4
        .value_kind:     by_value
      - .offset:         140
        .size:           4
        .value_kind:     by_value
    .group_segment_fixed_size: 0
    .kernarg_segment_align: 8
    .kernarg_segment_size: 144
    .language:       OpenCL C
    .language_version:
      - 2
      - 0
    .max_flat_workgroup_size: 32
    .name:           _ZL13mul_mat_vec_qIL9ggml_type21ELi3ELb0ELb0EEvPKvS2_PKi31ggml_cuda_mm_fusion_args_devicePfj15HIP_vector_typeIjLj3EEjjjS8_jjjS8_jjjj
    .private_segment_fixed_size: 0
    .sgpr_count:     30
    .sgpr_spill_count: 0
    .symbol:         _ZL13mul_mat_vec_qIL9ggml_type21ELi3ELb0ELb0EEvPKvS2_PKi31ggml_cuda_mm_fusion_args_devicePfj15HIP_vector_typeIjLj3EEjjjS8_jjjS8_jjjj.kd
    .uniform_work_group_size: 1
    .uses_dynamic_stack: false
    .vgpr_count:     41
    .vgpr_spill_count: 0
    .wavefront_size: 32
    .workgroup_processor_mode: 1
  - .args:
      - .address_space:  global
        .offset:         0
        .size:           8
        .value_kind:     global_buffer
      - .address_space:  global
        .offset:         8
        .size:           8
        .value_kind:     global_buffer
      - .address_space:  global
        .offset:         16
        .size:           8
        .value_kind:     global_buffer
      - .offset:         24
        .size:           32
        .value_kind:     by_value
      - .address_space:  global
        .offset:         56
        .size:           8
        .value_kind:     global_buffer
      - .offset:         64
        .size:           4
        .value_kind:     by_value
      - .offset:         68
        .size:           12
        .value_kind:     by_value
      - .offset:         80
        .size:           4
        .value_kind:     by_value
      - .offset:         84
        .size:           4
        .value_kind:     by_value
      - .offset:         88
        .size:           4
        .value_kind:     by_value
      - .offset:         92
        .size:           12
        .value_kind:     by_value
      - .offset:         104
        .size:           4
        .value_kind:     by_value
      - .offset:         108
        .size:           4
        .value_kind:     by_value
      - .offset:         112
        .size:           4
        .value_kind:     by_value
      - .offset:         116
        .size:           12
        .value_kind:     by_value
      - .offset:         128
        .size:           4
        .value_kind:     by_value
      - .offset:         132
        .size:           4
        .value_kind:     by_value
      - .offset:         136
        .size:           4
        .value_kind:     by_value
      - .offset:         140
        .size:           4
        .value_kind:     by_value
    .group_segment_fixed_size: 0
    .kernarg_segment_align: 8
    .kernarg_segment_size: 144
    .language:       OpenCL C
    .language_version:
      - 2
      - 0
    .max_flat_workgroup_size: 32
    .name:           _ZL13mul_mat_vec_qIL9ggml_type21ELi4ELb0ELb0EEvPKvS2_PKi31ggml_cuda_mm_fusion_args_devicePfj15HIP_vector_typeIjLj3EEjjjS8_jjjS8_jjjj
    .private_segment_fixed_size: 0
    .sgpr_count:     30
    .sgpr_spill_count: 0
    .symbol:         _ZL13mul_mat_vec_qIL9ggml_type21ELi4ELb0ELb0EEvPKvS2_PKi31ggml_cuda_mm_fusion_args_devicePfj15HIP_vector_typeIjLj3EEjjjS8_jjjS8_jjjj.kd
    .uniform_work_group_size: 1
    .uses_dynamic_stack: false
    .vgpr_count:     46
    .vgpr_spill_count: 0
    .wavefront_size: 32
    .workgroup_processor_mode: 1
  - .args:
      - .address_space:  global
        .offset:         0
        .size:           8
        .value_kind:     global_buffer
      - .address_space:  global
        .offset:         8
        .size:           8
        .value_kind:     global_buffer
      - .address_space:  global
        .offset:         16
        .size:           8
        .value_kind:     global_buffer
      - .offset:         24
        .size:           32
        .value_kind:     by_value
      - .address_space:  global
        .offset:         56
        .size:           8
        .value_kind:     global_buffer
      - .offset:         64
        .size:           4
        .value_kind:     by_value
      - .offset:         68
        .size:           12
        .value_kind:     by_value
      - .offset:         80
        .size:           4
        .value_kind:     by_value
      - .offset:         84
        .size:           4
        .value_kind:     by_value
      - .offset:         88
        .size:           4
        .value_kind:     by_value
      - .offset:         92
        .size:           12
        .value_kind:     by_value
      - .offset:         104
        .size:           4
        .value_kind:     by_value
      - .offset:         108
        .size:           4
        .value_kind:     by_value
      - .offset:         112
        .size:           4
        .value_kind:     by_value
      - .offset:         116
        .size:           12
        .value_kind:     by_value
      - .offset:         128
        .size:           4
        .value_kind:     by_value
      - .offset:         132
        .size:           4
        .value_kind:     by_value
      - .offset:         136
        .size:           4
        .value_kind:     by_value
      - .offset:         140
        .size:           4
        .value_kind:     by_value
    .group_segment_fixed_size: 0
    .kernarg_segment_align: 8
    .kernarg_segment_size: 144
    .language:       OpenCL C
    .language_version:
      - 2
      - 0
    .max_flat_workgroup_size: 32
    .name:           _ZL13mul_mat_vec_qIL9ggml_type21ELi5ELb0ELb0EEvPKvS2_PKi31ggml_cuda_mm_fusion_args_devicePfj15HIP_vector_typeIjLj3EEjjjS8_jjjS8_jjjj
    .private_segment_fixed_size: 0
    .sgpr_count:     30
    .sgpr_spill_count: 0
    .symbol:         _ZL13mul_mat_vec_qIL9ggml_type21ELi5ELb0ELb0EEvPKvS2_PKi31ggml_cuda_mm_fusion_args_devicePfj15HIP_vector_typeIjLj3EEjjjS8_jjjS8_jjjj.kd
    .uniform_work_group_size: 1
    .uses_dynamic_stack: false
    .vgpr_count:     48
    .vgpr_spill_count: 0
    .wavefront_size: 32
    .workgroup_processor_mode: 1
  - .args:
      - .address_space:  global
        .offset:         0
        .size:           8
        .value_kind:     global_buffer
      - .address_space:  global
        .offset:         8
        .size:           8
        .value_kind:     global_buffer
      - .address_space:  global
        .offset:         16
        .size:           8
        .value_kind:     global_buffer
      - .offset:         24
        .size:           32
        .value_kind:     by_value
      - .address_space:  global
        .offset:         56
        .size:           8
        .value_kind:     global_buffer
      - .offset:         64
        .size:           4
        .value_kind:     by_value
      - .offset:         68
        .size:           12
        .value_kind:     by_value
      - .offset:         80
        .size:           4
        .value_kind:     by_value
      - .offset:         84
        .size:           4
        .value_kind:     by_value
      - .offset:         88
        .size:           4
        .value_kind:     by_value
      - .offset:         92
        .size:           12
        .value_kind:     by_value
      - .offset:         104
        .size:           4
        .value_kind:     by_value
      - .offset:         108
        .size:           4
        .value_kind:     by_value
      - .offset:         112
        .size:           4
        .value_kind:     by_value
      - .offset:         116
        .size:           12
        .value_kind:     by_value
      - .offset:         128
        .size:           4
        .value_kind:     by_value
      - .offset:         132
        .size:           4
        .value_kind:     by_value
      - .offset:         136
        .size:           4
        .value_kind:     by_value
      - .offset:         140
        .size:           4
        .value_kind:     by_value
    .group_segment_fixed_size: 0
    .kernarg_segment_align: 8
    .kernarg_segment_size: 144
    .language:       OpenCL C
    .language_version:
      - 2
      - 0
    .max_flat_workgroup_size: 32
    .name:           _ZL13mul_mat_vec_qIL9ggml_type21ELi6ELb0ELb0EEvPKvS2_PKi31ggml_cuda_mm_fusion_args_devicePfj15HIP_vector_typeIjLj3EEjjjS8_jjjS8_jjjj
    .private_segment_fixed_size: 0
    .sgpr_count:     30
    .sgpr_spill_count: 0
    .symbol:         _ZL13mul_mat_vec_qIL9ggml_type21ELi6ELb0ELb0EEvPKvS2_PKi31ggml_cuda_mm_fusion_args_devicePfj15HIP_vector_typeIjLj3EEjjjS8_jjjS8_jjjj.kd
    .uniform_work_group_size: 1
    .uses_dynamic_stack: false
    .vgpr_count:     50
    .vgpr_spill_count: 0
    .wavefront_size: 32
    .workgroup_processor_mode: 1
  - .args:
      - .address_space:  global
        .offset:         0
        .size:           8
        .value_kind:     global_buffer
      - .address_space:  global
        .offset:         8
        .size:           8
        .value_kind:     global_buffer
      - .address_space:  global
        .offset:         16
        .size:           8
        .value_kind:     global_buffer
      - .offset:         24
        .size:           32
        .value_kind:     by_value
      - .address_space:  global
        .offset:         56
        .size:           8
        .value_kind:     global_buffer
      - .offset:         64
        .size:           4
        .value_kind:     by_value
      - .offset:         68
        .size:           12
        .value_kind:     by_value
      - .offset:         80
        .size:           4
        .value_kind:     by_value
      - .offset:         84
        .size:           4
        .value_kind:     by_value
      - .offset:         88
        .size:           4
        .value_kind:     by_value
      - .offset:         92
        .size:           12
        .value_kind:     by_value
      - .offset:         104
        .size:           4
        .value_kind:     by_value
      - .offset:         108
        .size:           4
        .value_kind:     by_value
      - .offset:         112
        .size:           4
        .value_kind:     by_value
      - .offset:         116
        .size:           12
        .value_kind:     by_value
      - .offset:         128
        .size:           4
        .value_kind:     by_value
      - .offset:         132
        .size:           4
        .value_kind:     by_value
      - .offset:         136
        .size:           4
        .value_kind:     by_value
      - .offset:         140
        .size:           4
        .value_kind:     by_value
    .group_segment_fixed_size: 0
    .kernarg_segment_align: 8
    .kernarg_segment_size: 144
    .language:       OpenCL C
    .language_version:
      - 2
      - 0
    .max_flat_workgroup_size: 32
    .name:           _ZL13mul_mat_vec_qIL9ggml_type21ELi7ELb0ELb0EEvPKvS2_PKi31ggml_cuda_mm_fusion_args_devicePfj15HIP_vector_typeIjLj3EEjjjS8_jjjS8_jjjj
    .private_segment_fixed_size: 0
    .sgpr_count:     30
    .sgpr_spill_count: 0
    .symbol:         _ZL13mul_mat_vec_qIL9ggml_type21ELi7ELb0ELb0EEvPKvS2_PKi31ggml_cuda_mm_fusion_args_devicePfj15HIP_vector_typeIjLj3EEjjjS8_jjjS8_jjjj.kd
    .uniform_work_group_size: 1
    .uses_dynamic_stack: false
    .vgpr_count:     52
    .vgpr_spill_count: 0
    .wavefront_size: 32
    .workgroup_processor_mode: 1
  - .args:
      - .address_space:  global
        .offset:         0
        .size:           8
        .value_kind:     global_buffer
      - .address_space:  global
        .offset:         8
        .size:           8
        .value_kind:     global_buffer
      - .address_space:  global
        .offset:         16
        .size:           8
        .value_kind:     global_buffer
      - .offset:         24
        .size:           32
        .value_kind:     by_value
      - .address_space:  global
        .offset:         56
        .size:           8
        .value_kind:     global_buffer
      - .offset:         64
        .size:           4
        .value_kind:     by_value
      - .offset:         68
        .size:           12
        .value_kind:     by_value
      - .offset:         80
        .size:           4
        .value_kind:     by_value
      - .offset:         84
        .size:           4
        .value_kind:     by_value
      - .offset:         88
        .size:           4
        .value_kind:     by_value
      - .offset:         92
        .size:           12
        .value_kind:     by_value
      - .offset:         104
        .size:           4
        .value_kind:     by_value
      - .offset:         108
        .size:           4
        .value_kind:     by_value
      - .offset:         112
        .size:           4
        .value_kind:     by_value
      - .offset:         116
        .size:           12
        .value_kind:     by_value
      - .offset:         128
        .size:           4
        .value_kind:     by_value
      - .offset:         132
        .size:           4
        .value_kind:     by_value
      - .offset:         136
        .size:           4
        .value_kind:     by_value
      - .offset:         140
        .size:           4
        .value_kind:     by_value
    .group_segment_fixed_size: 0
    .kernarg_segment_align: 8
    .kernarg_segment_size: 144
    .language:       OpenCL C
    .language_version:
      - 2
      - 0
    .max_flat_workgroup_size: 32
    .name:           _ZL13mul_mat_vec_qIL9ggml_type21ELi8ELb0ELb0EEvPKvS2_PKi31ggml_cuda_mm_fusion_args_devicePfj15HIP_vector_typeIjLj3EEjjjS8_jjjS8_jjjj
    .private_segment_fixed_size: 0
    .sgpr_count:     30
    .sgpr_spill_count: 0
    .symbol:         _ZL13mul_mat_vec_qIL9ggml_type21ELi8ELb0ELb0EEvPKvS2_PKi31ggml_cuda_mm_fusion_args_devicePfj15HIP_vector_typeIjLj3EEjjjS8_jjjS8_jjjj.kd
    .uniform_work_group_size: 1
    .uses_dynamic_stack: false
    .vgpr_count:     48
    .vgpr_spill_count: 0
    .wavefront_size: 32
    .workgroup_processor_mode: 1
amdhsa.target:   amdgcn-amd-amdhsa--gfx1030
amdhsa.version:
  - 1
  - 2
...

	.end_amdgpu_metadata
